;; amdgpu-corpus repo=ROCm/composable_kernel kind=compiled arch=gfx90a opt=O3
	.text
	.amdgcn_target "amdgcn-amd-amdhsa--gfx90a"
	.amdhsa_code_object_version 6
	.section	.text._ZN2ckL12flush_icacheEv,"axG",@progbits,_ZN2ckL12flush_icacheEv,comdat
	.globl	_ZN2ckL12flush_icacheEv         ; -- Begin function _ZN2ckL12flush_icacheEv
	.p2align	8
	.type	_ZN2ckL12flush_icacheEv,@function
_ZN2ckL12flush_icacheEv:                ; @_ZN2ckL12flush_icacheEv
; %bb.0:
	;;#ASMSTART
	s_icache_inv 
	s_nop 0 
	s_nop 0 
	;; [unrolled: 1-line block ×16, first 2 shown]
	
	;;#ASMEND
	s_endpgm
	.section	.rodata,"a",@progbits
	.p2align	6, 0x0
	.amdhsa_kernel _ZN2ckL12flush_icacheEv
		.amdhsa_group_segment_fixed_size 0
		.amdhsa_private_segment_fixed_size 0
		.amdhsa_kernarg_size 0
		.amdhsa_user_sgpr_count 4
		.amdhsa_user_sgpr_private_segment_buffer 1
		.amdhsa_user_sgpr_dispatch_ptr 0
		.amdhsa_user_sgpr_queue_ptr 0
		.amdhsa_user_sgpr_kernarg_segment_ptr 0
		.amdhsa_user_sgpr_dispatch_id 0
		.amdhsa_user_sgpr_flat_scratch_init 0
		.amdhsa_user_sgpr_kernarg_preload_length 0
		.amdhsa_user_sgpr_kernarg_preload_offset 0
		.amdhsa_user_sgpr_private_segment_size 0
		.amdhsa_uses_dynamic_stack 0
		.amdhsa_system_sgpr_private_segment_wavefront_offset 0
		.amdhsa_system_sgpr_workgroup_id_x 1
		.amdhsa_system_sgpr_workgroup_id_y 0
		.amdhsa_system_sgpr_workgroup_id_z 0
		.amdhsa_system_sgpr_workgroup_info 0
		.amdhsa_system_vgpr_workitem_id 0
		.amdhsa_next_free_vgpr 1
		.amdhsa_next_free_sgpr 0
		.amdhsa_accum_offset 4
		.amdhsa_reserve_vcc 0
		.amdhsa_reserve_flat_scratch 0
		.amdhsa_float_round_mode_32 0
		.amdhsa_float_round_mode_16_64 0
		.amdhsa_float_denorm_mode_32 3
		.amdhsa_float_denorm_mode_16_64 3
		.amdhsa_dx10_clamp 1
		.amdhsa_ieee_mode 1
		.amdhsa_fp16_overflow 0
		.amdhsa_tg_split 0
		.amdhsa_exception_fp_ieee_invalid_op 0
		.amdhsa_exception_fp_denorm_src 0
		.amdhsa_exception_fp_ieee_div_zero 0
		.amdhsa_exception_fp_ieee_overflow 0
		.amdhsa_exception_fp_ieee_underflow 0
		.amdhsa_exception_fp_ieee_inexact 0
		.amdhsa_exception_int_div_zero 0
	.end_amdhsa_kernel
	.section	.text._ZN2ckL12flush_icacheEv,"axG",@progbits,_ZN2ckL12flush_icacheEv,comdat
.Lfunc_end0:
	.size	_ZN2ckL12flush_icacheEv, .Lfunc_end0-_ZN2ckL12flush_icacheEv
                                        ; -- End function
	.section	.AMDGPU.csdata,"",@progbits
; Kernel info:
; codeLenInByte = 140
; NumSgprs: 4
; NumVgprs: 0
; NumAgprs: 0
; TotalNumVgprs: 0
; ScratchSize: 0
; MemoryBound: 0
; FloatMode: 240
; IeeeMode: 1
; LDSByteSize: 0 bytes/workgroup (compile time only)
; SGPRBlocks: 0
; VGPRBlocks: 0
; NumSGPRsForWavesPerEU: 4
; NumVGPRsForWavesPerEU: 1
; AccumOffset: 4
; Occupancy: 8
; WaveLimiterHint : 0
; COMPUTE_PGM_RSRC2:SCRATCH_EN: 0
; COMPUTE_PGM_RSRC2:USER_SGPR: 4
; COMPUTE_PGM_RSRC2:TRAP_HANDLER: 0
; COMPUTE_PGM_RSRC2:TGID_X_EN: 1
; COMPUTE_PGM_RSRC2:TGID_Y_EN: 0
; COMPUTE_PGM_RSRC2:TGID_Z_EN: 0
; COMPUTE_PGM_RSRC2:TIDIG_COMP_CNT: 0
; COMPUTE_PGM_RSRC3_GFX90A:ACCUM_OFFSET: 0
; COMPUTE_PGM_RSRC3_GFX90A:TG_SPLIT: 0
	.text
	.p2align	2                               ; -- Begin function _ZNK2ck6detail7applierIiJLi0ELi1ELi2ELi3ELi4ELi5ELi6ELi7EEEclIZNKS_51BlockwiseGemmXdlops_k0mk1_k0nk1_m0n0m1n1m2m3m4n2_v1ILi256ENS_9f8_fnuz_tENS_10bf8_fnuz_tEfKNS_16TensorDescriptorINS_5TupleIJNS_5EmbedINS8_IJNS_17integral_constantIiLi4EEENSA_IiLi256EEENSA_IiLi16EEEEEENS8_IJNSA_IiLi4112EEESD_NSA_IiLi1EEEEEELb0EEEEEENS8_IJNS_8SequenceIJLi0EEEEEEENS8_IJNSK_IJLi1ELi2ELi3EEEEEEESN_NSA_IlLl16432EEEEEKNS7_INS8_IJNS9_INS8_IJSB_NSA_IiLi128EEESD_EEENS8_IJNSA_IiLi2064EEESD_SG_EEELb0EEEEEESM_SO_SN_NSA_IlLl8240EEEEELi16ELi16ELi8ELi4ELi16ES5_S6_E3RunINS_13DynamicBufferILNS_16AddressSpaceEnumE2ES5_SP_Lb1ELNS_22AmdBufferCoherenceEnumE0EiEENS13_ILS14_2ES6_SY_Lb1ELS15_0EiEENS_25StaticBufferTupleOfVectorILS14_4EfLi32ELi4ELb1ELb0EEEEEvRKT_RKT0_RT1_EUlS1A_E_EEvS1A_
	.type	_ZNK2ck6detail7applierIiJLi0ELi1ELi2ELi3ELi4ELi5ELi6ELi7EEEclIZNKS_51BlockwiseGemmXdlops_k0mk1_k0nk1_m0n0m1n1m2m3m4n2_v1ILi256ENS_9f8_fnuz_tENS_10bf8_fnuz_tEfKNS_16TensorDescriptorINS_5TupleIJNS_5EmbedINS8_IJNS_17integral_constantIiLi4EEENSA_IiLi256EEENSA_IiLi16EEEEEENS8_IJNSA_IiLi4112EEESD_NSA_IiLi1EEEEEELb0EEEEEENS8_IJNS_8SequenceIJLi0EEEEEEENS8_IJNSK_IJLi1ELi2ELi3EEEEEEESN_NSA_IlLl16432EEEEEKNS7_INS8_IJNS9_INS8_IJSB_NSA_IiLi128EEESD_EEENS8_IJNSA_IiLi2064EEESD_SG_EEELb0EEEEEESM_SO_SN_NSA_IlLl8240EEEEELi16ELi16ELi8ELi4ELi16ES5_S6_E3RunINS_13DynamicBufferILNS_16AddressSpaceEnumE2ES5_SP_Lb1ELNS_22AmdBufferCoherenceEnumE0EiEENS13_ILS14_2ES6_SY_Lb1ELS15_0EiEENS_25StaticBufferTupleOfVectorILS14_4EfLi32ELi4ELb1ELb0EEEEEvRKT_RKT0_RT1_EUlS1A_E_EEvS1A_,@function
_ZNK2ck6detail7applierIiJLi0ELi1ELi2ELi3ELi4ELi5ELi6ELi7EEEclIZNKS_51BlockwiseGemmXdlops_k0mk1_k0nk1_m0n0m1n1m2m3m4n2_v1ILi256ENS_9f8_fnuz_tENS_10bf8_fnuz_tEfKNS_16TensorDescriptorINS_5TupleIJNS_5EmbedINS8_IJNS_17integral_constantIiLi4EEENSA_IiLi256EEENSA_IiLi16EEEEEENS8_IJNSA_IiLi4112EEESD_NSA_IiLi1EEEEEELb0EEEEEENS8_IJNS_8SequenceIJLi0EEEEEEENS8_IJNSK_IJLi1ELi2ELi3EEEEEEESN_NSA_IlLl16432EEEEEKNS7_INS8_IJNS9_INS8_IJSB_NSA_IiLi128EEESD_EEENS8_IJNSA_IiLi2064EEESD_SG_EEELb0EEEEEESM_SO_SN_NSA_IlLl8240EEEEELi16ELi16ELi8ELi4ELi16ES5_S6_E3RunINS_13DynamicBufferILNS_16AddressSpaceEnumE2ES5_SP_Lb1ELNS_22AmdBufferCoherenceEnumE0EiEENS13_ILS14_2ES6_SY_Lb1ELS15_0EiEENS_25StaticBufferTupleOfVectorILS14_4EfLi32ELi4ELb1ELb0EEEEEvRKT_RKT0_RT1_EUlS1A_E_EEvS1A_: ; @_ZNK2ck6detail7applierIiJLi0ELi1ELi2ELi3ELi4ELi5ELi6ELi7EEEclIZNKS_51BlockwiseGemmXdlops_k0mk1_k0nk1_m0n0m1n1m2m3m4n2_v1ILi256ENS_9f8_fnuz_tENS_10bf8_fnuz_tEfKNS_16TensorDescriptorINS_5TupleIJNS_5EmbedINS8_IJNS_17integral_constantIiLi4EEENSA_IiLi256EEENSA_IiLi16EEEEEENS8_IJNSA_IiLi4112EEESD_NSA_IiLi1EEEEEELb0EEEEEENS8_IJNS_8SequenceIJLi0EEEEEEENS8_IJNSK_IJLi1ELi2ELi3EEEEEEESN_NSA_IlLl16432EEEEEKNS7_INS8_IJNS9_INS8_IJSB_NSA_IiLi128EEESD_EEENS8_IJNSA_IiLi2064EEESD_SG_EEELb0EEEEEESM_SO_SN_NSA_IlLl8240EEEEELi16ELi16ELi8ELi4ELi16ES5_S6_E3RunINS_13DynamicBufferILNS_16AddressSpaceEnumE2ES5_SP_Lb1ELNS_22AmdBufferCoherenceEnumE0EiEENS13_ILS14_2ES6_SY_Lb1ELS15_0EiEENS_25StaticBufferTupleOfVectorILS14_4EfLi32ELi4ELb1ELb0EEEEEvRKT_RKT0_RT1_EUlS1A_E_EEvS1A_
; %bb.0:
	s_waitcnt vmcnt(0) expcnt(0) lgkmcnt(0)
	flat_load_dword v14, v[0:1] offset:512
	flat_load_dwordx2 v[12:13], v[2:3]
	v_mov_b32_e32 v16, 8
	s_movk_i32 s4, 0x7f
                                        ; implicit-def: $sgpr10
	s_waitcnt vmcnt(0) lgkmcnt(0)
	v_ashrrev_i32_e32 v15, 31, v14
	v_add_co_u32_e32 v12, vcc, v12, v14
	v_addc_co_u32_e32 v13, vcc, v13, v15, vcc
	flat_load_dwordx4 v[12:15], v[12:13]
	s_waitcnt vmcnt(0) lgkmcnt(0)
	flat_store_dwordx4 v[4:5], v[12:15]
	flat_load_dword v14, v[0:1] offset:544
	s_nop 0
	flat_load_dwordx2 v[12:13], v[6:7]
	s_waitcnt vmcnt(0) lgkmcnt(0)
	v_ashrrev_i32_e32 v15, 31, v14
	v_add_co_u32_e32 v12, vcc, v12, v14
	v_addc_co_u32_e32 v13, vcc, v13, v15, vcc
	flat_load_dwordx4 v[12:15], v[12:13]
	s_waitcnt vmcnt(0) lgkmcnt(0)
	v_lshrrev_b32_sdwa v20, v16, v14 dst_sel:BYTE_1 dst_unused:UNUSED_PAD src0_sel:DWORD src1_sel:DWORD
	flat_store_dwordx4 v[8:9], v[12:15]
	flat_load_dwordx4 v[16:19], v[4:5]
	s_waitcnt vmcnt(0) lgkmcnt(0)
	v_cmp_gt_i16_sdwa s[6:7], v16, s4 src0_sel:BYTE_0 src1_sel:DWORD
	s_mov_b64 s[4:5], 0
	s_and_saveexec_b64 s[8:9], s[6:7]
	s_xor_b64 s[6:7], exec, s[8:9]
	s_cbranch_execz .LBB1_1
; %bb.9993:
	s_getpc_b64 s[14:15]
.Lpost_getpc900:
	s_add_u32 s14, s14, (.LBB1_4097-.Lpost_getpc900)&4294967295
	s_addc_u32 s15, s15, (.LBB1_4097-.Lpost_getpc900)>>32
	s_setpc_b64 s[14:15]
.LBB1_1:
	s_or_saveexec_b64 s[6:7], s[6:7]
	v_mov_b32_e32 v21, s10
	s_xor_b64 exec, exec, s[6:7]
	s_cbranch_execz .LBB1_2
; %bb.9995:
	s_getpc_b64 s[14:15]
.Lpost_getpc901:
	s_add_u32 s14, s14, (.LBB1_4100-.Lpost_getpc901)&4294967295
	s_addc_u32 s15, s15, (.LBB1_4100-.Lpost_getpc901)>>32
	s_setpc_b64 s[14:15]
.LBB1_2:
	s_or_b64 exec, exec, s[6:7]
	s_and_saveexec_b64 s[6:7], s[4:5]
	s_cbranch_execz .LBB1_4
.LBB1_3:
	v_and_b32_e32 v21, 7, v16
	v_ffbh_u32_e32 v23, v21
	v_min_u32_e32 v23, 32, v23
	v_lshrrev_b16_e32 v22, 3, v16
	v_subrev_u32_e32 v24, 28, v23
	v_and_b32_e32 v22, 15, v22
	v_lshlrev_b32_e32 v24, v24, v16
	v_sub_u32_e32 v23, 29, v23
	v_and_b32_e32 v24, 7, v24
	v_cmp_eq_u16_e32 vcc, 0, v22
	v_cndmask_b32_e32 v21, v21, v24, vcc
	v_cndmask_b32_e32 v22, v22, v23, vcc
	v_lshlrev_b32_e32 v23, 24, v16
	v_mov_b32_e32 v24, 0x3b800000
	v_lshlrev_b32_e32 v21, 20, v21
	v_and_b32_e32 v23, 0x80000000, v23
	v_lshl_add_u32 v22, v22, 23, v24
	v_or3_b32 v21, v23, v22, v21
.LBB1_4:
	s_or_b64 exec, exec, s[6:7]
	s_movk_i32 s4, 0x7f
	v_cmp_gt_i16_sdwa s[6:7], v12, s4 src0_sel:BYTE_0 src1_sel:DWORD
	s_mov_b64 s[4:5], 0
                                        ; implicit-def: $sgpr10
	s_and_saveexec_b64 s[8:9], s[6:7]
	s_xor_b64 s[6:7], exec, s[8:9]
	s_cbranch_execz .LBB1_5
; %bb.9997:
	s_getpc_b64 s[14:15]
.Lpost_getpc902:
	s_add_u32 s14, s14, (.LBB1_4101-.Lpost_getpc902)&4294967295
	s_addc_u32 s15, s15, (.LBB1_4101-.Lpost_getpc902)>>32
	s_setpc_b64 s[14:15]
.LBB1_5:
	s_or_saveexec_b64 s[6:7], s[6:7]
	v_mov_b32_e32 v22, s10
	s_xor_b64 exec, exec, s[6:7]
	s_cbranch_execz .LBB1_6
; %bb.9999:
	s_getpc_b64 s[14:15]
.Lpost_getpc903:
	s_add_u32 s14, s14, (.LBB1_4104-.Lpost_getpc903)&4294967295
	s_addc_u32 s15, s15, (.LBB1_4104-.Lpost_getpc903)>>32
	s_setpc_b64 s[14:15]
.LBB1_6:
	s_or_b64 exec, exec, s[6:7]
	s_and_saveexec_b64 s[6:7], s[4:5]
	s_cbranch_execz .LBB1_8
.LBB1_7:
	v_and_b32_e32 v22, 3, v12
	v_ffbh_u32_e32 v24, v22
	v_min_u32_e32 v24, 32, v24
	v_lshrrev_b16_e32 v23, 2, v12
	v_subrev_u32_e32 v25, 29, v24
	v_and_b32_e32 v23, 31, v23
	v_lshlrev_b32_e32 v25, v25, v12
	v_sub_u32_e32 v24, 30, v24
	v_and_b32_e32 v25, 3, v25
	v_cmp_eq_u16_e32 vcc, 0, v23
	v_cndmask_b32_e32 v22, v22, v25, vcc
	v_cndmask_b32_e32 v23, v23, v24, vcc
	v_lshlrev_b32_e32 v24, 24, v12
	v_mov_b32_e32 v25, 0x37800000
	v_lshlrev_b32_e32 v22, 21, v22
	v_and_b32_e32 v24, 0x80000000, v24
	v_lshl_add_u32 v23, v23, 23, v25
	v_or3_b32 v22, v24, v23, v22
.LBB1_8:
	s_or_b64 exec, exec, s[6:7]
	flat_load_dwordx4 a[0:3], v[10:11]
	s_movk_i32 s4, 0x7f
                                        ; implicit-def: $sgpr10
	s_waitcnt vmcnt(0) lgkmcnt(0)
	v_mfma_f32_16x16x4f32 a[0:3], v21, v22, a[0:3]
	v_lshrrev_b32_e32 v22, 8, v16
	v_cmp_gt_i16_sdwa s[6:7], v22, s4 src0_sel:BYTE_0 src1_sel:DWORD
	s_mov_b64 s[4:5], 0
	s_and_saveexec_b64 s[8:9], s[6:7]
	s_xor_b64 s[6:7], exec, s[8:9]
	s_cbranch_execz .LBB1_9
; %bb.10001:
	s_getpc_b64 s[14:15]
.Lpost_getpc904:
	s_add_u32 s14, s14, (.LBB1_4105-.Lpost_getpc904)&4294967295
	s_addc_u32 s15, s15, (.LBB1_4105-.Lpost_getpc904)>>32
	s_setpc_b64 s[14:15]
.LBB1_9:
	s_or_saveexec_b64 s[6:7], s[6:7]
	v_mov_b32_e32 v21, s10
	s_xor_b64 exec, exec, s[6:7]
	s_cbranch_execz .LBB1_10
; %bb.10003:
	s_getpc_b64 s[14:15]
.Lpost_getpc905:
	s_add_u32 s14, s14, (.LBB1_4108-.Lpost_getpc905)&4294967295
	s_addc_u32 s15, s15, (.LBB1_4108-.Lpost_getpc905)>>32
	s_setpc_b64 s[14:15]
.LBB1_10:
	s_or_b64 exec, exec, s[6:7]
	s_and_saveexec_b64 s[6:7], s[4:5]
	s_cbranch_execz .LBB1_12
.LBB1_11:
	v_bfe_u32 v21, v16, 8, 3
	v_ffbh_u32_e32 v24, v21
	v_min_u32_e32 v24, 32, v24
	v_lshrrev_b16_e32 v23, 3, v22
	v_subrev_u32_e32 v25, 28, v24
	v_and_b32_e32 v23, 15, v23
	v_lshlrev_b32_e32 v22, v25, v22
	v_sub_u32_e32 v24, 29, v24
	v_and_b32_e32 v22, 7, v22
	v_cmp_eq_u16_e32 vcc, 0, v23
	v_cndmask_b32_e32 v21, v21, v22, vcc
	v_cndmask_b32_e32 v22, v23, v24, vcc
	v_lshlrev_b32_e32 v23, 16, v16
	v_mov_b32_e32 v24, 0x3b800000
	v_lshlrev_b32_e32 v21, 20, v21
	v_and_b32_e32 v23, 0x80000000, v23
	v_lshl_add_u32 v22, v22, 23, v24
	v_or3_b32 v21, v23, v22, v21
.LBB1_12:
	s_or_b64 exec, exec, s[6:7]
	v_lshrrev_b32_e32 v22, 8, v12
	s_movk_i32 s4, 0x7f
	v_cmp_gt_i16_sdwa s[6:7], v22, s4 src0_sel:BYTE_0 src1_sel:DWORD
	s_mov_b64 s[4:5], 0
                                        ; implicit-def: $sgpr10
	s_and_saveexec_b64 s[8:9], s[6:7]
	s_xor_b64 s[6:7], exec, s[8:9]
	s_cbranch_execz .LBB1_13
; %bb.10005:
	s_getpc_b64 s[14:15]
.Lpost_getpc906:
	s_add_u32 s14, s14, (.LBB1_4109-.Lpost_getpc906)&4294967295
	s_addc_u32 s15, s15, (.LBB1_4109-.Lpost_getpc906)>>32
	s_setpc_b64 s[14:15]
.LBB1_13:
	s_or_saveexec_b64 s[6:7], s[6:7]
	v_mov_b32_e32 v23, s10
	s_xor_b64 exec, exec, s[6:7]
	s_cbranch_execz .LBB1_14
; %bb.10007:
	s_getpc_b64 s[14:15]
.Lpost_getpc907:
	s_add_u32 s14, s14, (.LBB1_4112-.Lpost_getpc907)&4294967295
	s_addc_u32 s15, s15, (.LBB1_4112-.Lpost_getpc907)>>32
	s_setpc_b64 s[14:15]
.LBB1_14:
	s_or_b64 exec, exec, s[6:7]
	s_and_saveexec_b64 s[6:7], s[4:5]
	s_cbranch_execz .LBB1_16
.LBB1_15:
	v_bfe_u32 v23, v12, 8, 2
	v_ffbh_u32_e32 v25, v23
	v_min_u32_e32 v25, 32, v25
	v_lshrrev_b16_e32 v24, 2, v22
	v_subrev_u32_e32 v26, 29, v25
	v_and_b32_e32 v24, 31, v24
	v_lshlrev_b32_e32 v22, v26, v22
	v_sub_u32_e32 v25, 30, v25
	v_and_b32_e32 v22, 3, v22
	v_cmp_eq_u16_e32 vcc, 0, v24
	v_cndmask_b32_e32 v22, v23, v22, vcc
	v_cndmask_b32_e32 v23, v24, v25, vcc
	v_lshlrev_b32_e32 v24, 16, v12
	v_mov_b32_e32 v25, 0x37800000
	v_lshlrev_b32_e32 v22, 21, v22
	v_and_b32_e32 v24, 0x80000000, v24
	v_lshl_add_u32 v23, v23, 23, v25
	v_or3_b32 v23, v24, v23, v22
.LBB1_16:
	s_or_b64 exec, exec, s[6:7]
	s_nop 0
	v_mfma_f32_16x16x4f32 a[0:3], v21, v23, a[0:3]
	s_movk_i32 s4, 0xff
	v_and_b32_sdwa v22, v16, s4 dst_sel:DWORD dst_unused:UNUSED_PAD src0_sel:WORD_1 src1_sel:DWORD
	s_movk_i32 s4, 0x7f
	v_cmp_lt_i16_e32 vcc, s4, v22
	s_mov_b64 s[4:5], 0
                                        ; implicit-def: $sgpr10
	s_and_saveexec_b64 s[6:7], vcc
	s_xor_b64 s[6:7], exec, s[6:7]
	s_cbranch_execz .LBB1_17
; %bb.10009:
	s_getpc_b64 s[14:15]
.Lpost_getpc908:
	s_add_u32 s14, s14, (.LBB1_4113-.Lpost_getpc908)&4294967295
	s_addc_u32 s15, s15, (.LBB1_4113-.Lpost_getpc908)>>32
	s_setpc_b64 s[14:15]
.LBB1_17:
	s_or_saveexec_b64 s[6:7], s[6:7]
	v_mov_b32_e32 v21, s10
	s_xor_b64 exec, exec, s[6:7]
	s_cbranch_execz .LBB1_18
; %bb.10011:
	s_getpc_b64 s[14:15]
.Lpost_getpc909:
	s_add_u32 s14, s14, (.LBB1_4116-.Lpost_getpc909)&4294967295
	s_addc_u32 s15, s15, (.LBB1_4116-.Lpost_getpc909)>>32
	s_setpc_b64 s[14:15]
.LBB1_18:
	s_or_b64 exec, exec, s[6:7]
	s_and_saveexec_b64 s[6:7], s[4:5]
	s_cbranch_execz .LBB1_20
.LBB1_19:
	v_bfe_u32 v21, v16, 16, 3
	v_ffbh_u32_e32 v24, v21
	v_min_u32_e32 v24, 32, v24
	v_lshrrev_b32_e32 v22, 19, v16
	v_subrev_u32_e32 v25, 28, v24
	v_and_b32_e32 v22, 15, v22
	v_lshlrev_b32_sdwa v25, v25, v16 dst_sel:DWORD dst_unused:UNUSED_PAD src0_sel:DWORD src1_sel:WORD_1
	v_bfe_u32 v23, v16, 19, 4
	v_sub_u32_e32 v24, 29, v24
	v_and_b32_e32 v25, 7, v25
	v_cmp_eq_u16_e32 vcc, 0, v22
	v_cndmask_b32_e32 v21, v21, v25, vcc
	v_cndmask_b32_e32 v22, v23, v24, vcc
	v_lshlrev_b32_e32 v23, 8, v16
	v_mov_b32_e32 v24, 0x3b800000
	v_lshlrev_b32_e32 v21, 20, v21
	v_and_b32_e32 v23, 0x80000000, v23
	v_lshl_add_u32 v22, v22, 23, v24
	v_or3_b32 v21, v23, v22, v21
.LBB1_20:
	s_or_b64 exec, exec, s[6:7]
	s_movk_i32 s4, 0xff
	v_and_b32_sdwa v22, v12, s4 dst_sel:DWORD dst_unused:UNUSED_PAD src0_sel:WORD_1 src1_sel:DWORD
	s_movk_i32 s4, 0x7f
	v_cmp_lt_i16_e32 vcc, s4, v22
	s_mov_b64 s[4:5], 0
                                        ; implicit-def: $sgpr10
	s_and_saveexec_b64 s[6:7], vcc
	s_xor_b64 s[6:7], exec, s[6:7]
	s_cbranch_execz .LBB1_21
; %bb.10013:
	s_getpc_b64 s[14:15]
.Lpost_getpc910:
	s_add_u32 s14, s14, (.LBB1_4117-.Lpost_getpc910)&4294967295
	s_addc_u32 s15, s15, (.LBB1_4117-.Lpost_getpc910)>>32
	s_setpc_b64 s[14:15]
.LBB1_21:
	s_or_saveexec_b64 s[6:7], s[6:7]
	v_mov_b32_e32 v23, s10
	s_xor_b64 exec, exec, s[6:7]
	s_cbranch_execz .LBB1_22
; %bb.10015:
	s_getpc_b64 s[14:15]
.Lpost_getpc911:
	s_add_u32 s14, s14, (.LBB1_4120-.Lpost_getpc911)&4294967295
	s_addc_u32 s15, s15, (.LBB1_4120-.Lpost_getpc911)>>32
	s_setpc_b64 s[14:15]
.LBB1_22:
	s_or_b64 exec, exec, s[6:7]
	s_and_saveexec_b64 s[6:7], s[4:5]
	s_cbranch_execz .LBB1_24
.LBB1_23:
	v_bfe_u32 v22, v12, 16, 2
	v_ffbh_u32_e32 v25, v22
	v_min_u32_e32 v25, 32, v25
	v_lshrrev_b32_e32 v23, 18, v12
	v_subrev_u32_e32 v26, 29, v25
	v_and_b32_e32 v23, 31, v23
	v_lshlrev_b32_sdwa v26, v26, v12 dst_sel:DWORD dst_unused:UNUSED_PAD src0_sel:DWORD src1_sel:WORD_1
	v_bfe_u32 v24, v12, 18, 5
	v_sub_u32_e32 v25, 30, v25
	v_and_b32_e32 v26, 3, v26
	v_cmp_eq_u16_e32 vcc, 0, v23
	v_cndmask_b32_e32 v22, v22, v26, vcc
	v_cndmask_b32_e32 v23, v24, v25, vcc
	v_lshlrev_b32_e32 v24, 8, v12
	v_mov_b32_e32 v25, 0x37800000
	v_lshlrev_b32_e32 v22, 21, v22
	v_and_b32_e32 v24, 0x80000000, v24
	v_lshl_add_u32 v23, v23, 23, v25
	v_or3_b32 v23, v24, v23, v22
.LBB1_24:
	s_or_b64 exec, exec, s[6:7]
	s_nop 0
	v_mfma_f32_16x16x4f32 a[0:3], v21, v23, a[0:3]
	s_movk_i32 s4, 0x7f
	v_cmp_gt_i16_sdwa s[6:7], v16, s4 src0_sel:BYTE_3 src1_sel:DWORD
	s_mov_b64 s[4:5], 0
                                        ; implicit-def: $sgpr10
	s_and_saveexec_b64 s[8:9], s[6:7]
	s_xor_b64 s[6:7], exec, s[8:9]
	s_cbranch_execz .LBB1_25
; %bb.10017:
	s_getpc_b64 s[14:15]
.Lpost_getpc912:
	s_add_u32 s14, s14, (.LBB1_4121-.Lpost_getpc912)&4294967295
	s_addc_u32 s15, s15, (.LBB1_4121-.Lpost_getpc912)>>32
	s_setpc_b64 s[14:15]
.LBB1_25:
	s_or_saveexec_b64 s[6:7], s[6:7]
	v_mov_b32_e32 v21, s10
	s_xor_b64 exec, exec, s[6:7]
	s_cbranch_execz .LBB1_26
; %bb.10019:
	s_getpc_b64 s[14:15]
.Lpost_getpc913:
	s_add_u32 s14, s14, (.LBB1_4124-.Lpost_getpc913)&4294967295
	s_addc_u32 s15, s15, (.LBB1_4124-.Lpost_getpc913)>>32
	s_setpc_b64 s[14:15]
.LBB1_26:
	s_or_b64 exec, exec, s[6:7]
	s_and_saveexec_b64 s[6:7], s[4:5]
	s_cbranch_execz .LBB1_28
.LBB1_27:
	v_bfe_u32 v21, v16, 24, 3
	v_ffbh_u32_e32 v25, v21
	v_min_u32_e32 v25, 32, v25
	v_lshrrev_b32_e32 v23, 27, v16
	v_subrev_u32_e32 v26, 28, v25
	v_and_b32_e32 v22, 0x80000000, v16
	v_and_b32_e32 v23, 15, v23
	v_bfe_u32 v24, v16, 27, 4
	v_lshlrev_b32_sdwa v16, v26, v16 dst_sel:DWORD dst_unused:UNUSED_PAD src0_sel:DWORD src1_sel:BYTE_3
	v_sub_u32_e32 v25, 29, v25
	v_and_b32_e32 v16, 7, v16
	v_cmp_eq_u16_e32 vcc, 0, v23
	v_cndmask_b32_e32 v16, v21, v16, vcc
	v_cndmask_b32_e32 v21, v24, v25, vcc
	v_mov_b32_e32 v23, 0x3b800000
	v_lshlrev_b32_e32 v16, 20, v16
	v_lshl_add_u32 v21, v21, 23, v23
	v_or3_b32 v21, v22, v21, v16
.LBB1_28:
	s_or_b64 exec, exec, s[6:7]
	s_movk_i32 s4, 0x7f
	v_cmp_gt_i16_sdwa s[6:7], v12, s4 src0_sel:BYTE_3 src1_sel:DWORD
	s_mov_b64 s[4:5], 0
                                        ; implicit-def: $sgpr10
	s_and_saveexec_b64 s[8:9], s[6:7]
	s_xor_b64 s[6:7], exec, s[8:9]
	s_cbranch_execz .LBB1_29
; %bb.10021:
	s_getpc_b64 s[14:15]
.Lpost_getpc914:
	s_add_u32 s14, s14, (.LBB1_4125-.Lpost_getpc914)&4294967295
	s_addc_u32 s15, s15, (.LBB1_4125-.Lpost_getpc914)>>32
	s_setpc_b64 s[14:15]
.LBB1_29:
	s_or_saveexec_b64 s[6:7], s[6:7]
	v_mov_b32_e32 v16, s10
	s_xor_b64 exec, exec, s[6:7]
	s_cbranch_execz .LBB1_30
; %bb.10023:
	s_getpc_b64 s[14:15]
.Lpost_getpc915:
	s_add_u32 s14, s14, (.LBB1_4128-.Lpost_getpc915)&4294967295
	s_addc_u32 s15, s15, (.LBB1_4128-.Lpost_getpc915)>>32
	s_setpc_b64 s[14:15]
.LBB1_30:
	s_or_b64 exec, exec, s[6:7]
	s_and_saveexec_b64 s[6:7], s[4:5]
	s_cbranch_execz .LBB1_32
.LBB1_31:
	v_bfe_u32 v16, v12, 24, 2
	v_ffbh_u32_e32 v25, v16
	v_min_u32_e32 v25, 32, v25
	v_lshrrev_b32_e32 v23, 26, v12
	v_subrev_u32_e32 v26, 29, v25
	v_and_b32_e32 v22, 0x80000000, v12
	v_and_b32_e32 v23, 31, v23
	v_bfe_u32 v24, v12, 26, 5
	v_lshlrev_b32_sdwa v12, v26, v12 dst_sel:DWORD dst_unused:UNUSED_PAD src0_sel:DWORD src1_sel:BYTE_3
	v_sub_u32_e32 v25, 30, v25
	v_and_b32_e32 v12, 3, v12
	v_cmp_eq_u16_e32 vcc, 0, v23
	v_cndmask_b32_e32 v12, v16, v12, vcc
	v_cndmask_b32_e32 v16, v24, v25, vcc
	v_mov_b32_e32 v23, 0x37800000
	v_lshlrev_b32_e32 v12, 21, v12
	v_lshl_add_u32 v16, v16, 23, v23
	v_or3_b32 v16, v22, v16, v12
.LBB1_32:
	s_or_b64 exec, exec, s[6:7]
	s_nop 0
	v_mfma_f32_16x16x4f32 a[0:3], v21, v16, a[0:3]
	s_movk_i32 s4, 0x7f
	v_cmp_gt_i16_sdwa s[6:7], v17, s4 src0_sel:BYTE_0 src1_sel:DWORD
	s_mov_b64 s[4:5], 0
                                        ; implicit-def: $sgpr10
	s_and_saveexec_b64 s[8:9], s[6:7]
	s_xor_b64 s[6:7], exec, s[8:9]
	s_cbranch_execz .LBB1_33
; %bb.10025:
	s_getpc_b64 s[14:15]
.Lpost_getpc916:
	s_add_u32 s14, s14, (.LBB1_4129-.Lpost_getpc916)&4294967295
	s_addc_u32 s15, s15, (.LBB1_4129-.Lpost_getpc916)>>32
	s_setpc_b64 s[14:15]
.LBB1_33:
	s_or_saveexec_b64 s[6:7], s[6:7]
	v_mov_b32_e32 v12, s10
	s_xor_b64 exec, exec, s[6:7]
	s_cbranch_execz .LBB1_34
; %bb.10027:
	s_getpc_b64 s[14:15]
.Lpost_getpc917:
	s_add_u32 s14, s14, (.LBB1_4132-.Lpost_getpc917)&4294967295
	s_addc_u32 s15, s15, (.LBB1_4132-.Lpost_getpc917)>>32
	s_setpc_b64 s[14:15]
.LBB1_34:
	s_or_b64 exec, exec, s[6:7]
	s_and_saveexec_b64 s[6:7], s[4:5]
	s_cbranch_execz .LBB1_36
.LBB1_35:
	v_and_b32_e32 v12, 7, v17
	v_ffbh_u32_e32 v21, v12
	v_min_u32_e32 v21, 32, v21
	v_lshrrev_b16_e32 v16, 3, v17
	v_subrev_u32_e32 v22, 28, v21
	v_and_b32_e32 v16, 15, v16
	v_lshlrev_b32_e32 v22, v22, v17
	v_sub_u32_e32 v21, 29, v21
	v_and_b32_e32 v22, 7, v22
	v_cmp_eq_u16_e32 vcc, 0, v16
	v_cndmask_b32_e32 v12, v12, v22, vcc
	v_cndmask_b32_e32 v16, v16, v21, vcc
	v_lshlrev_b32_e32 v21, 24, v17
	v_mov_b32_e32 v22, 0x3b800000
	v_lshlrev_b32_e32 v12, 20, v12
	v_and_b32_e32 v21, 0x80000000, v21
	v_lshl_add_u32 v16, v16, 23, v22
	v_or3_b32 v12, v21, v16, v12
.LBB1_36:
	s_or_b64 exec, exec, s[6:7]
	s_movk_i32 s4, 0x7f
	v_cmp_gt_i16_sdwa s[6:7], v13, s4 src0_sel:BYTE_0 src1_sel:DWORD
	s_mov_b64 s[4:5], 0
                                        ; implicit-def: $sgpr10
	s_and_saveexec_b64 s[8:9], s[6:7]
	s_xor_b64 s[6:7], exec, s[8:9]
	s_cbranch_execz .LBB1_37
; %bb.10029:
	s_getpc_b64 s[14:15]
.Lpost_getpc918:
	s_add_u32 s14, s14, (.LBB1_4133-.Lpost_getpc918)&4294967295
	s_addc_u32 s15, s15, (.LBB1_4133-.Lpost_getpc918)>>32
	s_setpc_b64 s[14:15]
.LBB1_37:
	s_or_saveexec_b64 s[6:7], s[6:7]
	v_mov_b32_e32 v16, s10
	s_xor_b64 exec, exec, s[6:7]
	s_cbranch_execz .LBB1_38
; %bb.10031:
	s_getpc_b64 s[14:15]
.Lpost_getpc919:
	s_add_u32 s14, s14, (.LBB1_4136-.Lpost_getpc919)&4294967295
	s_addc_u32 s15, s15, (.LBB1_4136-.Lpost_getpc919)>>32
	s_setpc_b64 s[14:15]
.LBB1_38:
	s_or_b64 exec, exec, s[6:7]
	s_and_saveexec_b64 s[6:7], s[4:5]
	s_cbranch_execz .LBB1_40
.LBB1_39:
	v_and_b32_e32 v16, 3, v13
	v_ffbh_u32_e32 v22, v16
	v_min_u32_e32 v22, 32, v22
	v_lshrrev_b16_e32 v21, 2, v13
	v_subrev_u32_e32 v23, 29, v22
	v_and_b32_e32 v21, 31, v21
	v_lshlrev_b32_e32 v23, v23, v13
	v_sub_u32_e32 v22, 30, v22
	v_and_b32_e32 v23, 3, v23
	v_cmp_eq_u16_e32 vcc, 0, v21
	v_cndmask_b32_e32 v16, v16, v23, vcc
	v_cndmask_b32_e32 v21, v21, v22, vcc
	v_lshlrev_b32_e32 v22, 24, v13
	v_mov_b32_e32 v23, 0x37800000
	v_lshlrev_b32_e32 v16, 21, v16
	v_and_b32_e32 v22, 0x80000000, v22
	v_lshl_add_u32 v21, v21, 23, v23
	v_or3_b32 v16, v22, v21, v16
.LBB1_40:
	s_or_b64 exec, exec, s[6:7]
	s_nop 0
	v_mfma_f32_16x16x4f32 a[0:3], v12, v16, a[0:3]
	v_lshrrev_b32_e32 v16, 8, v17
	s_movk_i32 s4, 0x7f
	v_cmp_gt_i16_sdwa s[6:7], v16, s4 src0_sel:BYTE_0 src1_sel:DWORD
	s_mov_b64 s[4:5], 0
                                        ; implicit-def: $sgpr10
	s_and_saveexec_b64 s[8:9], s[6:7]
	s_xor_b64 s[6:7], exec, s[8:9]
	s_cbranch_execz .LBB1_41
; %bb.10033:
	s_getpc_b64 s[14:15]
.Lpost_getpc920:
	s_add_u32 s14, s14, (.LBB1_4137-.Lpost_getpc920)&4294967295
	s_addc_u32 s15, s15, (.LBB1_4137-.Lpost_getpc920)>>32
	s_setpc_b64 s[14:15]
.LBB1_41:
	s_or_saveexec_b64 s[6:7], s[6:7]
	v_mov_b32_e32 v12, s10
	s_xor_b64 exec, exec, s[6:7]
	s_cbranch_execz .LBB1_42
; %bb.10035:
	s_getpc_b64 s[14:15]
.Lpost_getpc921:
	s_add_u32 s14, s14, (.LBB1_4140-.Lpost_getpc921)&4294967295
	s_addc_u32 s15, s15, (.LBB1_4140-.Lpost_getpc921)>>32
	s_setpc_b64 s[14:15]
.LBB1_42:
	s_or_b64 exec, exec, s[6:7]
	s_and_saveexec_b64 s[6:7], s[4:5]
	s_cbranch_execz .LBB1_44
.LBB1_43:
	v_bfe_u32 v12, v17, 8, 3
	v_ffbh_u32_e32 v22, v12
	v_min_u32_e32 v22, 32, v22
	v_lshrrev_b16_e32 v21, 3, v16
	v_subrev_u32_e32 v23, 28, v22
	v_and_b32_e32 v21, 15, v21
	v_lshlrev_b32_e32 v16, v23, v16
	v_sub_u32_e32 v22, 29, v22
	v_and_b32_e32 v16, 7, v16
	v_cmp_eq_u16_e32 vcc, 0, v21
	v_cndmask_b32_e32 v12, v12, v16, vcc
	v_cndmask_b32_e32 v16, v21, v22, vcc
	v_lshlrev_b32_e32 v21, 16, v17
	v_mov_b32_e32 v22, 0x3b800000
	v_lshlrev_b32_e32 v12, 20, v12
	v_and_b32_e32 v21, 0x80000000, v21
	v_lshl_add_u32 v16, v16, 23, v22
	v_or3_b32 v12, v21, v16, v12
.LBB1_44:
	s_or_b64 exec, exec, s[6:7]
	v_lshrrev_b32_e32 v16, 8, v13
	s_movk_i32 s4, 0x7f
	v_cmp_gt_i16_sdwa s[6:7], v16, s4 src0_sel:BYTE_0 src1_sel:DWORD
	s_mov_b64 s[4:5], 0
                                        ; implicit-def: $sgpr10
	s_and_saveexec_b64 s[8:9], s[6:7]
	s_xor_b64 s[6:7], exec, s[8:9]
	s_cbranch_execz .LBB1_45
; %bb.10037:
	s_getpc_b64 s[14:15]
.Lpost_getpc922:
	s_add_u32 s14, s14, (.LBB1_4141-.Lpost_getpc922)&4294967295
	s_addc_u32 s15, s15, (.LBB1_4141-.Lpost_getpc922)>>32
	s_setpc_b64 s[14:15]
.LBB1_45:
	s_or_saveexec_b64 s[6:7], s[6:7]
	v_mov_b32_e32 v21, s10
	s_xor_b64 exec, exec, s[6:7]
	s_cbranch_execz .LBB1_46
; %bb.10039:
	s_getpc_b64 s[14:15]
.Lpost_getpc923:
	s_add_u32 s14, s14, (.LBB1_4144-.Lpost_getpc923)&4294967295
	s_addc_u32 s15, s15, (.LBB1_4144-.Lpost_getpc923)>>32
	s_setpc_b64 s[14:15]
.LBB1_46:
	s_or_b64 exec, exec, s[6:7]
	s_and_saveexec_b64 s[6:7], s[4:5]
	s_cbranch_execz .LBB1_48
.LBB1_47:
	v_bfe_u32 v21, v13, 8, 2
	v_ffbh_u32_e32 v23, v21
	v_min_u32_e32 v23, 32, v23
	v_lshrrev_b16_e32 v22, 2, v16
	v_subrev_u32_e32 v24, 29, v23
	v_and_b32_e32 v22, 31, v22
	v_lshlrev_b32_e32 v16, v24, v16
	v_sub_u32_e32 v23, 30, v23
	v_and_b32_e32 v16, 3, v16
	v_cmp_eq_u16_e32 vcc, 0, v22
	v_cndmask_b32_e32 v16, v21, v16, vcc
	v_cndmask_b32_e32 v21, v22, v23, vcc
	v_lshlrev_b32_e32 v22, 16, v13
	v_mov_b32_e32 v23, 0x37800000
	v_lshlrev_b32_e32 v16, 21, v16
	v_and_b32_e32 v22, 0x80000000, v22
	v_lshl_add_u32 v21, v21, 23, v23
	v_or3_b32 v21, v22, v21, v16
.LBB1_48:
	s_or_b64 exec, exec, s[6:7]
	s_nop 0
	v_mfma_f32_16x16x4f32 a[0:3], v12, v21, a[0:3]
	s_movk_i32 s4, 0xff
	v_and_b32_sdwa v16, v17, s4 dst_sel:DWORD dst_unused:UNUSED_PAD src0_sel:WORD_1 src1_sel:DWORD
	s_movk_i32 s4, 0x7f
	v_cmp_lt_i16_e32 vcc, s4, v16
	s_mov_b64 s[4:5], 0
                                        ; implicit-def: $sgpr10
	s_and_saveexec_b64 s[6:7], vcc
	s_xor_b64 s[6:7], exec, s[6:7]
	s_cbranch_execz .LBB1_49
; %bb.10041:
	s_getpc_b64 s[14:15]
.Lpost_getpc924:
	s_add_u32 s14, s14, (.LBB1_4145-.Lpost_getpc924)&4294967295
	s_addc_u32 s15, s15, (.LBB1_4145-.Lpost_getpc924)>>32
	s_setpc_b64 s[14:15]
.LBB1_49:
	s_or_saveexec_b64 s[6:7], s[6:7]
	v_mov_b32_e32 v12, s10
	s_xor_b64 exec, exec, s[6:7]
	s_cbranch_execz .LBB1_50
; %bb.10043:
	s_getpc_b64 s[14:15]
.Lpost_getpc925:
	s_add_u32 s14, s14, (.LBB1_4148-.Lpost_getpc925)&4294967295
	s_addc_u32 s15, s15, (.LBB1_4148-.Lpost_getpc925)>>32
	s_setpc_b64 s[14:15]
.LBB1_50:
	s_or_b64 exec, exec, s[6:7]
	s_and_saveexec_b64 s[6:7], s[4:5]
	s_cbranch_execz .LBB1_52
.LBB1_51:
	v_bfe_u32 v12, v17, 16, 3
	v_ffbh_u32_e32 v22, v12
	v_min_u32_e32 v22, 32, v22
	v_lshrrev_b32_e32 v16, 19, v17
	v_subrev_u32_e32 v23, 28, v22
	v_and_b32_e32 v16, 15, v16
	v_lshlrev_b32_sdwa v23, v23, v17 dst_sel:DWORD dst_unused:UNUSED_PAD src0_sel:DWORD src1_sel:WORD_1
	v_bfe_u32 v21, v17, 19, 4
	v_sub_u32_e32 v22, 29, v22
	v_and_b32_e32 v23, 7, v23
	v_cmp_eq_u16_e32 vcc, 0, v16
	v_cndmask_b32_e32 v12, v12, v23, vcc
	v_cndmask_b32_e32 v16, v21, v22, vcc
	v_lshlrev_b32_e32 v21, 8, v17
	v_mov_b32_e32 v22, 0x3b800000
	v_lshlrev_b32_e32 v12, 20, v12
	v_and_b32_e32 v21, 0x80000000, v21
	v_lshl_add_u32 v16, v16, 23, v22
	v_or3_b32 v12, v21, v16, v12
.LBB1_52:
	s_or_b64 exec, exec, s[6:7]
	s_movk_i32 s4, 0xff
	v_and_b32_sdwa v16, v13, s4 dst_sel:DWORD dst_unused:UNUSED_PAD src0_sel:WORD_1 src1_sel:DWORD
	s_movk_i32 s4, 0x7f
	v_cmp_lt_i16_e32 vcc, s4, v16
	s_mov_b64 s[4:5], 0
                                        ; implicit-def: $sgpr10
	s_and_saveexec_b64 s[6:7], vcc
	s_xor_b64 s[6:7], exec, s[6:7]
	s_cbranch_execz .LBB1_53
; %bb.10045:
	s_getpc_b64 s[14:15]
.Lpost_getpc926:
	s_add_u32 s14, s14, (.LBB1_4149-.Lpost_getpc926)&4294967295
	s_addc_u32 s15, s15, (.LBB1_4149-.Lpost_getpc926)>>32
	s_setpc_b64 s[14:15]
.LBB1_53:
	s_or_saveexec_b64 s[6:7], s[6:7]
	v_mov_b32_e32 v21, s10
	s_xor_b64 exec, exec, s[6:7]
	s_cbranch_execz .LBB1_54
; %bb.10047:
	s_getpc_b64 s[14:15]
.Lpost_getpc927:
	s_add_u32 s14, s14, (.LBB1_4152-.Lpost_getpc927)&4294967295
	s_addc_u32 s15, s15, (.LBB1_4152-.Lpost_getpc927)>>32
	s_setpc_b64 s[14:15]
.LBB1_54:
	s_or_b64 exec, exec, s[6:7]
	s_and_saveexec_b64 s[6:7], s[4:5]
	s_cbranch_execz .LBB1_56
.LBB1_55:
	v_bfe_u32 v16, v13, 16, 2
	v_ffbh_u32_e32 v23, v16
	v_min_u32_e32 v23, 32, v23
	v_lshrrev_b32_e32 v21, 18, v13
	v_subrev_u32_e32 v24, 29, v23
	v_and_b32_e32 v21, 31, v21
	v_lshlrev_b32_sdwa v24, v24, v13 dst_sel:DWORD dst_unused:UNUSED_PAD src0_sel:DWORD src1_sel:WORD_1
	v_bfe_u32 v22, v13, 18, 5
	v_sub_u32_e32 v23, 30, v23
	v_and_b32_e32 v24, 3, v24
	v_cmp_eq_u16_e32 vcc, 0, v21
	v_cndmask_b32_e32 v16, v16, v24, vcc
	v_cndmask_b32_e32 v21, v22, v23, vcc
	v_lshlrev_b32_e32 v22, 8, v13
	v_mov_b32_e32 v23, 0x37800000
	v_lshlrev_b32_e32 v16, 21, v16
	v_and_b32_e32 v22, 0x80000000, v22
	v_lshl_add_u32 v21, v21, 23, v23
	v_or3_b32 v21, v22, v21, v16
.LBB1_56:
	s_or_b64 exec, exec, s[6:7]
	s_nop 0
	v_mfma_f32_16x16x4f32 a[0:3], v12, v21, a[0:3]
	s_movk_i32 s4, 0x7f
	v_cmp_gt_i16_sdwa s[6:7], v17, s4 src0_sel:BYTE_3 src1_sel:DWORD
	s_mov_b64 s[4:5], 0
                                        ; implicit-def: $sgpr10
	s_and_saveexec_b64 s[8:9], s[6:7]
	s_xor_b64 s[6:7], exec, s[8:9]
	s_cbranch_execz .LBB1_57
; %bb.10049:
	s_getpc_b64 s[14:15]
.Lpost_getpc928:
	s_add_u32 s14, s14, (.LBB1_4153-.Lpost_getpc928)&4294967295
	s_addc_u32 s15, s15, (.LBB1_4153-.Lpost_getpc928)>>32
	s_setpc_b64 s[14:15]
.LBB1_57:
	s_or_saveexec_b64 s[6:7], s[6:7]
	v_mov_b32_e32 v12, s10
	s_xor_b64 exec, exec, s[6:7]
	s_cbranch_execz .LBB1_58
; %bb.10051:
	s_getpc_b64 s[14:15]
.Lpost_getpc929:
	s_add_u32 s14, s14, (.LBB1_4156-.Lpost_getpc929)&4294967295
	s_addc_u32 s15, s15, (.LBB1_4156-.Lpost_getpc929)>>32
	s_setpc_b64 s[14:15]
.LBB1_58:
	s_or_b64 exec, exec, s[6:7]
	s_and_saveexec_b64 s[6:7], s[4:5]
	s_cbranch_execz .LBB1_60
.LBB1_59:
	v_bfe_u32 v12, v17, 24, 3
	v_ffbh_u32_e32 v23, v12
	v_min_u32_e32 v23, 32, v23
	v_lshrrev_b32_e32 v21, 27, v17
	v_subrev_u32_e32 v24, 28, v23
	v_and_b32_e32 v16, 0x80000000, v17
	v_and_b32_e32 v21, 15, v21
	v_bfe_u32 v22, v17, 27, 4
	v_lshlrev_b32_sdwa v17, v24, v17 dst_sel:DWORD dst_unused:UNUSED_PAD src0_sel:DWORD src1_sel:BYTE_3
	v_sub_u32_e32 v23, 29, v23
	v_and_b32_e32 v17, 7, v17
	v_cmp_eq_u16_e32 vcc, 0, v21
	v_cndmask_b32_e32 v12, v12, v17, vcc
	v_cndmask_b32_e32 v17, v22, v23, vcc
	v_mov_b32_e32 v21, 0x3b800000
	v_lshlrev_b32_e32 v12, 20, v12
	v_lshl_add_u32 v17, v17, 23, v21
	v_or3_b32 v12, v16, v17, v12
.LBB1_60:
	s_or_b64 exec, exec, s[6:7]
	s_movk_i32 s4, 0x7f
	v_cmp_gt_i16_sdwa s[6:7], v13, s4 src0_sel:BYTE_3 src1_sel:DWORD
	s_mov_b64 s[4:5], 0
                                        ; implicit-def: $sgpr10
	s_and_saveexec_b64 s[8:9], s[6:7]
	s_xor_b64 s[6:7], exec, s[8:9]
	s_cbranch_execz .LBB1_61
; %bb.10053:
	s_getpc_b64 s[14:15]
.Lpost_getpc930:
	s_add_u32 s14, s14, (.LBB1_4157-.Lpost_getpc930)&4294967295
	s_addc_u32 s15, s15, (.LBB1_4157-.Lpost_getpc930)>>32
	s_setpc_b64 s[14:15]
.LBB1_61:
	s_or_saveexec_b64 s[6:7], s[6:7]
	v_mov_b32_e32 v16, s10
	s_xor_b64 exec, exec, s[6:7]
	s_cbranch_execz .LBB1_62
; %bb.10055:
	s_getpc_b64 s[14:15]
.Lpost_getpc931:
	s_add_u32 s14, s14, (.LBB1_4160-.Lpost_getpc931)&4294967295
	s_addc_u32 s15, s15, (.LBB1_4160-.Lpost_getpc931)>>32
	s_setpc_b64 s[14:15]
.LBB1_62:
	s_or_b64 exec, exec, s[6:7]
	s_and_saveexec_b64 s[6:7], s[4:5]
	s_cbranch_execz .LBB1_64
.LBB1_63:
	v_bfe_u32 v16, v13, 24, 2
	v_ffbh_u32_e32 v23, v16
	v_min_u32_e32 v23, 32, v23
	v_lshrrev_b32_e32 v21, 26, v13
	v_subrev_u32_e32 v24, 29, v23
	v_and_b32_e32 v17, 0x80000000, v13
	v_and_b32_e32 v21, 31, v21
	v_bfe_u32 v22, v13, 26, 5
	v_lshlrev_b32_sdwa v13, v24, v13 dst_sel:DWORD dst_unused:UNUSED_PAD src0_sel:DWORD src1_sel:BYTE_3
	v_sub_u32_e32 v23, 30, v23
	v_and_b32_e32 v13, 3, v13
	v_cmp_eq_u16_e32 vcc, 0, v21
	v_cndmask_b32_e32 v13, v16, v13, vcc
	v_cndmask_b32_e32 v16, v22, v23, vcc
	v_mov_b32_e32 v21, 0x37800000
	v_lshlrev_b32_e32 v13, 21, v13
	v_lshl_add_u32 v16, v16, 23, v21
	v_or3_b32 v16, v17, v16, v13
.LBB1_64:
	s_or_b64 exec, exec, s[6:7]
	s_nop 0
	v_mfma_f32_16x16x4f32 a[0:3], v12, v16, a[0:3]
	s_movk_i32 s4, 0x7f
	v_cmp_gt_i16_sdwa s[6:7], v18, s4 src0_sel:BYTE_0 src1_sel:DWORD
	s_mov_b64 s[4:5], 0
                                        ; implicit-def: $sgpr10
	s_and_saveexec_b64 s[8:9], s[6:7]
	s_xor_b64 s[6:7], exec, s[8:9]
	s_cbranch_execz .LBB1_65
; %bb.10057:
	s_getpc_b64 s[14:15]
.Lpost_getpc932:
	s_add_u32 s14, s14, (.LBB1_4161-.Lpost_getpc932)&4294967295
	s_addc_u32 s15, s15, (.LBB1_4161-.Lpost_getpc932)>>32
	s_setpc_b64 s[14:15]
.LBB1_65:
	s_or_saveexec_b64 s[6:7], s[6:7]
	v_mov_b32_e32 v13, s10
	s_xor_b64 exec, exec, s[6:7]
	s_cbranch_execz .LBB1_66
; %bb.10059:
	s_getpc_b64 s[14:15]
.Lpost_getpc933:
	s_add_u32 s14, s14, (.LBB1_4164-.Lpost_getpc933)&4294967295
	s_addc_u32 s15, s15, (.LBB1_4164-.Lpost_getpc933)>>32
	s_setpc_b64 s[14:15]
.LBB1_66:
	s_or_b64 exec, exec, s[6:7]
	s_and_saveexec_b64 s[6:7], s[4:5]
	s_cbranch_execz .LBB1_68
.LBB1_67:
	v_and_b32_e32 v12, 7, v18
	v_ffbh_u32_e32 v16, v12
	v_min_u32_e32 v16, 32, v16
	v_lshrrev_b16_e32 v13, 3, v18
	v_subrev_u32_e32 v17, 28, v16
	v_and_b32_e32 v13, 15, v13
	v_lshlrev_b32_e32 v17, v17, v18
	v_sub_u32_e32 v16, 29, v16
	v_and_b32_e32 v17, 7, v17
	v_cmp_eq_u16_e32 vcc, 0, v13
	v_cndmask_b32_e32 v12, v12, v17, vcc
	v_cndmask_b32_e32 v13, v13, v16, vcc
	v_lshlrev_b32_e32 v16, 24, v18
	v_mov_b32_e32 v17, 0x3b800000
	v_lshlrev_b32_e32 v12, 20, v12
	v_and_b32_e32 v16, 0x80000000, v16
	v_lshl_add_u32 v13, v13, 23, v17
	v_or3_b32 v13, v16, v13, v12
.LBB1_68:
	s_or_b64 exec, exec, s[6:7]
	s_movk_i32 s4, 0xff
	v_mov_b32_e32 v12, 8
	v_or_b32_sdwa v16, v14, v20 dst_sel:DWORD dst_unused:UNUSED_PAD src0_sel:BYTE_0 src1_sel:DWORD
	v_lshlrev_b16_sdwa v12, v12, v14 dst_sel:DWORD dst_unused:UNUSED_PAD src0_sel:DWORD src1_sel:BYTE_3
	v_and_b32_sdwa v14, v14, s4 dst_sel:DWORD dst_unused:UNUSED_PAD src0_sel:WORD_1 src1_sel:DWORD
	s_movk_i32 s4, 0x7f
	v_or_b32_sdwa v12, v14, v12 dst_sel:WORD_1 dst_unused:UNUSED_PAD src0_sel:DWORD src1_sel:DWORD
	v_cmp_gt_i16_sdwa s[6:7], v16, s4 src0_sel:BYTE_0 src1_sel:DWORD
	s_mov_b64 s[4:5], 0
                                        ; implicit-def: $sgpr10
	s_and_saveexec_b64 s[8:9], s[6:7]
	s_xor_b64 s[6:7], exec, s[8:9]
	s_cbranch_execz .LBB1_69
; %bb.10061:
	s_getpc_b64 s[14:15]
.Lpost_getpc934:
	s_add_u32 s14, s14, (.LBB1_4165-.Lpost_getpc934)&4294967295
	s_addc_u32 s15, s15, (.LBB1_4165-.Lpost_getpc934)>>32
	s_setpc_b64 s[14:15]
.LBB1_69:
	s_or_saveexec_b64 s[6:7], s[6:7]
	v_mov_b32_e32 v14, s10
	s_xor_b64 exec, exec, s[6:7]
	s_cbranch_execz .LBB1_70
; %bb.10063:
	s_getpc_b64 s[14:15]
.Lpost_getpc935:
	s_add_u32 s14, s14, (.LBB1_4168-.Lpost_getpc935)&4294967295
	s_addc_u32 s15, s15, (.LBB1_4168-.Lpost_getpc935)>>32
	s_setpc_b64 s[14:15]
.LBB1_70:
	s_or_b64 exec, exec, s[6:7]
	v_or_b32_sdwa v12, v16, v12 dst_sel:DWORD dst_unused:UNUSED_PAD src0_sel:WORD_0 src1_sel:DWORD
	s_and_saveexec_b64 s[6:7], s[4:5]
	s_cbranch_execz .LBB1_72
.LBB1_71:
	v_and_b32_e32 v14, 3, v12
	v_ffbh_u32_e32 v17, v14
	v_min_u32_e32 v17, 32, v17
	v_lshrrev_b16_e32 v16, 2, v16
	v_subrev_u32_e32 v20, 29, v17
	v_and_b32_e32 v16, 31, v16
	v_lshlrev_b32_e32 v20, v20, v12
	v_sub_u32_e32 v17, 30, v17
	v_and_b32_e32 v20, 3, v20
	v_cmp_eq_u16_e32 vcc, 0, v16
	v_cndmask_b32_e32 v14, v14, v20, vcc
	v_cndmask_b32_e32 v16, v16, v17, vcc
	v_lshlrev_b32_e32 v17, 24, v12
	v_mov_b32_e32 v20, 0x37800000
	v_lshlrev_b32_e32 v14, 21, v14
	v_and_b32_e32 v17, 0x80000000, v17
	v_lshl_add_u32 v16, v16, 23, v20
	v_or3_b32 v14, v17, v16, v14
.LBB1_72:
	s_or_b64 exec, exec, s[6:7]
	s_nop 0
	v_mfma_f32_16x16x4f32 a[0:3], v13, v14, a[0:3]
	v_lshrrev_b32_e32 v14, 8, v18
	s_movk_i32 s4, 0x7f
	v_cmp_gt_i16_sdwa s[6:7], v14, s4 src0_sel:BYTE_0 src1_sel:DWORD
	s_mov_b64 s[4:5], 0
                                        ; implicit-def: $sgpr10
	s_and_saveexec_b64 s[8:9], s[6:7]
	s_xor_b64 s[6:7], exec, s[8:9]
	s_cbranch_execz .LBB1_73
; %bb.10065:
	s_getpc_b64 s[14:15]
.Lpost_getpc936:
	s_add_u32 s14, s14, (.LBB1_4169-.Lpost_getpc936)&4294967295
	s_addc_u32 s15, s15, (.LBB1_4169-.Lpost_getpc936)>>32
	s_setpc_b64 s[14:15]
.LBB1_73:
	s_or_saveexec_b64 s[6:7], s[6:7]
	v_mov_b32_e32 v13, s10
	s_xor_b64 exec, exec, s[6:7]
	s_cbranch_execz .LBB1_74
; %bb.10067:
	s_getpc_b64 s[14:15]
.Lpost_getpc937:
	s_add_u32 s14, s14, (.LBB1_4172-.Lpost_getpc937)&4294967295
	s_addc_u32 s15, s15, (.LBB1_4172-.Lpost_getpc937)>>32
	s_setpc_b64 s[14:15]
.LBB1_74:
	s_or_b64 exec, exec, s[6:7]
	s_and_saveexec_b64 s[6:7], s[4:5]
	s_cbranch_execz .LBB1_76
.LBB1_75:
	v_bfe_u32 v13, v18, 8, 3
	v_ffbh_u32_e32 v17, v13
	v_min_u32_e32 v17, 32, v17
	v_lshrrev_b16_e32 v16, 3, v14
	v_subrev_u32_e32 v20, 28, v17
	v_and_b32_e32 v16, 15, v16
	v_lshlrev_b32_e32 v14, v20, v14
	v_sub_u32_e32 v17, 29, v17
	v_and_b32_e32 v14, 7, v14
	v_cmp_eq_u16_e32 vcc, 0, v16
	v_cndmask_b32_e32 v13, v13, v14, vcc
	v_cndmask_b32_e32 v14, v16, v17, vcc
	v_lshlrev_b32_e32 v16, 16, v18
	v_mov_b32_e32 v17, 0x3b800000
	v_lshlrev_b32_e32 v13, 20, v13
	v_and_b32_e32 v16, 0x80000000, v16
	v_lshl_add_u32 v14, v14, 23, v17
	v_or3_b32 v13, v16, v14, v13
.LBB1_76:
	s_or_b64 exec, exec, s[6:7]
	v_lshrrev_b32_e32 v14, 8, v12
	s_movk_i32 s4, 0x7f
	v_cmp_gt_i16_sdwa s[6:7], v14, s4 src0_sel:BYTE_0 src1_sel:DWORD
	s_mov_b64 s[4:5], 0
                                        ; implicit-def: $sgpr10
	s_and_saveexec_b64 s[8:9], s[6:7]
	s_xor_b64 s[6:7], exec, s[8:9]
	s_cbranch_execz .LBB1_77
; %bb.10069:
	s_getpc_b64 s[14:15]
.Lpost_getpc938:
	s_add_u32 s14, s14, (.LBB1_4173-.Lpost_getpc938)&4294967295
	s_addc_u32 s15, s15, (.LBB1_4173-.Lpost_getpc938)>>32
	s_setpc_b64 s[14:15]
.LBB1_77:
	s_or_saveexec_b64 s[6:7], s[6:7]
	v_mov_b32_e32 v16, s10
	s_xor_b64 exec, exec, s[6:7]
	s_cbranch_execz .LBB1_78
; %bb.10071:
	s_getpc_b64 s[14:15]
.Lpost_getpc939:
	s_add_u32 s14, s14, (.LBB1_4176-.Lpost_getpc939)&4294967295
	s_addc_u32 s15, s15, (.LBB1_4176-.Lpost_getpc939)>>32
	s_setpc_b64 s[14:15]
.LBB1_78:
	s_or_b64 exec, exec, s[6:7]
	s_and_saveexec_b64 s[6:7], s[4:5]
	s_cbranch_execz .LBB1_80
.LBB1_79:
	v_bfe_u32 v16, v12, 8, 2
	v_ffbh_u32_e32 v20, v16
	v_min_u32_e32 v20, 32, v20
	v_lshrrev_b16_e32 v17, 2, v14
	v_subrev_u32_e32 v21, 29, v20
	v_and_b32_e32 v17, 31, v17
	v_lshlrev_b32_e32 v14, v21, v14
	v_sub_u32_e32 v20, 30, v20
	v_and_b32_e32 v14, 3, v14
	v_cmp_eq_u16_e32 vcc, 0, v17
	v_cndmask_b32_e32 v14, v16, v14, vcc
	v_cndmask_b32_e32 v16, v17, v20, vcc
	v_lshlrev_b32_e32 v17, 16, v12
	v_mov_b32_e32 v20, 0x37800000
	v_lshlrev_b32_e32 v14, 21, v14
	v_and_b32_e32 v17, 0x80000000, v17
	v_lshl_add_u32 v16, v16, 23, v20
	v_or3_b32 v16, v17, v16, v14
.LBB1_80:
	s_or_b64 exec, exec, s[6:7]
	s_nop 0
	v_mfma_f32_16x16x4f32 a[0:3], v13, v16, a[0:3]
	s_movk_i32 s4, 0xff
	v_and_b32_sdwa v14, v18, s4 dst_sel:DWORD dst_unused:UNUSED_PAD src0_sel:WORD_1 src1_sel:DWORD
	s_movk_i32 s4, 0x7f
	v_cmp_lt_i16_e32 vcc, s4, v14
	s_mov_b64 s[4:5], 0
                                        ; implicit-def: $sgpr10
	s_and_saveexec_b64 s[6:7], vcc
	s_xor_b64 s[6:7], exec, s[6:7]
	s_cbranch_execz .LBB1_81
; %bb.10073:
	s_getpc_b64 s[14:15]
.Lpost_getpc940:
	s_add_u32 s14, s14, (.LBB1_4177-.Lpost_getpc940)&4294967295
	s_addc_u32 s15, s15, (.LBB1_4177-.Lpost_getpc940)>>32
	s_setpc_b64 s[14:15]
.LBB1_81:
	s_or_saveexec_b64 s[6:7], s[6:7]
	v_mov_b32_e32 v13, s10
	s_xor_b64 exec, exec, s[6:7]
	s_cbranch_execz .LBB1_82
; %bb.10075:
	s_getpc_b64 s[14:15]
.Lpost_getpc941:
	s_add_u32 s14, s14, (.LBB1_4180-.Lpost_getpc941)&4294967295
	s_addc_u32 s15, s15, (.LBB1_4180-.Lpost_getpc941)>>32
	s_setpc_b64 s[14:15]
.LBB1_82:
	s_or_b64 exec, exec, s[6:7]
	s_and_saveexec_b64 s[6:7], s[4:5]
	s_cbranch_execz .LBB1_84
.LBB1_83:
	v_bfe_u32 v13, v18, 16, 3
	v_ffbh_u32_e32 v17, v13
	v_min_u32_e32 v17, 32, v17
	v_lshrrev_b32_e32 v14, 19, v18
	v_subrev_u32_e32 v20, 28, v17
	v_and_b32_e32 v14, 15, v14
	v_lshlrev_b32_sdwa v20, v20, v18 dst_sel:DWORD dst_unused:UNUSED_PAD src0_sel:DWORD src1_sel:WORD_1
	v_bfe_u32 v16, v18, 19, 4
	v_sub_u32_e32 v17, 29, v17
	v_and_b32_e32 v20, 7, v20
	v_cmp_eq_u16_e32 vcc, 0, v14
	v_cndmask_b32_e32 v13, v13, v20, vcc
	v_cndmask_b32_e32 v14, v16, v17, vcc
	v_lshlrev_b32_e32 v16, 8, v18
	v_mov_b32_e32 v17, 0x3b800000
	v_lshlrev_b32_e32 v13, 20, v13
	v_and_b32_e32 v16, 0x80000000, v16
	v_lshl_add_u32 v14, v14, 23, v17
	v_or3_b32 v13, v16, v14, v13
.LBB1_84:
	s_or_b64 exec, exec, s[6:7]
	s_movk_i32 s4, 0xff
	v_and_b32_sdwa v14, v12, s4 dst_sel:DWORD dst_unused:UNUSED_PAD src0_sel:WORD_1 src1_sel:DWORD
	s_movk_i32 s4, 0x7f
	v_cmp_lt_i16_e32 vcc, s4, v14
	s_mov_b64 s[4:5], 0
                                        ; implicit-def: $sgpr10
	s_and_saveexec_b64 s[6:7], vcc
	s_xor_b64 s[6:7], exec, s[6:7]
	s_cbranch_execz .LBB1_85
; %bb.10077:
	s_getpc_b64 s[14:15]
.Lpost_getpc942:
	s_add_u32 s14, s14, (.LBB1_4181-.Lpost_getpc942)&4294967295
	s_addc_u32 s15, s15, (.LBB1_4181-.Lpost_getpc942)>>32
	s_setpc_b64 s[14:15]
.LBB1_85:
	s_or_saveexec_b64 s[6:7], s[6:7]
	v_mov_b32_e32 v16, s10
	s_xor_b64 exec, exec, s[6:7]
	s_cbranch_execz .LBB1_86
; %bb.10079:
	s_getpc_b64 s[14:15]
.Lpost_getpc943:
	s_add_u32 s14, s14, (.LBB1_4184-.Lpost_getpc943)&4294967295
	s_addc_u32 s15, s15, (.LBB1_4184-.Lpost_getpc943)>>32
	s_setpc_b64 s[14:15]
.LBB1_86:
	s_or_b64 exec, exec, s[6:7]
	s_and_saveexec_b64 s[6:7], s[4:5]
	s_cbranch_execz .LBB1_88
.LBB1_87:
	v_bfe_u32 v14, v12, 16, 2
	v_ffbh_u32_e32 v20, v14
	v_min_u32_e32 v20, 32, v20
	v_lshrrev_b32_e32 v16, 18, v12
	v_subrev_u32_e32 v21, 29, v20
	v_and_b32_e32 v16, 31, v16
	v_lshlrev_b32_sdwa v21, v21, v12 dst_sel:DWORD dst_unused:UNUSED_PAD src0_sel:DWORD src1_sel:WORD_1
	v_bfe_u32 v17, v12, 18, 5
	v_sub_u32_e32 v20, 30, v20
	v_and_b32_e32 v21, 3, v21
	v_cmp_eq_u16_e32 vcc, 0, v16
	v_cndmask_b32_e32 v14, v14, v21, vcc
	v_cndmask_b32_e32 v16, v17, v20, vcc
	v_lshlrev_b32_e32 v17, 8, v12
	v_mov_b32_e32 v20, 0x37800000
	v_lshlrev_b32_e32 v14, 21, v14
	v_and_b32_e32 v17, 0x80000000, v17
	v_lshl_add_u32 v16, v16, 23, v20
	v_or3_b32 v16, v17, v16, v14
.LBB1_88:
	s_or_b64 exec, exec, s[6:7]
	s_nop 0
	v_mfma_f32_16x16x4f32 a[0:3], v13, v16, a[0:3]
	s_movk_i32 s4, 0x7f
	v_cmp_gt_i16_sdwa s[6:7], v18, s4 src0_sel:BYTE_3 src1_sel:DWORD
	s_mov_b64 s[4:5], 0
                                        ; implicit-def: $sgpr10
	s_and_saveexec_b64 s[8:9], s[6:7]
	s_xor_b64 s[6:7], exec, s[8:9]
	s_cbranch_execz .LBB1_89
; %bb.10081:
	s_getpc_b64 s[14:15]
.Lpost_getpc944:
	s_add_u32 s14, s14, (.LBB1_4185-.Lpost_getpc944)&4294967295
	s_addc_u32 s15, s15, (.LBB1_4185-.Lpost_getpc944)>>32
	s_setpc_b64 s[14:15]
.LBB1_89:
	s_or_saveexec_b64 s[6:7], s[6:7]
	v_mov_b32_e32 v13, s10
	s_xor_b64 exec, exec, s[6:7]
	s_cbranch_execz .LBB1_90
; %bb.10083:
	s_getpc_b64 s[14:15]
.Lpost_getpc945:
	s_add_u32 s14, s14, (.LBB1_4188-.Lpost_getpc945)&4294967295
	s_addc_u32 s15, s15, (.LBB1_4188-.Lpost_getpc945)>>32
	s_setpc_b64 s[14:15]
.LBB1_90:
	s_or_b64 exec, exec, s[6:7]
	s_and_saveexec_b64 s[6:7], s[4:5]
	s_cbranch_execz .LBB1_92
.LBB1_91:
	v_bfe_u32 v13, v18, 24, 3
	v_ffbh_u32_e32 v20, v13
	v_min_u32_e32 v20, 32, v20
	v_lshrrev_b32_e32 v16, 27, v18
	v_subrev_u32_e32 v21, 28, v20
	v_and_b32_e32 v14, 0x80000000, v18
	v_and_b32_e32 v16, 15, v16
	v_bfe_u32 v17, v18, 27, 4
	v_lshlrev_b32_sdwa v18, v21, v18 dst_sel:DWORD dst_unused:UNUSED_PAD src0_sel:DWORD src1_sel:BYTE_3
	v_sub_u32_e32 v20, 29, v20
	v_and_b32_e32 v18, 7, v18
	v_cmp_eq_u16_e32 vcc, 0, v16
	v_cndmask_b32_e32 v13, v13, v18, vcc
	v_cndmask_b32_e32 v16, v17, v20, vcc
	v_mov_b32_e32 v17, 0x3b800000
	v_lshlrev_b32_e32 v13, 20, v13
	v_lshl_add_u32 v16, v16, 23, v17
	v_or3_b32 v13, v14, v16, v13
.LBB1_92:
	s_or_b64 exec, exec, s[6:7]
	s_movk_i32 s4, 0x7f
	v_cmp_gt_i16_sdwa s[6:7], v12, s4 src0_sel:BYTE_3 src1_sel:DWORD
	s_mov_b64 s[4:5], 0
                                        ; implicit-def: $sgpr10
	s_and_saveexec_b64 s[8:9], s[6:7]
	s_xor_b64 s[6:7], exec, s[8:9]
	s_cbranch_execz .LBB1_93
; %bb.10085:
	s_getpc_b64 s[14:15]
.Lpost_getpc946:
	s_add_u32 s14, s14, (.LBB1_4189-.Lpost_getpc946)&4294967295
	s_addc_u32 s15, s15, (.LBB1_4189-.Lpost_getpc946)>>32
	s_setpc_b64 s[14:15]
.LBB1_93:
	s_or_saveexec_b64 s[6:7], s[6:7]
	v_mov_b32_e32 v14, s10
	s_xor_b64 exec, exec, s[6:7]
	s_cbranch_execz .LBB1_94
; %bb.10087:
	s_getpc_b64 s[14:15]
.Lpost_getpc947:
	s_add_u32 s14, s14, (.LBB1_4192-.Lpost_getpc947)&4294967295
	s_addc_u32 s15, s15, (.LBB1_4192-.Lpost_getpc947)>>32
	s_setpc_b64 s[14:15]
.LBB1_94:
	s_or_b64 exec, exec, s[6:7]
	s_and_saveexec_b64 s[6:7], s[4:5]
	s_cbranch_execz .LBB1_96
.LBB1_95:
	v_bfe_u32 v14, v12, 24, 2
	v_ffbh_u32_e32 v20, v14
	v_min_u32_e32 v20, 32, v20
	v_lshrrev_b32_e32 v17, 26, v12
	v_subrev_u32_e32 v21, 29, v20
	v_and_b32_e32 v16, 0x80000000, v12
	v_and_b32_e32 v17, 31, v17
	v_bfe_u32 v18, v12, 26, 5
	v_lshlrev_b32_sdwa v12, v21, v12 dst_sel:DWORD dst_unused:UNUSED_PAD src0_sel:DWORD src1_sel:BYTE_3
	v_sub_u32_e32 v20, 30, v20
	v_and_b32_e32 v12, 3, v12
	v_cmp_eq_u16_e32 vcc, 0, v17
	v_cndmask_b32_e32 v12, v14, v12, vcc
	v_cndmask_b32_e32 v14, v18, v20, vcc
	v_mov_b32_e32 v17, 0x37800000
	v_lshlrev_b32_e32 v12, 21, v12
	v_lshl_add_u32 v14, v14, 23, v17
	v_or3_b32 v14, v16, v14, v12
.LBB1_96:
	s_or_b64 exec, exec, s[6:7]
	s_nop 0
	v_mfma_f32_16x16x4f32 a[0:3], v13, v14, a[0:3]
	s_movk_i32 s4, 0x7f
	v_cmp_gt_i16_sdwa s[6:7], v19, s4 src0_sel:BYTE_0 src1_sel:DWORD
	s_mov_b64 s[4:5], 0
                                        ; implicit-def: $sgpr10
	s_and_saveexec_b64 s[8:9], s[6:7]
	s_xor_b64 s[6:7], exec, s[8:9]
	s_cbranch_execz .LBB1_97
; %bb.10089:
	s_getpc_b64 s[14:15]
.Lpost_getpc948:
	s_add_u32 s14, s14, (.LBB1_4193-.Lpost_getpc948)&4294967295
	s_addc_u32 s15, s15, (.LBB1_4193-.Lpost_getpc948)>>32
	s_setpc_b64 s[14:15]
.LBB1_97:
	s_or_saveexec_b64 s[6:7], s[6:7]
	v_mov_b32_e32 v12, s10
	s_xor_b64 exec, exec, s[6:7]
	s_cbranch_execz .LBB1_98
; %bb.10091:
	s_getpc_b64 s[14:15]
.Lpost_getpc949:
	s_add_u32 s14, s14, (.LBB1_4196-.Lpost_getpc949)&4294967295
	s_addc_u32 s15, s15, (.LBB1_4196-.Lpost_getpc949)>>32
	s_setpc_b64 s[14:15]
.LBB1_98:
	s_or_b64 exec, exec, s[6:7]
	s_and_saveexec_b64 s[6:7], s[4:5]
	s_cbranch_execz .LBB1_100
.LBB1_99:
	v_mov_b32_e32 v12, 8
	v_and_b32_e32 v13, 7, v19
	v_lshrrev_b32_sdwa v12, v12, v19 dst_sel:BYTE_1 dst_unused:UNUSED_PAD src0_sel:DWORD src1_sel:DWORD
	v_ffbh_u32_e32 v14, v13
	v_or_b32_sdwa v12, v19, v12 dst_sel:DWORD dst_unused:UNUSED_PAD src0_sel:BYTE_0 src1_sel:DWORD
	v_min_u32_e32 v14, 32, v14
	v_lshrrev_b16_e32 v12, 3, v12
	v_subrev_u32_e32 v16, 28, v14
	v_and_b32_e32 v12, 15, v12
	v_lshlrev_b32_e32 v16, v16, v19
	v_sub_u32_e32 v14, 29, v14
	v_and_b32_e32 v16, 7, v16
	v_cmp_eq_u16_e32 vcc, 0, v12
	v_cndmask_b32_e32 v13, v13, v16, vcc
	v_cndmask_b32_e32 v12, v12, v14, vcc
	v_lshlrev_b32_e32 v14, 24, v19
	v_mov_b32_e32 v16, 0x3b800000
	v_lshlrev_b32_e32 v13, 20, v13
	v_and_b32_e32 v14, 0x80000000, v14
	v_lshl_add_u32 v12, v12, 23, v16
	v_or3_b32 v12, v14, v12, v13
.LBB1_100:
	s_or_b64 exec, exec, s[6:7]
	s_movk_i32 s4, 0x7f
	v_cmp_gt_i16_sdwa s[6:7], v15, s4 src0_sel:BYTE_0 src1_sel:DWORD
	s_mov_b64 s[4:5], 0
                                        ; implicit-def: $sgpr10
	s_and_saveexec_b64 s[8:9], s[6:7]
	s_xor_b64 s[6:7], exec, s[8:9]
	s_cbranch_execz .LBB1_101
; %bb.10093:
	s_getpc_b64 s[14:15]
.Lpost_getpc950:
	s_add_u32 s14, s14, (.LBB1_4197-.Lpost_getpc950)&4294967295
	s_addc_u32 s15, s15, (.LBB1_4197-.Lpost_getpc950)>>32
	s_setpc_b64 s[14:15]
.LBB1_101:
	s_or_saveexec_b64 s[6:7], s[6:7]
	v_mov_b32_e32 v13, s10
	s_xor_b64 exec, exec, s[6:7]
	s_cbranch_execz .LBB1_102
; %bb.10095:
	s_getpc_b64 s[14:15]
.Lpost_getpc951:
	s_add_u32 s14, s14, (.LBB1_4200-.Lpost_getpc951)&4294967295
	s_addc_u32 s15, s15, (.LBB1_4200-.Lpost_getpc951)>>32
	s_setpc_b64 s[14:15]
.LBB1_102:
	s_or_b64 exec, exec, s[6:7]
	s_and_saveexec_b64 s[6:7], s[4:5]
	s_cbranch_execz .LBB1_104
.LBB1_103:
	v_and_b32_e32 v13, 3, v15
	v_ffbh_u32_e32 v16, v13
	v_min_u32_e32 v16, 32, v16
	v_lshrrev_b16_e32 v14, 2, v15
	v_subrev_u32_e32 v17, 29, v16
	v_and_b32_e32 v14, 31, v14
	v_lshlrev_b32_e32 v17, v17, v15
	v_sub_u32_e32 v16, 30, v16
	v_and_b32_e32 v17, 3, v17
	v_cmp_eq_u16_e32 vcc, 0, v14
	v_cndmask_b32_e32 v13, v13, v17, vcc
	v_cndmask_b32_e32 v14, v14, v16, vcc
	v_lshlrev_b32_e32 v16, 24, v15
	v_mov_b32_e32 v17, 0x37800000
	v_lshlrev_b32_e32 v13, 21, v13
	v_and_b32_e32 v16, 0x80000000, v16
	v_lshl_add_u32 v14, v14, 23, v17
	v_or3_b32 v13, v16, v14, v13
.LBB1_104:
	s_or_b64 exec, exec, s[6:7]
	s_nop 0
	v_mfma_f32_16x16x4f32 a[0:3], v12, v13, a[0:3]
	v_lshrrev_b32_e32 v13, 8, v19
	s_movk_i32 s4, 0x7f
	v_cmp_gt_i16_sdwa s[6:7], v13, s4 src0_sel:BYTE_0 src1_sel:DWORD
	s_mov_b64 s[4:5], 0
                                        ; implicit-def: $sgpr10
	s_and_saveexec_b64 s[8:9], s[6:7]
	s_xor_b64 s[6:7], exec, s[8:9]
	s_cbranch_execz .LBB1_105
; %bb.10097:
	s_getpc_b64 s[14:15]
.Lpost_getpc952:
	s_add_u32 s14, s14, (.LBB1_4201-.Lpost_getpc952)&4294967295
	s_addc_u32 s15, s15, (.LBB1_4201-.Lpost_getpc952)>>32
	s_setpc_b64 s[14:15]
.LBB1_105:
	s_or_saveexec_b64 s[6:7], s[6:7]
	v_mov_b32_e32 v12, s10
	s_xor_b64 exec, exec, s[6:7]
	s_cbranch_execz .LBB1_106
; %bb.10099:
	s_getpc_b64 s[14:15]
.Lpost_getpc953:
	s_add_u32 s14, s14, (.LBB1_4204-.Lpost_getpc953)&4294967295
	s_addc_u32 s15, s15, (.LBB1_4204-.Lpost_getpc953)>>32
	s_setpc_b64 s[14:15]
.LBB1_106:
	s_or_b64 exec, exec, s[6:7]
	s_and_saveexec_b64 s[6:7], s[4:5]
	s_cbranch_execz .LBB1_108
.LBB1_107:
	v_bfe_u32 v12, v19, 8, 3
	v_ffbh_u32_e32 v16, v12
	v_min_u32_e32 v16, 32, v16
	v_lshrrev_b16_e32 v14, 3, v13
	v_subrev_u32_e32 v17, 28, v16
	v_and_b32_e32 v14, 15, v14
	v_lshlrev_b32_e32 v13, v17, v13
	v_sub_u32_e32 v16, 29, v16
	v_and_b32_e32 v13, 7, v13
	v_cmp_eq_u16_e32 vcc, 0, v14
	v_cndmask_b32_e32 v12, v12, v13, vcc
	v_cndmask_b32_e32 v13, v14, v16, vcc
	v_lshlrev_b32_e32 v14, 16, v19
	v_mov_b32_e32 v16, 0x3b800000
	v_lshlrev_b32_e32 v12, 20, v12
	v_and_b32_e32 v14, 0x80000000, v14
	v_lshl_add_u32 v13, v13, 23, v16
	v_or3_b32 v12, v14, v13, v12
.LBB1_108:
	s_or_b64 exec, exec, s[6:7]
	v_lshrrev_b32_e32 v13, 8, v15
	s_movk_i32 s4, 0x7f
	v_cmp_gt_i16_sdwa s[6:7], v13, s4 src0_sel:BYTE_0 src1_sel:DWORD
	s_mov_b64 s[4:5], 0
                                        ; implicit-def: $sgpr10
	s_and_saveexec_b64 s[8:9], s[6:7]
	s_xor_b64 s[6:7], exec, s[8:9]
	s_cbranch_execz .LBB1_109
; %bb.10101:
	s_getpc_b64 s[14:15]
.Lpost_getpc954:
	s_add_u32 s14, s14, (.LBB1_4205-.Lpost_getpc954)&4294967295
	s_addc_u32 s15, s15, (.LBB1_4205-.Lpost_getpc954)>>32
	s_setpc_b64 s[14:15]
.LBB1_109:
	s_or_saveexec_b64 s[6:7], s[6:7]
	v_mov_b32_e32 v14, s10
	s_xor_b64 exec, exec, s[6:7]
	s_cbranch_execz .LBB1_110
; %bb.10103:
	s_getpc_b64 s[14:15]
.Lpost_getpc955:
	s_add_u32 s14, s14, (.LBB1_4208-.Lpost_getpc955)&4294967295
	s_addc_u32 s15, s15, (.LBB1_4208-.Lpost_getpc955)>>32
	s_setpc_b64 s[14:15]
.LBB1_110:
	s_or_b64 exec, exec, s[6:7]
	s_and_saveexec_b64 s[6:7], s[4:5]
	s_cbranch_execz .LBB1_112
.LBB1_111:
	v_bfe_u32 v14, v15, 8, 2
	v_ffbh_u32_e32 v17, v14
	v_min_u32_e32 v17, 32, v17
	v_lshrrev_b16_e32 v16, 2, v13
	v_subrev_u32_e32 v18, 29, v17
	v_and_b32_e32 v16, 31, v16
	v_lshlrev_b32_e32 v13, v18, v13
	v_sub_u32_e32 v17, 30, v17
	v_and_b32_e32 v13, 3, v13
	v_cmp_eq_u16_e32 vcc, 0, v16
	v_cndmask_b32_e32 v13, v14, v13, vcc
	v_cndmask_b32_e32 v14, v16, v17, vcc
	v_lshlrev_b32_e32 v16, 16, v15
	v_mov_b32_e32 v17, 0x37800000
	v_lshlrev_b32_e32 v13, 21, v13
	v_and_b32_e32 v16, 0x80000000, v16
	v_lshl_add_u32 v14, v14, 23, v17
	v_or3_b32 v14, v16, v14, v13
.LBB1_112:
	s_or_b64 exec, exec, s[6:7]
	s_nop 0
	v_mfma_f32_16x16x4f32 a[0:3], v12, v14, a[0:3]
	s_movk_i32 s4, 0xff
	v_and_b32_sdwa v13, v19, s4 dst_sel:DWORD dst_unused:UNUSED_PAD src0_sel:WORD_1 src1_sel:DWORD
	s_movk_i32 s4, 0x7f
	v_cmp_lt_i16_e32 vcc, s4, v13
	s_mov_b64 s[4:5], 0
                                        ; implicit-def: $sgpr10
	s_and_saveexec_b64 s[6:7], vcc
	s_xor_b64 s[6:7], exec, s[6:7]
	s_cbranch_execz .LBB1_113
; %bb.10105:
	s_getpc_b64 s[14:15]
.Lpost_getpc956:
	s_add_u32 s14, s14, (.LBB1_4209-.Lpost_getpc956)&4294967295
	s_addc_u32 s15, s15, (.LBB1_4209-.Lpost_getpc956)>>32
	s_setpc_b64 s[14:15]
.LBB1_113:
	s_or_saveexec_b64 s[6:7], s[6:7]
	v_mov_b32_e32 v12, s10
	s_xor_b64 exec, exec, s[6:7]
	s_cbranch_execz .LBB1_114
; %bb.10107:
	s_getpc_b64 s[14:15]
.Lpost_getpc957:
	s_add_u32 s14, s14, (.LBB1_4212-.Lpost_getpc957)&4294967295
	s_addc_u32 s15, s15, (.LBB1_4212-.Lpost_getpc957)>>32
	s_setpc_b64 s[14:15]
.LBB1_114:
	s_or_b64 exec, exec, s[6:7]
	s_and_saveexec_b64 s[6:7], s[4:5]
	s_cbranch_execz .LBB1_116
.LBB1_115:
	v_bfe_u32 v12, v19, 16, 3
	v_ffbh_u32_e32 v16, v12
	v_min_u32_e32 v16, 32, v16
	v_lshrrev_b32_e32 v13, 19, v19
	v_subrev_u32_e32 v17, 28, v16
	v_and_b32_e32 v13, 15, v13
	v_lshlrev_b32_sdwa v17, v17, v19 dst_sel:DWORD dst_unused:UNUSED_PAD src0_sel:DWORD src1_sel:WORD_1
	v_bfe_u32 v14, v19, 19, 4
	v_sub_u32_e32 v16, 29, v16
	v_and_b32_e32 v17, 7, v17
	v_cmp_eq_u16_e32 vcc, 0, v13
	v_cndmask_b32_e32 v12, v12, v17, vcc
	v_cndmask_b32_e32 v13, v14, v16, vcc
	v_lshlrev_b32_e32 v14, 8, v19
	v_mov_b32_e32 v16, 0x3b800000
	v_lshlrev_b32_e32 v12, 20, v12
	v_and_b32_e32 v14, 0x80000000, v14
	v_lshl_add_u32 v13, v13, 23, v16
	v_or3_b32 v12, v14, v13, v12
.LBB1_116:
	s_or_b64 exec, exec, s[6:7]
	s_movk_i32 s4, 0xff
	v_and_b32_sdwa v13, v15, s4 dst_sel:DWORD dst_unused:UNUSED_PAD src0_sel:WORD_1 src1_sel:DWORD
	s_movk_i32 s4, 0x7f
	v_cmp_lt_i16_e32 vcc, s4, v13
	s_mov_b64 s[4:5], 0
                                        ; implicit-def: $sgpr10
	s_and_saveexec_b64 s[6:7], vcc
	s_xor_b64 s[6:7], exec, s[6:7]
	s_cbranch_execz .LBB1_117
; %bb.10109:
	s_getpc_b64 s[14:15]
.Lpost_getpc958:
	s_add_u32 s14, s14, (.LBB1_4213-.Lpost_getpc958)&4294967295
	s_addc_u32 s15, s15, (.LBB1_4213-.Lpost_getpc958)>>32
	s_setpc_b64 s[14:15]
.LBB1_117:
	s_or_saveexec_b64 s[6:7], s[6:7]
	v_mov_b32_e32 v14, s10
	s_xor_b64 exec, exec, s[6:7]
	s_cbranch_execz .LBB1_118
; %bb.10111:
	s_getpc_b64 s[14:15]
.Lpost_getpc959:
	s_add_u32 s14, s14, (.LBB1_4216-.Lpost_getpc959)&4294967295
	s_addc_u32 s15, s15, (.LBB1_4216-.Lpost_getpc959)>>32
	s_setpc_b64 s[14:15]
.LBB1_118:
	s_or_b64 exec, exec, s[6:7]
	s_and_saveexec_b64 s[6:7], s[4:5]
	s_cbranch_execz .LBB1_120
.LBB1_119:
	v_bfe_u32 v13, v15, 16, 2
	v_ffbh_u32_e32 v17, v13
	v_min_u32_e32 v17, 32, v17
	v_lshrrev_b32_e32 v14, 18, v15
	v_subrev_u32_e32 v18, 29, v17
	v_and_b32_e32 v14, 31, v14
	v_lshlrev_b32_sdwa v18, v18, v15 dst_sel:DWORD dst_unused:UNUSED_PAD src0_sel:DWORD src1_sel:WORD_1
	v_bfe_u32 v16, v15, 18, 5
	v_sub_u32_e32 v17, 30, v17
	v_and_b32_e32 v18, 3, v18
	v_cmp_eq_u16_e32 vcc, 0, v14
	v_cndmask_b32_e32 v13, v13, v18, vcc
	v_cndmask_b32_e32 v14, v16, v17, vcc
	v_lshlrev_b32_e32 v16, 8, v15
	v_mov_b32_e32 v17, 0x37800000
	v_lshlrev_b32_e32 v13, 21, v13
	v_and_b32_e32 v16, 0x80000000, v16
	v_lshl_add_u32 v14, v14, 23, v17
	v_or3_b32 v14, v16, v14, v13
.LBB1_120:
	s_or_b64 exec, exec, s[6:7]
	s_nop 0
	v_mfma_f32_16x16x4f32 a[0:3], v12, v14, a[0:3]
	s_movk_i32 s4, 0x7f
	v_cmp_gt_i16_sdwa s[6:7], v19, s4 src0_sel:BYTE_3 src1_sel:DWORD
	s_mov_b64 s[4:5], 0
                                        ; implicit-def: $sgpr10
	s_and_saveexec_b64 s[8:9], s[6:7]
	s_xor_b64 s[6:7], exec, s[8:9]
	s_cbranch_execz .LBB1_121
; %bb.10113:
	s_getpc_b64 s[14:15]
.Lpost_getpc960:
	s_add_u32 s14, s14, (.LBB1_4217-.Lpost_getpc960)&4294967295
	s_addc_u32 s15, s15, (.LBB1_4217-.Lpost_getpc960)>>32
	s_setpc_b64 s[14:15]
.LBB1_121:
	s_or_saveexec_b64 s[6:7], s[6:7]
	v_mov_b32_e32 v12, s10
	s_xor_b64 exec, exec, s[6:7]
	s_cbranch_execz .LBB1_122
; %bb.10115:
	s_getpc_b64 s[14:15]
.Lpost_getpc961:
	s_add_u32 s14, s14, (.LBB1_4220-.Lpost_getpc961)&4294967295
	s_addc_u32 s15, s15, (.LBB1_4220-.Lpost_getpc961)>>32
	s_setpc_b64 s[14:15]
.LBB1_122:
	s_or_b64 exec, exec, s[6:7]
	s_and_saveexec_b64 s[6:7], s[4:5]
	s_cbranch_execz .LBB1_124
.LBB1_123:
	v_bfe_u32 v12, v19, 24, 3
	v_ffbh_u32_e32 v17, v12
	v_min_u32_e32 v17, 32, v17
	v_lshrrev_b32_e32 v14, 27, v19
	v_subrev_u32_e32 v18, 28, v17
	v_and_b32_e32 v14, 15, v14
	v_lshlrev_b32_sdwa v18, v18, v19 dst_sel:DWORD dst_unused:UNUSED_PAD src0_sel:DWORD src1_sel:BYTE_3
	v_bfe_u32 v16, v19, 27, 4
	v_sub_u32_e32 v17, 29, v17
	v_and_b32_e32 v18, 7, v18
	v_cmp_eq_u16_e32 vcc, 0, v14
	v_cndmask_b32_e32 v12, v12, v18, vcc
	v_cndmask_b32_e32 v14, v16, v17, vcc
	v_mov_b32_e32 v16, 0x3b800000
	v_and_b32_e32 v13, 0x80000000, v19
	v_lshlrev_b32_e32 v12, 20, v12
	v_lshl_add_u32 v14, v14, 23, v16
	v_or3_b32 v12, v13, v14, v12
.LBB1_124:
	s_or_b64 exec, exec, s[6:7]
	s_movk_i32 s4, 0x7f
	v_cmp_gt_i16_sdwa s[6:7], v15, s4 src0_sel:BYTE_3 src1_sel:DWORD
	s_mov_b64 s[4:5], 0
                                        ; implicit-def: $sgpr10
	s_and_saveexec_b64 s[8:9], s[6:7]
	s_xor_b64 s[6:7], exec, s[8:9]
	s_cbranch_execz .LBB1_125
; %bb.10117:
	s_getpc_b64 s[14:15]
.Lpost_getpc962:
	s_add_u32 s14, s14, (.LBB1_4221-.Lpost_getpc962)&4294967295
	s_addc_u32 s15, s15, (.LBB1_4221-.Lpost_getpc962)>>32
	s_setpc_b64 s[14:15]
.LBB1_125:
	s_or_saveexec_b64 s[6:7], s[6:7]
	v_mov_b32_e32 v13, s10
	s_xor_b64 exec, exec, s[6:7]
	s_cbranch_execz .LBB1_126
; %bb.10119:
	s_getpc_b64 s[14:15]
.Lpost_getpc963:
	s_add_u32 s14, s14, (.LBB1_4224-.Lpost_getpc963)&4294967295
	s_addc_u32 s15, s15, (.LBB1_4224-.Lpost_getpc963)>>32
	s_setpc_b64 s[14:15]
.LBB1_126:
	s_or_b64 exec, exec, s[6:7]
	s_and_saveexec_b64 s[6:7], s[4:5]
	s_cbranch_execz .LBB1_128
.LBB1_127:
	v_bfe_u32 v13, v15, 24, 2
	v_ffbh_u32_e32 v18, v13
	v_min_u32_e32 v18, 32, v18
	v_lshrrev_b32_e32 v16, 26, v15
	v_subrev_u32_e32 v19, 29, v18
	v_and_b32_e32 v14, 0x80000000, v15
	v_and_b32_e32 v16, 31, v16
	v_bfe_u32 v17, v15, 26, 5
	v_lshlrev_b32_sdwa v15, v19, v15 dst_sel:DWORD dst_unused:UNUSED_PAD src0_sel:DWORD src1_sel:BYTE_3
	v_sub_u32_e32 v18, 30, v18
	v_and_b32_e32 v15, 3, v15
	v_cmp_eq_u16_e32 vcc, 0, v16
	v_cndmask_b32_e32 v13, v13, v15, vcc
	v_cndmask_b32_e32 v15, v17, v18, vcc
	v_mov_b32_e32 v16, 0x37800000
	v_lshlrev_b32_e32 v13, 21, v13
	v_lshl_add_u32 v15, v15, 23, v16
	v_or3_b32 v13, v14, v15, v13
.LBB1_128:
	s_or_b64 exec, exec, s[6:7]
	s_nop 0
	v_mfma_f32_16x16x4f32 a[0:3], v12, v13, a[0:3]
	v_mov_b32_e32 v16, 8
	s_movk_i32 s4, 0x7f
                                        ; implicit-def: $sgpr10
	s_nop 7
	s_nop 0
	flat_store_dwordx4 v[10:11], a[0:3]
	flat_load_dword v14, v[0:1] offset:544
	flat_load_dwordx2 v[12:13], v[6:7]
	s_waitcnt vmcnt(0) lgkmcnt(0)
	v_ashrrev_i32_e32 v15, 31, v14
	v_add_co_u32_e32 v12, vcc, v12, v14
	v_addc_co_u32_e32 v13, vcc, v13, v15, vcc
	flat_load_dwordx4 v[12:15], v[12:13] offset:512
	s_waitcnt vmcnt(0) lgkmcnt(0)
	v_lshrrev_b32_sdwa v20, v16, v14 dst_sel:BYTE_1 dst_unused:UNUSED_PAD src0_sel:DWORD src1_sel:DWORD
	flat_store_dwordx4 v[8:9], v[12:15]
	flat_load_dwordx4 v[16:19], v[4:5]
	s_waitcnt vmcnt(0) lgkmcnt(0)
	v_cmp_gt_i16_sdwa s[6:7], v16, s4 src0_sel:BYTE_0 src1_sel:DWORD
	s_mov_b64 s[4:5], 0
	s_and_saveexec_b64 s[8:9], s[6:7]
	s_xor_b64 s[6:7], exec, s[8:9]
	s_cbranch_execz .LBB1_129
; %bb.10121:
	s_getpc_b64 s[14:15]
.Lpost_getpc964:
	s_add_u32 s14, s14, (.LBB1_4225-.Lpost_getpc964)&4294967295
	s_addc_u32 s15, s15, (.LBB1_4225-.Lpost_getpc964)>>32
	s_setpc_b64 s[14:15]
.LBB1_129:
	s_or_saveexec_b64 s[6:7], s[6:7]
	v_mov_b32_e32 v21, s10
	s_xor_b64 exec, exec, s[6:7]
	s_cbranch_execz .LBB1_130
; %bb.10123:
	s_getpc_b64 s[14:15]
.Lpost_getpc965:
	s_add_u32 s14, s14, (.LBB1_4228-.Lpost_getpc965)&4294967295
	s_addc_u32 s15, s15, (.LBB1_4228-.Lpost_getpc965)>>32
	s_setpc_b64 s[14:15]
.LBB1_130:
	s_or_b64 exec, exec, s[6:7]
	s_and_saveexec_b64 s[6:7], s[4:5]
	s_cbranch_execz .LBB1_132
.LBB1_131:
	v_and_b32_e32 v21, 7, v16
	v_ffbh_u32_e32 v23, v21
	v_min_u32_e32 v23, 32, v23
	v_lshrrev_b16_e32 v22, 3, v16
	v_subrev_u32_e32 v24, 28, v23
	v_and_b32_e32 v22, 15, v22
	v_lshlrev_b32_e32 v24, v24, v16
	v_sub_u32_e32 v23, 29, v23
	v_and_b32_e32 v24, 7, v24
	v_cmp_eq_u16_e32 vcc, 0, v22
	v_cndmask_b32_e32 v21, v21, v24, vcc
	v_cndmask_b32_e32 v22, v22, v23, vcc
	v_lshlrev_b32_e32 v23, 24, v16
	v_mov_b32_e32 v24, 0x3b800000
	v_lshlrev_b32_e32 v21, 20, v21
	v_and_b32_e32 v23, 0x80000000, v23
	v_lshl_add_u32 v22, v22, 23, v24
	v_or3_b32 v21, v23, v22, v21
.LBB1_132:
	s_or_b64 exec, exec, s[6:7]
	s_movk_i32 s4, 0x7f
	v_cmp_gt_i16_sdwa s[6:7], v12, s4 src0_sel:BYTE_0 src1_sel:DWORD
	s_mov_b64 s[4:5], 0
                                        ; implicit-def: $sgpr10
	s_and_saveexec_b64 s[8:9], s[6:7]
	s_xor_b64 s[6:7], exec, s[8:9]
	s_cbranch_execz .LBB1_133
; %bb.10125:
	s_getpc_b64 s[14:15]
.Lpost_getpc966:
	s_add_u32 s14, s14, (.LBB1_4229-.Lpost_getpc966)&4294967295
	s_addc_u32 s15, s15, (.LBB1_4229-.Lpost_getpc966)>>32
	s_setpc_b64 s[14:15]
.LBB1_133:
	s_or_saveexec_b64 s[6:7], s[6:7]
	v_mov_b32_e32 v22, s10
	s_xor_b64 exec, exec, s[6:7]
	s_cbranch_execz .LBB1_134
; %bb.10127:
	s_getpc_b64 s[14:15]
.Lpost_getpc967:
	s_add_u32 s14, s14, (.LBB1_4232-.Lpost_getpc967)&4294967295
	s_addc_u32 s15, s15, (.LBB1_4232-.Lpost_getpc967)>>32
	s_setpc_b64 s[14:15]
.LBB1_134:
	s_or_b64 exec, exec, s[6:7]
	s_and_saveexec_b64 s[6:7], s[4:5]
	s_cbranch_execz .LBB1_136
.LBB1_135:
	v_and_b32_e32 v22, 3, v12
	v_ffbh_u32_e32 v24, v22
	v_min_u32_e32 v24, 32, v24
	v_lshrrev_b16_e32 v23, 2, v12
	v_subrev_u32_e32 v25, 29, v24
	v_and_b32_e32 v23, 31, v23
	v_lshlrev_b32_e32 v25, v25, v12
	v_sub_u32_e32 v24, 30, v24
	v_and_b32_e32 v25, 3, v25
	v_cmp_eq_u16_e32 vcc, 0, v23
	v_cndmask_b32_e32 v22, v22, v25, vcc
	v_cndmask_b32_e32 v23, v23, v24, vcc
	v_lshlrev_b32_e32 v24, 24, v12
	v_mov_b32_e32 v25, 0x37800000
	v_lshlrev_b32_e32 v22, 21, v22
	v_and_b32_e32 v24, 0x80000000, v24
	v_lshl_add_u32 v23, v23, 23, v25
	v_or3_b32 v22, v24, v23, v22
.LBB1_136:
	s_or_b64 exec, exec, s[6:7]
	flat_load_dwordx4 a[0:3], v[10:11] offset:16
	s_movk_i32 s4, 0x7f
                                        ; implicit-def: $sgpr10
	s_waitcnt vmcnt(0) lgkmcnt(0)
	v_mfma_f32_16x16x4f32 a[0:3], v21, v22, a[0:3]
	v_lshrrev_b32_e32 v22, 8, v16
	v_cmp_gt_i16_sdwa s[6:7], v22, s4 src0_sel:BYTE_0 src1_sel:DWORD
	s_mov_b64 s[4:5], 0
	s_and_saveexec_b64 s[8:9], s[6:7]
	s_xor_b64 s[6:7], exec, s[8:9]
	s_cbranch_execz .LBB1_137
; %bb.10129:
	s_getpc_b64 s[14:15]
.Lpost_getpc968:
	s_add_u32 s14, s14, (.LBB1_4233-.Lpost_getpc968)&4294967295
	s_addc_u32 s15, s15, (.LBB1_4233-.Lpost_getpc968)>>32
	s_setpc_b64 s[14:15]
.LBB1_137:
	s_or_saveexec_b64 s[6:7], s[6:7]
	v_mov_b32_e32 v21, s10
	s_xor_b64 exec, exec, s[6:7]
	s_cbranch_execz .LBB1_138
; %bb.10131:
	s_getpc_b64 s[14:15]
.Lpost_getpc969:
	s_add_u32 s14, s14, (.LBB1_4236-.Lpost_getpc969)&4294967295
	s_addc_u32 s15, s15, (.LBB1_4236-.Lpost_getpc969)>>32
	s_setpc_b64 s[14:15]
.LBB1_138:
	s_or_b64 exec, exec, s[6:7]
	s_and_saveexec_b64 s[6:7], s[4:5]
	s_cbranch_execz .LBB1_140
.LBB1_139:
	v_bfe_u32 v21, v16, 8, 3
	v_ffbh_u32_e32 v24, v21
	v_min_u32_e32 v24, 32, v24
	v_lshrrev_b16_e32 v23, 3, v22
	v_subrev_u32_e32 v25, 28, v24
	v_and_b32_e32 v23, 15, v23
	v_lshlrev_b32_e32 v22, v25, v22
	v_sub_u32_e32 v24, 29, v24
	v_and_b32_e32 v22, 7, v22
	v_cmp_eq_u16_e32 vcc, 0, v23
	v_cndmask_b32_e32 v21, v21, v22, vcc
	v_cndmask_b32_e32 v22, v23, v24, vcc
	v_lshlrev_b32_e32 v23, 16, v16
	v_mov_b32_e32 v24, 0x3b800000
	v_lshlrev_b32_e32 v21, 20, v21
	v_and_b32_e32 v23, 0x80000000, v23
	v_lshl_add_u32 v22, v22, 23, v24
	v_or3_b32 v21, v23, v22, v21
.LBB1_140:
	s_or_b64 exec, exec, s[6:7]
	v_lshrrev_b32_e32 v22, 8, v12
	s_movk_i32 s4, 0x7f
	v_cmp_gt_i16_sdwa s[6:7], v22, s4 src0_sel:BYTE_0 src1_sel:DWORD
	s_mov_b64 s[4:5], 0
                                        ; implicit-def: $sgpr10
	s_and_saveexec_b64 s[8:9], s[6:7]
	s_xor_b64 s[6:7], exec, s[8:9]
	s_cbranch_execz .LBB1_141
; %bb.10133:
	s_getpc_b64 s[14:15]
.Lpost_getpc970:
	s_add_u32 s14, s14, (.LBB1_4237-.Lpost_getpc970)&4294967295
	s_addc_u32 s15, s15, (.LBB1_4237-.Lpost_getpc970)>>32
	s_setpc_b64 s[14:15]
.LBB1_141:
	s_or_saveexec_b64 s[6:7], s[6:7]
	v_mov_b32_e32 v23, s10
	s_xor_b64 exec, exec, s[6:7]
	s_cbranch_execz .LBB1_142
; %bb.10135:
	s_getpc_b64 s[14:15]
.Lpost_getpc971:
	s_add_u32 s14, s14, (.LBB1_4240-.Lpost_getpc971)&4294967295
	s_addc_u32 s15, s15, (.LBB1_4240-.Lpost_getpc971)>>32
	s_setpc_b64 s[14:15]
.LBB1_142:
	s_or_b64 exec, exec, s[6:7]
	s_and_saveexec_b64 s[6:7], s[4:5]
	s_cbranch_execz .LBB1_144
.LBB1_143:
	v_bfe_u32 v23, v12, 8, 2
	v_ffbh_u32_e32 v25, v23
	v_min_u32_e32 v25, 32, v25
	v_lshrrev_b16_e32 v24, 2, v22
	v_subrev_u32_e32 v26, 29, v25
	v_and_b32_e32 v24, 31, v24
	v_lshlrev_b32_e32 v22, v26, v22
	v_sub_u32_e32 v25, 30, v25
	v_and_b32_e32 v22, 3, v22
	v_cmp_eq_u16_e32 vcc, 0, v24
	v_cndmask_b32_e32 v22, v23, v22, vcc
	v_cndmask_b32_e32 v23, v24, v25, vcc
	v_lshlrev_b32_e32 v24, 16, v12
	v_mov_b32_e32 v25, 0x37800000
	v_lshlrev_b32_e32 v22, 21, v22
	v_and_b32_e32 v24, 0x80000000, v24
	v_lshl_add_u32 v23, v23, 23, v25
	v_or3_b32 v23, v24, v23, v22
.LBB1_144:
	s_or_b64 exec, exec, s[6:7]
	s_nop 0
	v_mfma_f32_16x16x4f32 a[0:3], v21, v23, a[0:3]
	s_movk_i32 s4, 0xff
	v_and_b32_sdwa v22, v16, s4 dst_sel:DWORD dst_unused:UNUSED_PAD src0_sel:WORD_1 src1_sel:DWORD
	s_movk_i32 s4, 0x7f
	v_cmp_lt_i16_e32 vcc, s4, v22
	s_mov_b64 s[4:5], 0
                                        ; implicit-def: $sgpr10
	s_and_saveexec_b64 s[6:7], vcc
	s_xor_b64 s[6:7], exec, s[6:7]
	s_cbranch_execz .LBB1_145
; %bb.10137:
	s_getpc_b64 s[14:15]
.Lpost_getpc972:
	s_add_u32 s14, s14, (.LBB1_4241-.Lpost_getpc972)&4294967295
	s_addc_u32 s15, s15, (.LBB1_4241-.Lpost_getpc972)>>32
	s_setpc_b64 s[14:15]
.LBB1_145:
	s_or_saveexec_b64 s[6:7], s[6:7]
	v_mov_b32_e32 v21, s10
	s_xor_b64 exec, exec, s[6:7]
	s_cbranch_execz .LBB1_146
; %bb.10139:
	s_getpc_b64 s[14:15]
.Lpost_getpc973:
	s_add_u32 s14, s14, (.LBB1_4244-.Lpost_getpc973)&4294967295
	s_addc_u32 s15, s15, (.LBB1_4244-.Lpost_getpc973)>>32
	s_setpc_b64 s[14:15]
.LBB1_146:
	s_or_b64 exec, exec, s[6:7]
	s_and_saveexec_b64 s[6:7], s[4:5]
	s_cbranch_execz .LBB1_148
.LBB1_147:
	v_bfe_u32 v21, v16, 16, 3
	v_ffbh_u32_e32 v24, v21
	v_min_u32_e32 v24, 32, v24
	v_lshrrev_b32_e32 v22, 19, v16
	v_subrev_u32_e32 v25, 28, v24
	v_and_b32_e32 v22, 15, v22
	v_lshlrev_b32_sdwa v25, v25, v16 dst_sel:DWORD dst_unused:UNUSED_PAD src0_sel:DWORD src1_sel:WORD_1
	v_bfe_u32 v23, v16, 19, 4
	v_sub_u32_e32 v24, 29, v24
	v_and_b32_e32 v25, 7, v25
	v_cmp_eq_u16_e32 vcc, 0, v22
	v_cndmask_b32_e32 v21, v21, v25, vcc
	v_cndmask_b32_e32 v22, v23, v24, vcc
	v_lshlrev_b32_e32 v23, 8, v16
	v_mov_b32_e32 v24, 0x3b800000
	v_lshlrev_b32_e32 v21, 20, v21
	v_and_b32_e32 v23, 0x80000000, v23
	v_lshl_add_u32 v22, v22, 23, v24
	v_or3_b32 v21, v23, v22, v21
.LBB1_148:
	s_or_b64 exec, exec, s[6:7]
	s_movk_i32 s4, 0xff
	v_and_b32_sdwa v22, v12, s4 dst_sel:DWORD dst_unused:UNUSED_PAD src0_sel:WORD_1 src1_sel:DWORD
	s_movk_i32 s4, 0x7f
	v_cmp_lt_i16_e32 vcc, s4, v22
	s_mov_b64 s[4:5], 0
                                        ; implicit-def: $sgpr10
	s_and_saveexec_b64 s[6:7], vcc
	s_xor_b64 s[6:7], exec, s[6:7]
	s_cbranch_execz .LBB1_149
; %bb.10141:
	s_getpc_b64 s[14:15]
.Lpost_getpc974:
	s_add_u32 s14, s14, (.LBB1_4245-.Lpost_getpc974)&4294967295
	s_addc_u32 s15, s15, (.LBB1_4245-.Lpost_getpc974)>>32
	s_setpc_b64 s[14:15]
.LBB1_149:
	s_or_saveexec_b64 s[6:7], s[6:7]
	v_mov_b32_e32 v23, s10
	s_xor_b64 exec, exec, s[6:7]
	s_cbranch_execz .LBB1_150
; %bb.10143:
	s_getpc_b64 s[14:15]
.Lpost_getpc975:
	s_add_u32 s14, s14, (.LBB1_4248-.Lpost_getpc975)&4294967295
	s_addc_u32 s15, s15, (.LBB1_4248-.Lpost_getpc975)>>32
	s_setpc_b64 s[14:15]
.LBB1_150:
	s_or_b64 exec, exec, s[6:7]
	s_and_saveexec_b64 s[6:7], s[4:5]
	s_cbranch_execz .LBB1_152
.LBB1_151:
	v_bfe_u32 v22, v12, 16, 2
	v_ffbh_u32_e32 v25, v22
	v_min_u32_e32 v25, 32, v25
	v_lshrrev_b32_e32 v23, 18, v12
	v_subrev_u32_e32 v26, 29, v25
	v_and_b32_e32 v23, 31, v23
	v_lshlrev_b32_sdwa v26, v26, v12 dst_sel:DWORD dst_unused:UNUSED_PAD src0_sel:DWORD src1_sel:WORD_1
	v_bfe_u32 v24, v12, 18, 5
	v_sub_u32_e32 v25, 30, v25
	v_and_b32_e32 v26, 3, v26
	v_cmp_eq_u16_e32 vcc, 0, v23
	v_cndmask_b32_e32 v22, v22, v26, vcc
	v_cndmask_b32_e32 v23, v24, v25, vcc
	v_lshlrev_b32_e32 v24, 8, v12
	v_mov_b32_e32 v25, 0x37800000
	v_lshlrev_b32_e32 v22, 21, v22
	v_and_b32_e32 v24, 0x80000000, v24
	v_lshl_add_u32 v23, v23, 23, v25
	v_or3_b32 v23, v24, v23, v22
.LBB1_152:
	s_or_b64 exec, exec, s[6:7]
	s_nop 0
	v_mfma_f32_16x16x4f32 a[0:3], v21, v23, a[0:3]
	s_movk_i32 s4, 0x7f
	v_cmp_gt_i16_sdwa s[6:7], v16, s4 src0_sel:BYTE_3 src1_sel:DWORD
	s_mov_b64 s[4:5], 0
                                        ; implicit-def: $sgpr10
	s_and_saveexec_b64 s[8:9], s[6:7]
	s_xor_b64 s[6:7], exec, s[8:9]
	s_cbranch_execz .LBB1_153
; %bb.10145:
	s_getpc_b64 s[14:15]
.Lpost_getpc976:
	s_add_u32 s14, s14, (.LBB1_4249-.Lpost_getpc976)&4294967295
	s_addc_u32 s15, s15, (.LBB1_4249-.Lpost_getpc976)>>32
	s_setpc_b64 s[14:15]
.LBB1_153:
	s_or_saveexec_b64 s[6:7], s[6:7]
	v_mov_b32_e32 v21, s10
	s_xor_b64 exec, exec, s[6:7]
	s_cbranch_execz .LBB1_154
; %bb.10147:
	s_getpc_b64 s[14:15]
.Lpost_getpc977:
	s_add_u32 s14, s14, (.LBB1_4252-.Lpost_getpc977)&4294967295
	s_addc_u32 s15, s15, (.LBB1_4252-.Lpost_getpc977)>>32
	s_setpc_b64 s[14:15]
.LBB1_154:
	s_or_b64 exec, exec, s[6:7]
	s_and_saveexec_b64 s[6:7], s[4:5]
	s_cbranch_execz .LBB1_156
.LBB1_155:
	v_bfe_u32 v21, v16, 24, 3
	v_ffbh_u32_e32 v25, v21
	v_min_u32_e32 v25, 32, v25
	v_lshrrev_b32_e32 v23, 27, v16
	v_subrev_u32_e32 v26, 28, v25
	v_and_b32_e32 v22, 0x80000000, v16
	v_and_b32_e32 v23, 15, v23
	v_bfe_u32 v24, v16, 27, 4
	v_lshlrev_b32_sdwa v16, v26, v16 dst_sel:DWORD dst_unused:UNUSED_PAD src0_sel:DWORD src1_sel:BYTE_3
	v_sub_u32_e32 v25, 29, v25
	v_and_b32_e32 v16, 7, v16
	v_cmp_eq_u16_e32 vcc, 0, v23
	v_cndmask_b32_e32 v16, v21, v16, vcc
	v_cndmask_b32_e32 v21, v24, v25, vcc
	v_mov_b32_e32 v23, 0x3b800000
	v_lshlrev_b32_e32 v16, 20, v16
	v_lshl_add_u32 v21, v21, 23, v23
	v_or3_b32 v21, v22, v21, v16
.LBB1_156:
	s_or_b64 exec, exec, s[6:7]
	s_movk_i32 s4, 0x7f
	v_cmp_gt_i16_sdwa s[6:7], v12, s4 src0_sel:BYTE_3 src1_sel:DWORD
	s_mov_b64 s[4:5], 0
                                        ; implicit-def: $sgpr10
	s_and_saveexec_b64 s[8:9], s[6:7]
	s_xor_b64 s[6:7], exec, s[8:9]
	s_cbranch_execz .LBB1_157
; %bb.10149:
	s_getpc_b64 s[14:15]
.Lpost_getpc978:
	s_add_u32 s14, s14, (.LBB1_4253-.Lpost_getpc978)&4294967295
	s_addc_u32 s15, s15, (.LBB1_4253-.Lpost_getpc978)>>32
	s_setpc_b64 s[14:15]
.LBB1_157:
	s_or_saveexec_b64 s[6:7], s[6:7]
	v_mov_b32_e32 v16, s10
	s_xor_b64 exec, exec, s[6:7]
	s_cbranch_execz .LBB1_158
; %bb.10151:
	s_getpc_b64 s[14:15]
.Lpost_getpc979:
	s_add_u32 s14, s14, (.LBB1_4256-.Lpost_getpc979)&4294967295
	s_addc_u32 s15, s15, (.LBB1_4256-.Lpost_getpc979)>>32
	s_setpc_b64 s[14:15]
.LBB1_158:
	s_or_b64 exec, exec, s[6:7]
	s_and_saveexec_b64 s[6:7], s[4:5]
	s_cbranch_execz .LBB1_160
.LBB1_159:
	v_bfe_u32 v16, v12, 24, 2
	v_ffbh_u32_e32 v25, v16
	v_min_u32_e32 v25, 32, v25
	v_lshrrev_b32_e32 v23, 26, v12
	v_subrev_u32_e32 v26, 29, v25
	v_and_b32_e32 v22, 0x80000000, v12
	v_and_b32_e32 v23, 31, v23
	v_bfe_u32 v24, v12, 26, 5
	v_lshlrev_b32_sdwa v12, v26, v12 dst_sel:DWORD dst_unused:UNUSED_PAD src0_sel:DWORD src1_sel:BYTE_3
	v_sub_u32_e32 v25, 30, v25
	v_and_b32_e32 v12, 3, v12
	v_cmp_eq_u16_e32 vcc, 0, v23
	v_cndmask_b32_e32 v12, v16, v12, vcc
	v_cndmask_b32_e32 v16, v24, v25, vcc
	v_mov_b32_e32 v23, 0x37800000
	v_lshlrev_b32_e32 v12, 21, v12
	v_lshl_add_u32 v16, v16, 23, v23
	v_or3_b32 v16, v22, v16, v12
.LBB1_160:
	s_or_b64 exec, exec, s[6:7]
	s_nop 0
	v_mfma_f32_16x16x4f32 a[0:3], v21, v16, a[0:3]
	s_movk_i32 s4, 0x7f
	v_cmp_gt_i16_sdwa s[6:7], v17, s4 src0_sel:BYTE_0 src1_sel:DWORD
	s_mov_b64 s[4:5], 0
                                        ; implicit-def: $sgpr10
	s_and_saveexec_b64 s[8:9], s[6:7]
	s_xor_b64 s[6:7], exec, s[8:9]
	s_cbranch_execz .LBB1_161
; %bb.10153:
	s_getpc_b64 s[14:15]
.Lpost_getpc980:
	s_add_u32 s14, s14, (.LBB1_4257-.Lpost_getpc980)&4294967295
	s_addc_u32 s15, s15, (.LBB1_4257-.Lpost_getpc980)>>32
	s_setpc_b64 s[14:15]
.LBB1_161:
	s_or_saveexec_b64 s[6:7], s[6:7]
	v_mov_b32_e32 v12, s10
	s_xor_b64 exec, exec, s[6:7]
	s_cbranch_execz .LBB1_162
; %bb.10155:
	s_getpc_b64 s[14:15]
.Lpost_getpc981:
	s_add_u32 s14, s14, (.LBB1_4260-.Lpost_getpc981)&4294967295
	s_addc_u32 s15, s15, (.LBB1_4260-.Lpost_getpc981)>>32
	s_setpc_b64 s[14:15]
.LBB1_162:
	s_or_b64 exec, exec, s[6:7]
	s_and_saveexec_b64 s[6:7], s[4:5]
	s_cbranch_execz .LBB1_164
.LBB1_163:
	v_and_b32_e32 v12, 7, v17
	v_ffbh_u32_e32 v21, v12
	v_min_u32_e32 v21, 32, v21
	v_lshrrev_b16_e32 v16, 3, v17
	v_subrev_u32_e32 v22, 28, v21
	v_and_b32_e32 v16, 15, v16
	v_lshlrev_b32_e32 v22, v22, v17
	v_sub_u32_e32 v21, 29, v21
	v_and_b32_e32 v22, 7, v22
	v_cmp_eq_u16_e32 vcc, 0, v16
	v_cndmask_b32_e32 v12, v12, v22, vcc
	v_cndmask_b32_e32 v16, v16, v21, vcc
	v_lshlrev_b32_e32 v21, 24, v17
	v_mov_b32_e32 v22, 0x3b800000
	v_lshlrev_b32_e32 v12, 20, v12
	v_and_b32_e32 v21, 0x80000000, v21
	v_lshl_add_u32 v16, v16, 23, v22
	v_or3_b32 v12, v21, v16, v12
.LBB1_164:
	s_or_b64 exec, exec, s[6:7]
	s_movk_i32 s4, 0x7f
	v_cmp_gt_i16_sdwa s[6:7], v13, s4 src0_sel:BYTE_0 src1_sel:DWORD
	s_mov_b64 s[4:5], 0
                                        ; implicit-def: $sgpr10
	s_and_saveexec_b64 s[8:9], s[6:7]
	s_xor_b64 s[6:7], exec, s[8:9]
	s_cbranch_execz .LBB1_165
; %bb.10157:
	s_getpc_b64 s[14:15]
.Lpost_getpc982:
	s_add_u32 s14, s14, (.LBB1_4261-.Lpost_getpc982)&4294967295
	s_addc_u32 s15, s15, (.LBB1_4261-.Lpost_getpc982)>>32
	s_setpc_b64 s[14:15]
.LBB1_165:
	s_or_saveexec_b64 s[6:7], s[6:7]
	v_mov_b32_e32 v16, s10
	s_xor_b64 exec, exec, s[6:7]
	s_cbranch_execz .LBB1_166
; %bb.10159:
	s_getpc_b64 s[14:15]
.Lpost_getpc983:
	s_add_u32 s14, s14, (.LBB1_4264-.Lpost_getpc983)&4294967295
	s_addc_u32 s15, s15, (.LBB1_4264-.Lpost_getpc983)>>32
	s_setpc_b64 s[14:15]
.LBB1_166:
	s_or_b64 exec, exec, s[6:7]
	s_and_saveexec_b64 s[6:7], s[4:5]
	s_cbranch_execz .LBB1_168
.LBB1_167:
	v_and_b32_e32 v16, 3, v13
	v_ffbh_u32_e32 v22, v16
	v_min_u32_e32 v22, 32, v22
	v_lshrrev_b16_e32 v21, 2, v13
	v_subrev_u32_e32 v23, 29, v22
	v_and_b32_e32 v21, 31, v21
	v_lshlrev_b32_e32 v23, v23, v13
	v_sub_u32_e32 v22, 30, v22
	v_and_b32_e32 v23, 3, v23
	v_cmp_eq_u16_e32 vcc, 0, v21
	v_cndmask_b32_e32 v16, v16, v23, vcc
	v_cndmask_b32_e32 v21, v21, v22, vcc
	v_lshlrev_b32_e32 v22, 24, v13
	v_mov_b32_e32 v23, 0x37800000
	v_lshlrev_b32_e32 v16, 21, v16
	v_and_b32_e32 v22, 0x80000000, v22
	v_lshl_add_u32 v21, v21, 23, v23
	v_or3_b32 v16, v22, v21, v16
.LBB1_168:
	s_or_b64 exec, exec, s[6:7]
	s_nop 0
	v_mfma_f32_16x16x4f32 a[0:3], v12, v16, a[0:3]
	v_lshrrev_b32_e32 v16, 8, v17
	s_movk_i32 s4, 0x7f
	v_cmp_gt_i16_sdwa s[6:7], v16, s4 src0_sel:BYTE_0 src1_sel:DWORD
	s_mov_b64 s[4:5], 0
                                        ; implicit-def: $sgpr10
	s_and_saveexec_b64 s[8:9], s[6:7]
	s_xor_b64 s[6:7], exec, s[8:9]
	s_cbranch_execz .LBB1_169
; %bb.10161:
	s_getpc_b64 s[14:15]
.Lpost_getpc984:
	s_add_u32 s14, s14, (.LBB1_4265-.Lpost_getpc984)&4294967295
	s_addc_u32 s15, s15, (.LBB1_4265-.Lpost_getpc984)>>32
	s_setpc_b64 s[14:15]
.LBB1_169:
	s_or_saveexec_b64 s[6:7], s[6:7]
	v_mov_b32_e32 v12, s10
	s_xor_b64 exec, exec, s[6:7]
	s_cbranch_execz .LBB1_170
; %bb.10163:
	s_getpc_b64 s[14:15]
.Lpost_getpc985:
	s_add_u32 s14, s14, (.LBB1_4268-.Lpost_getpc985)&4294967295
	s_addc_u32 s15, s15, (.LBB1_4268-.Lpost_getpc985)>>32
	s_setpc_b64 s[14:15]
.LBB1_170:
	s_or_b64 exec, exec, s[6:7]
	s_and_saveexec_b64 s[6:7], s[4:5]
	s_cbranch_execz .LBB1_172
.LBB1_171:
	v_bfe_u32 v12, v17, 8, 3
	v_ffbh_u32_e32 v22, v12
	v_min_u32_e32 v22, 32, v22
	v_lshrrev_b16_e32 v21, 3, v16
	v_subrev_u32_e32 v23, 28, v22
	v_and_b32_e32 v21, 15, v21
	v_lshlrev_b32_e32 v16, v23, v16
	v_sub_u32_e32 v22, 29, v22
	v_and_b32_e32 v16, 7, v16
	v_cmp_eq_u16_e32 vcc, 0, v21
	v_cndmask_b32_e32 v12, v12, v16, vcc
	v_cndmask_b32_e32 v16, v21, v22, vcc
	v_lshlrev_b32_e32 v21, 16, v17
	v_mov_b32_e32 v22, 0x3b800000
	v_lshlrev_b32_e32 v12, 20, v12
	v_and_b32_e32 v21, 0x80000000, v21
	v_lshl_add_u32 v16, v16, 23, v22
	v_or3_b32 v12, v21, v16, v12
.LBB1_172:
	s_or_b64 exec, exec, s[6:7]
	v_lshrrev_b32_e32 v16, 8, v13
	s_movk_i32 s4, 0x7f
	v_cmp_gt_i16_sdwa s[6:7], v16, s4 src0_sel:BYTE_0 src1_sel:DWORD
	s_mov_b64 s[4:5], 0
                                        ; implicit-def: $sgpr10
	s_and_saveexec_b64 s[8:9], s[6:7]
	s_xor_b64 s[6:7], exec, s[8:9]
	s_cbranch_execz .LBB1_173
; %bb.10165:
	s_getpc_b64 s[14:15]
.Lpost_getpc986:
	s_add_u32 s14, s14, (.LBB1_4269-.Lpost_getpc986)&4294967295
	s_addc_u32 s15, s15, (.LBB1_4269-.Lpost_getpc986)>>32
	s_setpc_b64 s[14:15]
.LBB1_173:
	s_or_saveexec_b64 s[6:7], s[6:7]
	v_mov_b32_e32 v21, s10
	s_xor_b64 exec, exec, s[6:7]
	s_cbranch_execz .LBB1_174
; %bb.10167:
	s_getpc_b64 s[14:15]
.Lpost_getpc987:
	s_add_u32 s14, s14, (.LBB1_4272-.Lpost_getpc987)&4294967295
	s_addc_u32 s15, s15, (.LBB1_4272-.Lpost_getpc987)>>32
	s_setpc_b64 s[14:15]
.LBB1_174:
	s_or_b64 exec, exec, s[6:7]
	s_and_saveexec_b64 s[6:7], s[4:5]
	s_cbranch_execz .LBB1_176
.LBB1_175:
	v_bfe_u32 v21, v13, 8, 2
	v_ffbh_u32_e32 v23, v21
	v_min_u32_e32 v23, 32, v23
	v_lshrrev_b16_e32 v22, 2, v16
	v_subrev_u32_e32 v24, 29, v23
	v_and_b32_e32 v22, 31, v22
	v_lshlrev_b32_e32 v16, v24, v16
	v_sub_u32_e32 v23, 30, v23
	v_and_b32_e32 v16, 3, v16
	v_cmp_eq_u16_e32 vcc, 0, v22
	v_cndmask_b32_e32 v16, v21, v16, vcc
	v_cndmask_b32_e32 v21, v22, v23, vcc
	v_lshlrev_b32_e32 v22, 16, v13
	v_mov_b32_e32 v23, 0x37800000
	v_lshlrev_b32_e32 v16, 21, v16
	v_and_b32_e32 v22, 0x80000000, v22
	v_lshl_add_u32 v21, v21, 23, v23
	v_or3_b32 v21, v22, v21, v16
.LBB1_176:
	s_or_b64 exec, exec, s[6:7]
	s_nop 0
	v_mfma_f32_16x16x4f32 a[0:3], v12, v21, a[0:3]
	s_movk_i32 s4, 0xff
	v_and_b32_sdwa v16, v17, s4 dst_sel:DWORD dst_unused:UNUSED_PAD src0_sel:WORD_1 src1_sel:DWORD
	s_movk_i32 s4, 0x7f
	v_cmp_lt_i16_e32 vcc, s4, v16
	s_mov_b64 s[4:5], 0
                                        ; implicit-def: $sgpr10
	s_and_saveexec_b64 s[6:7], vcc
	s_xor_b64 s[6:7], exec, s[6:7]
	s_cbranch_execz .LBB1_177
; %bb.10169:
	s_getpc_b64 s[14:15]
.Lpost_getpc988:
	s_add_u32 s14, s14, (.LBB1_4273-.Lpost_getpc988)&4294967295
	s_addc_u32 s15, s15, (.LBB1_4273-.Lpost_getpc988)>>32
	s_setpc_b64 s[14:15]
.LBB1_177:
	s_or_saveexec_b64 s[6:7], s[6:7]
	v_mov_b32_e32 v12, s10
	s_xor_b64 exec, exec, s[6:7]
	s_cbranch_execz .LBB1_178
; %bb.10171:
	s_getpc_b64 s[14:15]
.Lpost_getpc989:
	s_add_u32 s14, s14, (.LBB1_4276-.Lpost_getpc989)&4294967295
	s_addc_u32 s15, s15, (.LBB1_4276-.Lpost_getpc989)>>32
	s_setpc_b64 s[14:15]
.LBB1_178:
	s_or_b64 exec, exec, s[6:7]
	s_and_saveexec_b64 s[6:7], s[4:5]
	s_cbranch_execz .LBB1_180
.LBB1_179:
	v_bfe_u32 v12, v17, 16, 3
	v_ffbh_u32_e32 v22, v12
	v_min_u32_e32 v22, 32, v22
	v_lshrrev_b32_e32 v16, 19, v17
	v_subrev_u32_e32 v23, 28, v22
	v_and_b32_e32 v16, 15, v16
	v_lshlrev_b32_sdwa v23, v23, v17 dst_sel:DWORD dst_unused:UNUSED_PAD src0_sel:DWORD src1_sel:WORD_1
	v_bfe_u32 v21, v17, 19, 4
	v_sub_u32_e32 v22, 29, v22
	v_and_b32_e32 v23, 7, v23
	v_cmp_eq_u16_e32 vcc, 0, v16
	v_cndmask_b32_e32 v12, v12, v23, vcc
	v_cndmask_b32_e32 v16, v21, v22, vcc
	v_lshlrev_b32_e32 v21, 8, v17
	v_mov_b32_e32 v22, 0x3b800000
	v_lshlrev_b32_e32 v12, 20, v12
	v_and_b32_e32 v21, 0x80000000, v21
	v_lshl_add_u32 v16, v16, 23, v22
	v_or3_b32 v12, v21, v16, v12
.LBB1_180:
	s_or_b64 exec, exec, s[6:7]
	s_movk_i32 s4, 0xff
	v_and_b32_sdwa v16, v13, s4 dst_sel:DWORD dst_unused:UNUSED_PAD src0_sel:WORD_1 src1_sel:DWORD
	s_movk_i32 s4, 0x7f
	v_cmp_lt_i16_e32 vcc, s4, v16
	s_mov_b64 s[4:5], 0
                                        ; implicit-def: $sgpr10
	s_and_saveexec_b64 s[6:7], vcc
	s_xor_b64 s[6:7], exec, s[6:7]
	s_cbranch_execz .LBB1_181
; %bb.10173:
	s_getpc_b64 s[14:15]
.Lpost_getpc990:
	s_add_u32 s14, s14, (.LBB1_4277-.Lpost_getpc990)&4294967295
	s_addc_u32 s15, s15, (.LBB1_4277-.Lpost_getpc990)>>32
	s_setpc_b64 s[14:15]
.LBB1_181:
	s_or_saveexec_b64 s[6:7], s[6:7]
	v_mov_b32_e32 v21, s10
	s_xor_b64 exec, exec, s[6:7]
	s_cbranch_execz .LBB1_182
; %bb.10175:
	s_getpc_b64 s[14:15]
.Lpost_getpc991:
	s_add_u32 s14, s14, (.LBB1_4280-.Lpost_getpc991)&4294967295
	s_addc_u32 s15, s15, (.LBB1_4280-.Lpost_getpc991)>>32
	s_setpc_b64 s[14:15]
.LBB1_182:
	s_or_b64 exec, exec, s[6:7]
	s_and_saveexec_b64 s[6:7], s[4:5]
	s_cbranch_execz .LBB1_184
.LBB1_183:
	v_bfe_u32 v16, v13, 16, 2
	v_ffbh_u32_e32 v23, v16
	v_min_u32_e32 v23, 32, v23
	v_lshrrev_b32_e32 v21, 18, v13
	v_subrev_u32_e32 v24, 29, v23
	v_and_b32_e32 v21, 31, v21
	v_lshlrev_b32_sdwa v24, v24, v13 dst_sel:DWORD dst_unused:UNUSED_PAD src0_sel:DWORD src1_sel:WORD_1
	v_bfe_u32 v22, v13, 18, 5
	v_sub_u32_e32 v23, 30, v23
	v_and_b32_e32 v24, 3, v24
	v_cmp_eq_u16_e32 vcc, 0, v21
	v_cndmask_b32_e32 v16, v16, v24, vcc
	v_cndmask_b32_e32 v21, v22, v23, vcc
	v_lshlrev_b32_e32 v22, 8, v13
	v_mov_b32_e32 v23, 0x37800000
	v_lshlrev_b32_e32 v16, 21, v16
	v_and_b32_e32 v22, 0x80000000, v22
	v_lshl_add_u32 v21, v21, 23, v23
	v_or3_b32 v21, v22, v21, v16
.LBB1_184:
	s_or_b64 exec, exec, s[6:7]
	s_nop 0
	v_mfma_f32_16x16x4f32 a[0:3], v12, v21, a[0:3]
	s_movk_i32 s4, 0x7f
	v_cmp_gt_i16_sdwa s[6:7], v17, s4 src0_sel:BYTE_3 src1_sel:DWORD
	s_mov_b64 s[4:5], 0
                                        ; implicit-def: $sgpr10
	s_and_saveexec_b64 s[8:9], s[6:7]
	s_xor_b64 s[6:7], exec, s[8:9]
	s_cbranch_execz .LBB1_185
; %bb.10177:
	s_getpc_b64 s[14:15]
.Lpost_getpc992:
	s_add_u32 s14, s14, (.LBB1_4281-.Lpost_getpc992)&4294967295
	s_addc_u32 s15, s15, (.LBB1_4281-.Lpost_getpc992)>>32
	s_setpc_b64 s[14:15]
.LBB1_185:
	s_or_saveexec_b64 s[6:7], s[6:7]
	v_mov_b32_e32 v12, s10
	s_xor_b64 exec, exec, s[6:7]
	s_cbranch_execz .LBB1_186
; %bb.10179:
	s_getpc_b64 s[14:15]
.Lpost_getpc993:
	s_add_u32 s14, s14, (.LBB1_4284-.Lpost_getpc993)&4294967295
	s_addc_u32 s15, s15, (.LBB1_4284-.Lpost_getpc993)>>32
	s_setpc_b64 s[14:15]
.LBB1_186:
	s_or_b64 exec, exec, s[6:7]
	s_and_saveexec_b64 s[6:7], s[4:5]
	s_cbranch_execz .LBB1_188
.LBB1_187:
	v_bfe_u32 v12, v17, 24, 3
	v_ffbh_u32_e32 v23, v12
	v_min_u32_e32 v23, 32, v23
	v_lshrrev_b32_e32 v21, 27, v17
	v_subrev_u32_e32 v24, 28, v23
	v_and_b32_e32 v16, 0x80000000, v17
	v_and_b32_e32 v21, 15, v21
	v_bfe_u32 v22, v17, 27, 4
	v_lshlrev_b32_sdwa v17, v24, v17 dst_sel:DWORD dst_unused:UNUSED_PAD src0_sel:DWORD src1_sel:BYTE_3
	v_sub_u32_e32 v23, 29, v23
	v_and_b32_e32 v17, 7, v17
	v_cmp_eq_u16_e32 vcc, 0, v21
	v_cndmask_b32_e32 v12, v12, v17, vcc
	v_cndmask_b32_e32 v17, v22, v23, vcc
	v_mov_b32_e32 v21, 0x3b800000
	v_lshlrev_b32_e32 v12, 20, v12
	v_lshl_add_u32 v17, v17, 23, v21
	v_or3_b32 v12, v16, v17, v12
.LBB1_188:
	s_or_b64 exec, exec, s[6:7]
	s_movk_i32 s4, 0x7f
	v_cmp_gt_i16_sdwa s[6:7], v13, s4 src0_sel:BYTE_3 src1_sel:DWORD
	s_mov_b64 s[4:5], 0
                                        ; implicit-def: $sgpr10
	s_and_saveexec_b64 s[8:9], s[6:7]
	s_xor_b64 s[6:7], exec, s[8:9]
	s_cbranch_execz .LBB1_189
; %bb.10181:
	s_getpc_b64 s[14:15]
.Lpost_getpc994:
	s_add_u32 s14, s14, (.LBB1_4285-.Lpost_getpc994)&4294967295
	s_addc_u32 s15, s15, (.LBB1_4285-.Lpost_getpc994)>>32
	s_setpc_b64 s[14:15]
.LBB1_189:
	s_or_saveexec_b64 s[6:7], s[6:7]
	v_mov_b32_e32 v16, s10
	s_xor_b64 exec, exec, s[6:7]
	s_cbranch_execz .LBB1_190
; %bb.10183:
	s_getpc_b64 s[14:15]
.Lpost_getpc995:
	s_add_u32 s14, s14, (.LBB1_4288-.Lpost_getpc995)&4294967295
	s_addc_u32 s15, s15, (.LBB1_4288-.Lpost_getpc995)>>32
	s_setpc_b64 s[14:15]
.LBB1_190:
	s_or_b64 exec, exec, s[6:7]
	s_and_saveexec_b64 s[6:7], s[4:5]
	s_cbranch_execz .LBB1_192
.LBB1_191:
	v_bfe_u32 v16, v13, 24, 2
	v_ffbh_u32_e32 v23, v16
	v_min_u32_e32 v23, 32, v23
	v_lshrrev_b32_e32 v21, 26, v13
	v_subrev_u32_e32 v24, 29, v23
	v_and_b32_e32 v17, 0x80000000, v13
	v_and_b32_e32 v21, 31, v21
	v_bfe_u32 v22, v13, 26, 5
	v_lshlrev_b32_sdwa v13, v24, v13 dst_sel:DWORD dst_unused:UNUSED_PAD src0_sel:DWORD src1_sel:BYTE_3
	v_sub_u32_e32 v23, 30, v23
	v_and_b32_e32 v13, 3, v13
	v_cmp_eq_u16_e32 vcc, 0, v21
	v_cndmask_b32_e32 v13, v16, v13, vcc
	v_cndmask_b32_e32 v16, v22, v23, vcc
	v_mov_b32_e32 v21, 0x37800000
	v_lshlrev_b32_e32 v13, 21, v13
	v_lshl_add_u32 v16, v16, 23, v21
	v_or3_b32 v16, v17, v16, v13
.LBB1_192:
	s_or_b64 exec, exec, s[6:7]
	s_nop 0
	v_mfma_f32_16x16x4f32 a[0:3], v12, v16, a[0:3]
	s_movk_i32 s4, 0x7f
	v_cmp_gt_i16_sdwa s[6:7], v18, s4 src0_sel:BYTE_0 src1_sel:DWORD
	s_mov_b64 s[4:5], 0
                                        ; implicit-def: $sgpr10
	s_and_saveexec_b64 s[8:9], s[6:7]
	s_xor_b64 s[6:7], exec, s[8:9]
	s_cbranch_execz .LBB1_193
; %bb.10185:
	s_getpc_b64 s[14:15]
.Lpost_getpc996:
	s_add_u32 s14, s14, (.LBB1_4289-.Lpost_getpc996)&4294967295
	s_addc_u32 s15, s15, (.LBB1_4289-.Lpost_getpc996)>>32
	s_setpc_b64 s[14:15]
.LBB1_193:
	s_or_saveexec_b64 s[6:7], s[6:7]
	v_mov_b32_e32 v13, s10
	s_xor_b64 exec, exec, s[6:7]
	s_cbranch_execz .LBB1_194
; %bb.10187:
	s_getpc_b64 s[14:15]
.Lpost_getpc997:
	s_add_u32 s14, s14, (.LBB1_4292-.Lpost_getpc997)&4294967295
	s_addc_u32 s15, s15, (.LBB1_4292-.Lpost_getpc997)>>32
	s_setpc_b64 s[14:15]
.LBB1_194:
	s_or_b64 exec, exec, s[6:7]
	s_and_saveexec_b64 s[6:7], s[4:5]
	s_cbranch_execz .LBB1_196
.LBB1_195:
	v_and_b32_e32 v12, 7, v18
	v_ffbh_u32_e32 v16, v12
	v_min_u32_e32 v16, 32, v16
	v_lshrrev_b16_e32 v13, 3, v18
	v_subrev_u32_e32 v17, 28, v16
	v_and_b32_e32 v13, 15, v13
	v_lshlrev_b32_e32 v17, v17, v18
	v_sub_u32_e32 v16, 29, v16
	v_and_b32_e32 v17, 7, v17
	v_cmp_eq_u16_e32 vcc, 0, v13
	v_cndmask_b32_e32 v12, v12, v17, vcc
	v_cndmask_b32_e32 v13, v13, v16, vcc
	v_lshlrev_b32_e32 v16, 24, v18
	v_mov_b32_e32 v17, 0x3b800000
	v_lshlrev_b32_e32 v12, 20, v12
	v_and_b32_e32 v16, 0x80000000, v16
	v_lshl_add_u32 v13, v13, 23, v17
	v_or3_b32 v13, v16, v13, v12
.LBB1_196:
	s_or_b64 exec, exec, s[6:7]
	s_movk_i32 s4, 0xff
	v_mov_b32_e32 v12, 8
	v_or_b32_sdwa v16, v14, v20 dst_sel:DWORD dst_unused:UNUSED_PAD src0_sel:BYTE_0 src1_sel:DWORD
	v_lshlrev_b16_sdwa v12, v12, v14 dst_sel:DWORD dst_unused:UNUSED_PAD src0_sel:DWORD src1_sel:BYTE_3
	v_and_b32_sdwa v14, v14, s4 dst_sel:DWORD dst_unused:UNUSED_PAD src0_sel:WORD_1 src1_sel:DWORD
	s_movk_i32 s4, 0x7f
	v_or_b32_sdwa v12, v14, v12 dst_sel:WORD_1 dst_unused:UNUSED_PAD src0_sel:DWORD src1_sel:DWORD
	v_cmp_gt_i16_sdwa s[6:7], v16, s4 src0_sel:BYTE_0 src1_sel:DWORD
	s_mov_b64 s[4:5], 0
                                        ; implicit-def: $sgpr10
	s_and_saveexec_b64 s[8:9], s[6:7]
	s_xor_b64 s[6:7], exec, s[8:9]
	s_cbranch_execz .LBB1_197
; %bb.10189:
	s_getpc_b64 s[14:15]
.Lpost_getpc998:
	s_add_u32 s14, s14, (.LBB1_4293-.Lpost_getpc998)&4294967295
	s_addc_u32 s15, s15, (.LBB1_4293-.Lpost_getpc998)>>32
	s_setpc_b64 s[14:15]
.LBB1_197:
	s_or_saveexec_b64 s[6:7], s[6:7]
	v_mov_b32_e32 v14, s10
	s_xor_b64 exec, exec, s[6:7]
	s_cbranch_execz .LBB1_198
; %bb.10191:
	s_getpc_b64 s[14:15]
.Lpost_getpc999:
	s_add_u32 s14, s14, (.LBB1_4296-.Lpost_getpc999)&4294967295
	s_addc_u32 s15, s15, (.LBB1_4296-.Lpost_getpc999)>>32
	s_setpc_b64 s[14:15]
.LBB1_198:
	s_or_b64 exec, exec, s[6:7]
	v_or_b32_sdwa v12, v16, v12 dst_sel:DWORD dst_unused:UNUSED_PAD src0_sel:WORD_0 src1_sel:DWORD
	s_and_saveexec_b64 s[6:7], s[4:5]
	s_cbranch_execz .LBB1_200
.LBB1_199:
	v_and_b32_e32 v14, 3, v12
	v_ffbh_u32_e32 v17, v14
	v_min_u32_e32 v17, 32, v17
	v_lshrrev_b16_e32 v16, 2, v16
	v_subrev_u32_e32 v20, 29, v17
	v_and_b32_e32 v16, 31, v16
	v_lshlrev_b32_e32 v20, v20, v12
	v_sub_u32_e32 v17, 30, v17
	v_and_b32_e32 v20, 3, v20
	v_cmp_eq_u16_e32 vcc, 0, v16
	v_cndmask_b32_e32 v14, v14, v20, vcc
	v_cndmask_b32_e32 v16, v16, v17, vcc
	v_lshlrev_b32_e32 v17, 24, v12
	v_mov_b32_e32 v20, 0x37800000
	v_lshlrev_b32_e32 v14, 21, v14
	v_and_b32_e32 v17, 0x80000000, v17
	v_lshl_add_u32 v16, v16, 23, v20
	v_or3_b32 v14, v17, v16, v14
.LBB1_200:
	s_or_b64 exec, exec, s[6:7]
	s_nop 0
	v_mfma_f32_16x16x4f32 a[0:3], v13, v14, a[0:3]
	v_lshrrev_b32_e32 v14, 8, v18
	s_movk_i32 s4, 0x7f
	v_cmp_gt_i16_sdwa s[6:7], v14, s4 src0_sel:BYTE_0 src1_sel:DWORD
	s_mov_b64 s[4:5], 0
                                        ; implicit-def: $sgpr10
	s_and_saveexec_b64 s[8:9], s[6:7]
	s_xor_b64 s[6:7], exec, s[8:9]
	s_cbranch_execz .LBB1_201
; %bb.10193:
	s_getpc_b64 s[14:15]
.Lpost_getpc1000:
	s_add_u32 s14, s14, (.LBB1_4297-.Lpost_getpc1000)&4294967295
	s_addc_u32 s15, s15, (.LBB1_4297-.Lpost_getpc1000)>>32
	s_setpc_b64 s[14:15]
.LBB1_201:
	s_or_saveexec_b64 s[6:7], s[6:7]
	v_mov_b32_e32 v13, s10
	s_xor_b64 exec, exec, s[6:7]
	s_cbranch_execz .LBB1_202
; %bb.10195:
	s_getpc_b64 s[14:15]
.Lpost_getpc1001:
	s_add_u32 s14, s14, (.LBB1_4300-.Lpost_getpc1001)&4294967295
	s_addc_u32 s15, s15, (.LBB1_4300-.Lpost_getpc1001)>>32
	s_setpc_b64 s[14:15]
.LBB1_202:
	s_or_b64 exec, exec, s[6:7]
	s_and_saveexec_b64 s[6:7], s[4:5]
	s_cbranch_execz .LBB1_204
.LBB1_203:
	v_bfe_u32 v13, v18, 8, 3
	v_ffbh_u32_e32 v17, v13
	v_min_u32_e32 v17, 32, v17
	v_lshrrev_b16_e32 v16, 3, v14
	v_subrev_u32_e32 v20, 28, v17
	v_and_b32_e32 v16, 15, v16
	v_lshlrev_b32_e32 v14, v20, v14
	v_sub_u32_e32 v17, 29, v17
	v_and_b32_e32 v14, 7, v14
	v_cmp_eq_u16_e32 vcc, 0, v16
	v_cndmask_b32_e32 v13, v13, v14, vcc
	v_cndmask_b32_e32 v14, v16, v17, vcc
	v_lshlrev_b32_e32 v16, 16, v18
	v_mov_b32_e32 v17, 0x3b800000
	v_lshlrev_b32_e32 v13, 20, v13
	v_and_b32_e32 v16, 0x80000000, v16
	v_lshl_add_u32 v14, v14, 23, v17
	v_or3_b32 v13, v16, v14, v13
.LBB1_204:
	s_or_b64 exec, exec, s[6:7]
	v_lshrrev_b32_e32 v14, 8, v12
	s_movk_i32 s4, 0x7f
	v_cmp_gt_i16_sdwa s[6:7], v14, s4 src0_sel:BYTE_0 src1_sel:DWORD
	s_mov_b64 s[4:5], 0
                                        ; implicit-def: $sgpr10
	s_and_saveexec_b64 s[8:9], s[6:7]
	s_xor_b64 s[6:7], exec, s[8:9]
	s_cbranch_execz .LBB1_205
; %bb.10197:
	s_getpc_b64 s[14:15]
.Lpost_getpc1002:
	s_add_u32 s14, s14, (.LBB1_4301-.Lpost_getpc1002)&4294967295
	s_addc_u32 s15, s15, (.LBB1_4301-.Lpost_getpc1002)>>32
	s_setpc_b64 s[14:15]
.LBB1_205:
	s_or_saveexec_b64 s[6:7], s[6:7]
	v_mov_b32_e32 v16, s10
	s_xor_b64 exec, exec, s[6:7]
	s_cbranch_execz .LBB1_206
; %bb.10199:
	s_getpc_b64 s[14:15]
.Lpost_getpc1003:
	s_add_u32 s14, s14, (.LBB1_4304-.Lpost_getpc1003)&4294967295
	s_addc_u32 s15, s15, (.LBB1_4304-.Lpost_getpc1003)>>32
	s_setpc_b64 s[14:15]
.LBB1_206:
	s_or_b64 exec, exec, s[6:7]
	s_and_saveexec_b64 s[6:7], s[4:5]
	s_cbranch_execz .LBB1_208
.LBB1_207:
	v_bfe_u32 v16, v12, 8, 2
	v_ffbh_u32_e32 v20, v16
	v_min_u32_e32 v20, 32, v20
	v_lshrrev_b16_e32 v17, 2, v14
	v_subrev_u32_e32 v21, 29, v20
	v_and_b32_e32 v17, 31, v17
	v_lshlrev_b32_e32 v14, v21, v14
	v_sub_u32_e32 v20, 30, v20
	v_and_b32_e32 v14, 3, v14
	v_cmp_eq_u16_e32 vcc, 0, v17
	v_cndmask_b32_e32 v14, v16, v14, vcc
	v_cndmask_b32_e32 v16, v17, v20, vcc
	v_lshlrev_b32_e32 v17, 16, v12
	v_mov_b32_e32 v20, 0x37800000
	v_lshlrev_b32_e32 v14, 21, v14
	v_and_b32_e32 v17, 0x80000000, v17
	v_lshl_add_u32 v16, v16, 23, v20
	v_or3_b32 v16, v17, v16, v14
.LBB1_208:
	s_or_b64 exec, exec, s[6:7]
	s_nop 0
	v_mfma_f32_16x16x4f32 a[0:3], v13, v16, a[0:3]
	s_movk_i32 s4, 0xff
	v_and_b32_sdwa v14, v18, s4 dst_sel:DWORD dst_unused:UNUSED_PAD src0_sel:WORD_1 src1_sel:DWORD
	s_movk_i32 s4, 0x7f
	v_cmp_lt_i16_e32 vcc, s4, v14
	s_mov_b64 s[4:5], 0
                                        ; implicit-def: $sgpr10
	s_and_saveexec_b64 s[6:7], vcc
	s_xor_b64 s[6:7], exec, s[6:7]
	s_cbranch_execz .LBB1_209
; %bb.10201:
	s_getpc_b64 s[14:15]
.Lpost_getpc1004:
	s_add_u32 s14, s14, (.LBB1_4305-.Lpost_getpc1004)&4294967295
	s_addc_u32 s15, s15, (.LBB1_4305-.Lpost_getpc1004)>>32
	s_setpc_b64 s[14:15]
.LBB1_209:
	s_or_saveexec_b64 s[6:7], s[6:7]
	v_mov_b32_e32 v13, s10
	s_xor_b64 exec, exec, s[6:7]
	s_cbranch_execz .LBB1_210
; %bb.10203:
	s_getpc_b64 s[14:15]
.Lpost_getpc1005:
	s_add_u32 s14, s14, (.LBB1_4308-.Lpost_getpc1005)&4294967295
	s_addc_u32 s15, s15, (.LBB1_4308-.Lpost_getpc1005)>>32
	s_setpc_b64 s[14:15]
.LBB1_210:
	s_or_b64 exec, exec, s[6:7]
	s_and_saveexec_b64 s[6:7], s[4:5]
	s_cbranch_execz .LBB1_212
.LBB1_211:
	v_bfe_u32 v13, v18, 16, 3
	v_ffbh_u32_e32 v17, v13
	v_min_u32_e32 v17, 32, v17
	v_lshrrev_b32_e32 v14, 19, v18
	v_subrev_u32_e32 v20, 28, v17
	v_and_b32_e32 v14, 15, v14
	v_lshlrev_b32_sdwa v20, v20, v18 dst_sel:DWORD dst_unused:UNUSED_PAD src0_sel:DWORD src1_sel:WORD_1
	v_bfe_u32 v16, v18, 19, 4
	v_sub_u32_e32 v17, 29, v17
	v_and_b32_e32 v20, 7, v20
	v_cmp_eq_u16_e32 vcc, 0, v14
	v_cndmask_b32_e32 v13, v13, v20, vcc
	v_cndmask_b32_e32 v14, v16, v17, vcc
	v_lshlrev_b32_e32 v16, 8, v18
	v_mov_b32_e32 v17, 0x3b800000
	v_lshlrev_b32_e32 v13, 20, v13
	v_and_b32_e32 v16, 0x80000000, v16
	v_lshl_add_u32 v14, v14, 23, v17
	v_or3_b32 v13, v16, v14, v13
.LBB1_212:
	s_or_b64 exec, exec, s[6:7]
	s_movk_i32 s4, 0xff
	v_and_b32_sdwa v14, v12, s4 dst_sel:DWORD dst_unused:UNUSED_PAD src0_sel:WORD_1 src1_sel:DWORD
	s_movk_i32 s4, 0x7f
	v_cmp_lt_i16_e32 vcc, s4, v14
	s_mov_b64 s[4:5], 0
                                        ; implicit-def: $sgpr10
	s_and_saveexec_b64 s[6:7], vcc
	s_xor_b64 s[6:7], exec, s[6:7]
	s_cbranch_execz .LBB1_213
; %bb.10205:
	s_getpc_b64 s[14:15]
.Lpost_getpc1006:
	s_add_u32 s14, s14, (.LBB1_4309-.Lpost_getpc1006)&4294967295
	s_addc_u32 s15, s15, (.LBB1_4309-.Lpost_getpc1006)>>32
	s_setpc_b64 s[14:15]
.LBB1_213:
	s_or_saveexec_b64 s[6:7], s[6:7]
	v_mov_b32_e32 v16, s10
	s_xor_b64 exec, exec, s[6:7]
	s_cbranch_execz .LBB1_214
; %bb.10207:
	s_getpc_b64 s[14:15]
.Lpost_getpc1007:
	s_add_u32 s14, s14, (.LBB1_4312-.Lpost_getpc1007)&4294967295
	s_addc_u32 s15, s15, (.LBB1_4312-.Lpost_getpc1007)>>32
	s_setpc_b64 s[14:15]
.LBB1_214:
	s_or_b64 exec, exec, s[6:7]
	s_and_saveexec_b64 s[6:7], s[4:5]
	s_cbranch_execz .LBB1_216
.LBB1_215:
	v_bfe_u32 v14, v12, 16, 2
	v_ffbh_u32_e32 v20, v14
	v_min_u32_e32 v20, 32, v20
	v_lshrrev_b32_e32 v16, 18, v12
	v_subrev_u32_e32 v21, 29, v20
	v_and_b32_e32 v16, 31, v16
	v_lshlrev_b32_sdwa v21, v21, v12 dst_sel:DWORD dst_unused:UNUSED_PAD src0_sel:DWORD src1_sel:WORD_1
	v_bfe_u32 v17, v12, 18, 5
	v_sub_u32_e32 v20, 30, v20
	v_and_b32_e32 v21, 3, v21
	v_cmp_eq_u16_e32 vcc, 0, v16
	v_cndmask_b32_e32 v14, v14, v21, vcc
	v_cndmask_b32_e32 v16, v17, v20, vcc
	v_lshlrev_b32_e32 v17, 8, v12
	v_mov_b32_e32 v20, 0x37800000
	v_lshlrev_b32_e32 v14, 21, v14
	v_and_b32_e32 v17, 0x80000000, v17
	v_lshl_add_u32 v16, v16, 23, v20
	v_or3_b32 v16, v17, v16, v14
.LBB1_216:
	s_or_b64 exec, exec, s[6:7]
	s_nop 0
	v_mfma_f32_16x16x4f32 a[0:3], v13, v16, a[0:3]
	s_movk_i32 s4, 0x7f
	v_cmp_gt_i16_sdwa s[6:7], v18, s4 src0_sel:BYTE_3 src1_sel:DWORD
	s_mov_b64 s[4:5], 0
                                        ; implicit-def: $sgpr10
	s_and_saveexec_b64 s[8:9], s[6:7]
	s_xor_b64 s[6:7], exec, s[8:9]
	s_cbranch_execz .LBB1_217
; %bb.10209:
	s_getpc_b64 s[14:15]
.Lpost_getpc1008:
	s_add_u32 s14, s14, (.LBB1_4313-.Lpost_getpc1008)&4294967295
	s_addc_u32 s15, s15, (.LBB1_4313-.Lpost_getpc1008)>>32
	s_setpc_b64 s[14:15]
.LBB1_217:
	s_or_saveexec_b64 s[6:7], s[6:7]
	v_mov_b32_e32 v13, s10
	s_xor_b64 exec, exec, s[6:7]
	s_cbranch_execz .LBB1_218
; %bb.10211:
	s_getpc_b64 s[14:15]
.Lpost_getpc1009:
	s_add_u32 s14, s14, (.LBB1_4316-.Lpost_getpc1009)&4294967295
	s_addc_u32 s15, s15, (.LBB1_4316-.Lpost_getpc1009)>>32
	s_setpc_b64 s[14:15]
.LBB1_218:
	s_or_b64 exec, exec, s[6:7]
	s_and_saveexec_b64 s[6:7], s[4:5]
	s_cbranch_execz .LBB1_220
.LBB1_219:
	v_bfe_u32 v13, v18, 24, 3
	v_ffbh_u32_e32 v20, v13
	v_min_u32_e32 v20, 32, v20
	v_lshrrev_b32_e32 v16, 27, v18
	v_subrev_u32_e32 v21, 28, v20
	v_and_b32_e32 v14, 0x80000000, v18
	v_and_b32_e32 v16, 15, v16
	v_bfe_u32 v17, v18, 27, 4
	v_lshlrev_b32_sdwa v18, v21, v18 dst_sel:DWORD dst_unused:UNUSED_PAD src0_sel:DWORD src1_sel:BYTE_3
	v_sub_u32_e32 v20, 29, v20
	v_and_b32_e32 v18, 7, v18
	v_cmp_eq_u16_e32 vcc, 0, v16
	v_cndmask_b32_e32 v13, v13, v18, vcc
	v_cndmask_b32_e32 v16, v17, v20, vcc
	v_mov_b32_e32 v17, 0x3b800000
	v_lshlrev_b32_e32 v13, 20, v13
	v_lshl_add_u32 v16, v16, 23, v17
	v_or3_b32 v13, v14, v16, v13
.LBB1_220:
	s_or_b64 exec, exec, s[6:7]
	s_movk_i32 s4, 0x7f
	v_cmp_gt_i16_sdwa s[6:7], v12, s4 src0_sel:BYTE_3 src1_sel:DWORD
	s_mov_b64 s[4:5], 0
                                        ; implicit-def: $sgpr10
	s_and_saveexec_b64 s[8:9], s[6:7]
	s_xor_b64 s[6:7], exec, s[8:9]
	s_cbranch_execz .LBB1_221
; %bb.10213:
	s_getpc_b64 s[14:15]
.Lpost_getpc1010:
	s_add_u32 s14, s14, (.LBB1_4317-.Lpost_getpc1010)&4294967295
	s_addc_u32 s15, s15, (.LBB1_4317-.Lpost_getpc1010)>>32
	s_setpc_b64 s[14:15]
.LBB1_221:
	s_or_saveexec_b64 s[6:7], s[6:7]
	v_mov_b32_e32 v14, s10
	s_xor_b64 exec, exec, s[6:7]
	s_cbranch_execz .LBB1_222
; %bb.10215:
	s_getpc_b64 s[14:15]
.Lpost_getpc1011:
	s_add_u32 s14, s14, (.LBB1_4320-.Lpost_getpc1011)&4294967295
	s_addc_u32 s15, s15, (.LBB1_4320-.Lpost_getpc1011)>>32
	s_setpc_b64 s[14:15]
.LBB1_222:
	s_or_b64 exec, exec, s[6:7]
	s_and_saveexec_b64 s[6:7], s[4:5]
	s_cbranch_execz .LBB1_224
.LBB1_223:
	v_bfe_u32 v14, v12, 24, 2
	v_ffbh_u32_e32 v20, v14
	v_min_u32_e32 v20, 32, v20
	v_lshrrev_b32_e32 v17, 26, v12
	v_subrev_u32_e32 v21, 29, v20
	v_and_b32_e32 v16, 0x80000000, v12
	v_and_b32_e32 v17, 31, v17
	v_bfe_u32 v18, v12, 26, 5
	v_lshlrev_b32_sdwa v12, v21, v12 dst_sel:DWORD dst_unused:UNUSED_PAD src0_sel:DWORD src1_sel:BYTE_3
	v_sub_u32_e32 v20, 30, v20
	v_and_b32_e32 v12, 3, v12
	v_cmp_eq_u16_e32 vcc, 0, v17
	v_cndmask_b32_e32 v12, v14, v12, vcc
	v_cndmask_b32_e32 v14, v18, v20, vcc
	v_mov_b32_e32 v17, 0x37800000
	v_lshlrev_b32_e32 v12, 21, v12
	v_lshl_add_u32 v14, v14, 23, v17
	v_or3_b32 v14, v16, v14, v12
.LBB1_224:
	s_or_b64 exec, exec, s[6:7]
	s_nop 0
	v_mfma_f32_16x16x4f32 a[0:3], v13, v14, a[0:3]
	s_movk_i32 s4, 0x7f
	v_cmp_gt_i16_sdwa s[6:7], v19, s4 src0_sel:BYTE_0 src1_sel:DWORD
	s_mov_b64 s[4:5], 0
                                        ; implicit-def: $sgpr10
	s_and_saveexec_b64 s[8:9], s[6:7]
	s_xor_b64 s[6:7], exec, s[8:9]
	s_cbranch_execz .LBB1_225
; %bb.10217:
	s_getpc_b64 s[14:15]
.Lpost_getpc1012:
	s_add_u32 s14, s14, (.LBB1_4321-.Lpost_getpc1012)&4294967295
	s_addc_u32 s15, s15, (.LBB1_4321-.Lpost_getpc1012)>>32
	s_setpc_b64 s[14:15]
.LBB1_225:
	s_or_saveexec_b64 s[6:7], s[6:7]
	v_mov_b32_e32 v12, s10
	s_xor_b64 exec, exec, s[6:7]
	s_cbranch_execz .LBB1_226
; %bb.10219:
	s_getpc_b64 s[14:15]
.Lpost_getpc1013:
	s_add_u32 s14, s14, (.LBB1_4324-.Lpost_getpc1013)&4294967295
	s_addc_u32 s15, s15, (.LBB1_4324-.Lpost_getpc1013)>>32
	s_setpc_b64 s[14:15]
.LBB1_226:
	s_or_b64 exec, exec, s[6:7]
	s_and_saveexec_b64 s[6:7], s[4:5]
	s_cbranch_execz .LBB1_228
.LBB1_227:
	v_mov_b32_e32 v12, 8
	v_and_b32_e32 v13, 7, v19
	v_lshrrev_b32_sdwa v12, v12, v19 dst_sel:BYTE_1 dst_unused:UNUSED_PAD src0_sel:DWORD src1_sel:DWORD
	v_ffbh_u32_e32 v14, v13
	v_or_b32_sdwa v12, v19, v12 dst_sel:DWORD dst_unused:UNUSED_PAD src0_sel:BYTE_0 src1_sel:DWORD
	v_min_u32_e32 v14, 32, v14
	v_lshrrev_b16_e32 v12, 3, v12
	v_subrev_u32_e32 v16, 28, v14
	v_and_b32_e32 v12, 15, v12
	v_lshlrev_b32_e32 v16, v16, v19
	v_sub_u32_e32 v14, 29, v14
	v_and_b32_e32 v16, 7, v16
	v_cmp_eq_u16_e32 vcc, 0, v12
	v_cndmask_b32_e32 v13, v13, v16, vcc
	v_cndmask_b32_e32 v12, v12, v14, vcc
	v_lshlrev_b32_e32 v14, 24, v19
	v_mov_b32_e32 v16, 0x3b800000
	v_lshlrev_b32_e32 v13, 20, v13
	v_and_b32_e32 v14, 0x80000000, v14
	v_lshl_add_u32 v12, v12, 23, v16
	v_or3_b32 v12, v14, v12, v13
.LBB1_228:
	s_or_b64 exec, exec, s[6:7]
	s_movk_i32 s4, 0x7f
	v_cmp_gt_i16_sdwa s[6:7], v15, s4 src0_sel:BYTE_0 src1_sel:DWORD
	s_mov_b64 s[4:5], 0
                                        ; implicit-def: $sgpr10
	s_and_saveexec_b64 s[8:9], s[6:7]
	s_xor_b64 s[6:7], exec, s[8:9]
	s_cbranch_execz .LBB1_229
; %bb.10221:
	s_getpc_b64 s[14:15]
.Lpost_getpc1014:
	s_add_u32 s14, s14, (.LBB1_4325-.Lpost_getpc1014)&4294967295
	s_addc_u32 s15, s15, (.LBB1_4325-.Lpost_getpc1014)>>32
	s_setpc_b64 s[14:15]
.LBB1_229:
	s_or_saveexec_b64 s[6:7], s[6:7]
	v_mov_b32_e32 v13, s10
	s_xor_b64 exec, exec, s[6:7]
	s_cbranch_execz .LBB1_230
; %bb.10223:
	s_getpc_b64 s[14:15]
.Lpost_getpc1015:
	s_add_u32 s14, s14, (.LBB1_4328-.Lpost_getpc1015)&4294967295
	s_addc_u32 s15, s15, (.LBB1_4328-.Lpost_getpc1015)>>32
	s_setpc_b64 s[14:15]
.LBB1_230:
	s_or_b64 exec, exec, s[6:7]
	s_and_saveexec_b64 s[6:7], s[4:5]
	s_cbranch_execz .LBB1_232
.LBB1_231:
	v_and_b32_e32 v13, 3, v15
	v_ffbh_u32_e32 v16, v13
	v_min_u32_e32 v16, 32, v16
	v_lshrrev_b16_e32 v14, 2, v15
	v_subrev_u32_e32 v17, 29, v16
	v_and_b32_e32 v14, 31, v14
	v_lshlrev_b32_e32 v17, v17, v15
	v_sub_u32_e32 v16, 30, v16
	v_and_b32_e32 v17, 3, v17
	v_cmp_eq_u16_e32 vcc, 0, v14
	v_cndmask_b32_e32 v13, v13, v17, vcc
	v_cndmask_b32_e32 v14, v14, v16, vcc
	v_lshlrev_b32_e32 v16, 24, v15
	v_mov_b32_e32 v17, 0x37800000
	v_lshlrev_b32_e32 v13, 21, v13
	v_and_b32_e32 v16, 0x80000000, v16
	v_lshl_add_u32 v14, v14, 23, v17
	v_or3_b32 v13, v16, v14, v13
.LBB1_232:
	s_or_b64 exec, exec, s[6:7]
	s_nop 0
	v_mfma_f32_16x16x4f32 a[0:3], v12, v13, a[0:3]
	v_lshrrev_b32_e32 v13, 8, v19
	s_movk_i32 s4, 0x7f
	v_cmp_gt_i16_sdwa s[6:7], v13, s4 src0_sel:BYTE_0 src1_sel:DWORD
	s_mov_b64 s[4:5], 0
                                        ; implicit-def: $sgpr10
	s_and_saveexec_b64 s[8:9], s[6:7]
	s_xor_b64 s[6:7], exec, s[8:9]
	s_cbranch_execz .LBB1_233
; %bb.10225:
	s_getpc_b64 s[14:15]
.Lpost_getpc1016:
	s_add_u32 s14, s14, (.LBB1_4329-.Lpost_getpc1016)&4294967295
	s_addc_u32 s15, s15, (.LBB1_4329-.Lpost_getpc1016)>>32
	s_setpc_b64 s[14:15]
.LBB1_233:
	s_or_saveexec_b64 s[6:7], s[6:7]
	v_mov_b32_e32 v12, s10
	s_xor_b64 exec, exec, s[6:7]
	s_cbranch_execz .LBB1_234
; %bb.10227:
	s_getpc_b64 s[14:15]
.Lpost_getpc1017:
	s_add_u32 s14, s14, (.LBB1_4332-.Lpost_getpc1017)&4294967295
	s_addc_u32 s15, s15, (.LBB1_4332-.Lpost_getpc1017)>>32
	s_setpc_b64 s[14:15]
.LBB1_234:
	s_or_b64 exec, exec, s[6:7]
	s_and_saveexec_b64 s[6:7], s[4:5]
	s_cbranch_execz .LBB1_236
.LBB1_235:
	v_bfe_u32 v12, v19, 8, 3
	v_ffbh_u32_e32 v16, v12
	v_min_u32_e32 v16, 32, v16
	v_lshrrev_b16_e32 v14, 3, v13
	v_subrev_u32_e32 v17, 28, v16
	v_and_b32_e32 v14, 15, v14
	v_lshlrev_b32_e32 v13, v17, v13
	v_sub_u32_e32 v16, 29, v16
	v_and_b32_e32 v13, 7, v13
	v_cmp_eq_u16_e32 vcc, 0, v14
	v_cndmask_b32_e32 v12, v12, v13, vcc
	v_cndmask_b32_e32 v13, v14, v16, vcc
	v_lshlrev_b32_e32 v14, 16, v19
	v_mov_b32_e32 v16, 0x3b800000
	v_lshlrev_b32_e32 v12, 20, v12
	v_and_b32_e32 v14, 0x80000000, v14
	v_lshl_add_u32 v13, v13, 23, v16
	v_or3_b32 v12, v14, v13, v12
.LBB1_236:
	s_or_b64 exec, exec, s[6:7]
	v_lshrrev_b32_e32 v13, 8, v15
	s_movk_i32 s4, 0x7f
	v_cmp_gt_i16_sdwa s[6:7], v13, s4 src0_sel:BYTE_0 src1_sel:DWORD
	s_mov_b64 s[4:5], 0
                                        ; implicit-def: $sgpr10
	s_and_saveexec_b64 s[8:9], s[6:7]
	s_xor_b64 s[6:7], exec, s[8:9]
	s_cbranch_execz .LBB1_237
; %bb.10229:
	s_getpc_b64 s[14:15]
.Lpost_getpc1018:
	s_add_u32 s14, s14, (.LBB1_4333-.Lpost_getpc1018)&4294967295
	s_addc_u32 s15, s15, (.LBB1_4333-.Lpost_getpc1018)>>32
	s_setpc_b64 s[14:15]
.LBB1_237:
	s_or_saveexec_b64 s[6:7], s[6:7]
	v_mov_b32_e32 v14, s10
	s_xor_b64 exec, exec, s[6:7]
	s_cbranch_execz .LBB1_238
; %bb.10231:
	s_getpc_b64 s[14:15]
.Lpost_getpc1019:
	s_add_u32 s14, s14, (.LBB1_4336-.Lpost_getpc1019)&4294967295
	s_addc_u32 s15, s15, (.LBB1_4336-.Lpost_getpc1019)>>32
	s_setpc_b64 s[14:15]
.LBB1_238:
	s_or_b64 exec, exec, s[6:7]
	s_and_saveexec_b64 s[6:7], s[4:5]
	s_cbranch_execz .LBB1_240
.LBB1_239:
	v_bfe_u32 v14, v15, 8, 2
	v_ffbh_u32_e32 v17, v14
	v_min_u32_e32 v17, 32, v17
	v_lshrrev_b16_e32 v16, 2, v13
	v_subrev_u32_e32 v18, 29, v17
	v_and_b32_e32 v16, 31, v16
	v_lshlrev_b32_e32 v13, v18, v13
	v_sub_u32_e32 v17, 30, v17
	v_and_b32_e32 v13, 3, v13
	v_cmp_eq_u16_e32 vcc, 0, v16
	v_cndmask_b32_e32 v13, v14, v13, vcc
	v_cndmask_b32_e32 v14, v16, v17, vcc
	v_lshlrev_b32_e32 v16, 16, v15
	v_mov_b32_e32 v17, 0x37800000
	v_lshlrev_b32_e32 v13, 21, v13
	v_and_b32_e32 v16, 0x80000000, v16
	v_lshl_add_u32 v14, v14, 23, v17
	v_or3_b32 v14, v16, v14, v13
.LBB1_240:
	s_or_b64 exec, exec, s[6:7]
	s_nop 0
	v_mfma_f32_16x16x4f32 a[0:3], v12, v14, a[0:3]
	s_movk_i32 s4, 0xff
	v_and_b32_sdwa v13, v19, s4 dst_sel:DWORD dst_unused:UNUSED_PAD src0_sel:WORD_1 src1_sel:DWORD
	s_movk_i32 s4, 0x7f
	v_cmp_lt_i16_e32 vcc, s4, v13
	s_mov_b64 s[4:5], 0
                                        ; implicit-def: $sgpr10
	s_and_saveexec_b64 s[6:7], vcc
	s_xor_b64 s[6:7], exec, s[6:7]
	s_cbranch_execz .LBB1_241
; %bb.10233:
	s_getpc_b64 s[14:15]
.Lpost_getpc1020:
	s_add_u32 s14, s14, (.LBB1_4337-.Lpost_getpc1020)&4294967295
	s_addc_u32 s15, s15, (.LBB1_4337-.Lpost_getpc1020)>>32
	s_setpc_b64 s[14:15]
.LBB1_241:
	s_or_saveexec_b64 s[6:7], s[6:7]
	v_mov_b32_e32 v12, s10
	s_xor_b64 exec, exec, s[6:7]
	s_cbranch_execz .LBB1_242
; %bb.10235:
	s_getpc_b64 s[14:15]
.Lpost_getpc1021:
	s_add_u32 s14, s14, (.LBB1_4340-.Lpost_getpc1021)&4294967295
	s_addc_u32 s15, s15, (.LBB1_4340-.Lpost_getpc1021)>>32
	s_setpc_b64 s[14:15]
.LBB1_242:
	s_or_b64 exec, exec, s[6:7]
	s_and_saveexec_b64 s[6:7], s[4:5]
	s_cbranch_execz .LBB1_244
.LBB1_243:
	v_bfe_u32 v12, v19, 16, 3
	v_ffbh_u32_e32 v16, v12
	v_min_u32_e32 v16, 32, v16
	v_lshrrev_b32_e32 v13, 19, v19
	v_subrev_u32_e32 v17, 28, v16
	v_and_b32_e32 v13, 15, v13
	v_lshlrev_b32_sdwa v17, v17, v19 dst_sel:DWORD dst_unused:UNUSED_PAD src0_sel:DWORD src1_sel:WORD_1
	v_bfe_u32 v14, v19, 19, 4
	v_sub_u32_e32 v16, 29, v16
	v_and_b32_e32 v17, 7, v17
	v_cmp_eq_u16_e32 vcc, 0, v13
	v_cndmask_b32_e32 v12, v12, v17, vcc
	v_cndmask_b32_e32 v13, v14, v16, vcc
	v_lshlrev_b32_e32 v14, 8, v19
	v_mov_b32_e32 v16, 0x3b800000
	v_lshlrev_b32_e32 v12, 20, v12
	v_and_b32_e32 v14, 0x80000000, v14
	v_lshl_add_u32 v13, v13, 23, v16
	v_or3_b32 v12, v14, v13, v12
.LBB1_244:
	s_or_b64 exec, exec, s[6:7]
	s_movk_i32 s4, 0xff
	v_and_b32_sdwa v13, v15, s4 dst_sel:DWORD dst_unused:UNUSED_PAD src0_sel:WORD_1 src1_sel:DWORD
	s_movk_i32 s4, 0x7f
	v_cmp_lt_i16_e32 vcc, s4, v13
	s_mov_b64 s[4:5], 0
                                        ; implicit-def: $sgpr10
	s_and_saveexec_b64 s[6:7], vcc
	s_xor_b64 s[6:7], exec, s[6:7]
	s_cbranch_execz .LBB1_245
; %bb.10237:
	s_getpc_b64 s[14:15]
.Lpost_getpc1022:
	s_add_u32 s14, s14, (.LBB1_4341-.Lpost_getpc1022)&4294967295
	s_addc_u32 s15, s15, (.LBB1_4341-.Lpost_getpc1022)>>32
	s_setpc_b64 s[14:15]
.LBB1_245:
	s_or_saveexec_b64 s[6:7], s[6:7]
	v_mov_b32_e32 v14, s10
	s_xor_b64 exec, exec, s[6:7]
	s_cbranch_execz .LBB1_246
; %bb.10239:
	s_getpc_b64 s[14:15]
.Lpost_getpc1023:
	s_add_u32 s14, s14, (.LBB1_4344-.Lpost_getpc1023)&4294967295
	s_addc_u32 s15, s15, (.LBB1_4344-.Lpost_getpc1023)>>32
	s_setpc_b64 s[14:15]
.LBB1_246:
	s_or_b64 exec, exec, s[6:7]
	s_and_saveexec_b64 s[6:7], s[4:5]
	s_cbranch_execz .LBB1_248
.LBB1_247:
	v_bfe_u32 v13, v15, 16, 2
	v_ffbh_u32_e32 v17, v13
	v_min_u32_e32 v17, 32, v17
	v_lshrrev_b32_e32 v14, 18, v15
	v_subrev_u32_e32 v18, 29, v17
	v_and_b32_e32 v14, 31, v14
	v_lshlrev_b32_sdwa v18, v18, v15 dst_sel:DWORD dst_unused:UNUSED_PAD src0_sel:DWORD src1_sel:WORD_1
	v_bfe_u32 v16, v15, 18, 5
	v_sub_u32_e32 v17, 30, v17
	v_and_b32_e32 v18, 3, v18
	v_cmp_eq_u16_e32 vcc, 0, v14
	v_cndmask_b32_e32 v13, v13, v18, vcc
	v_cndmask_b32_e32 v14, v16, v17, vcc
	v_lshlrev_b32_e32 v16, 8, v15
	v_mov_b32_e32 v17, 0x37800000
	v_lshlrev_b32_e32 v13, 21, v13
	v_and_b32_e32 v16, 0x80000000, v16
	v_lshl_add_u32 v14, v14, 23, v17
	v_or3_b32 v14, v16, v14, v13
.LBB1_248:
	s_or_b64 exec, exec, s[6:7]
	s_nop 0
	v_mfma_f32_16x16x4f32 a[0:3], v12, v14, a[0:3]
	s_movk_i32 s4, 0x7f
	v_cmp_gt_i16_sdwa s[6:7], v19, s4 src0_sel:BYTE_3 src1_sel:DWORD
	s_mov_b64 s[4:5], 0
                                        ; implicit-def: $sgpr10
	s_and_saveexec_b64 s[8:9], s[6:7]
	s_xor_b64 s[6:7], exec, s[8:9]
	s_cbranch_execz .LBB1_249
; %bb.10241:
	s_getpc_b64 s[14:15]
.Lpost_getpc1024:
	s_add_u32 s14, s14, (.LBB1_4345-.Lpost_getpc1024)&4294967295
	s_addc_u32 s15, s15, (.LBB1_4345-.Lpost_getpc1024)>>32
	s_setpc_b64 s[14:15]
.LBB1_249:
	s_or_saveexec_b64 s[6:7], s[6:7]
	v_mov_b32_e32 v12, s10
	s_xor_b64 exec, exec, s[6:7]
	s_cbranch_execz .LBB1_250
; %bb.10243:
	s_getpc_b64 s[14:15]
.Lpost_getpc1025:
	s_add_u32 s14, s14, (.LBB1_4348-.Lpost_getpc1025)&4294967295
	s_addc_u32 s15, s15, (.LBB1_4348-.Lpost_getpc1025)>>32
	s_setpc_b64 s[14:15]
.LBB1_250:
	s_or_b64 exec, exec, s[6:7]
	s_and_saveexec_b64 s[6:7], s[4:5]
	s_cbranch_execz .LBB1_252
.LBB1_251:
	v_bfe_u32 v12, v19, 24, 3
	v_ffbh_u32_e32 v17, v12
	v_min_u32_e32 v17, 32, v17
	v_lshrrev_b32_e32 v14, 27, v19
	v_subrev_u32_e32 v18, 28, v17
	v_and_b32_e32 v14, 15, v14
	v_lshlrev_b32_sdwa v18, v18, v19 dst_sel:DWORD dst_unused:UNUSED_PAD src0_sel:DWORD src1_sel:BYTE_3
	v_bfe_u32 v16, v19, 27, 4
	v_sub_u32_e32 v17, 29, v17
	v_and_b32_e32 v18, 7, v18
	v_cmp_eq_u16_e32 vcc, 0, v14
	v_cndmask_b32_e32 v12, v12, v18, vcc
	v_cndmask_b32_e32 v14, v16, v17, vcc
	v_mov_b32_e32 v16, 0x3b800000
	v_and_b32_e32 v13, 0x80000000, v19
	v_lshlrev_b32_e32 v12, 20, v12
	v_lshl_add_u32 v14, v14, 23, v16
	v_or3_b32 v12, v13, v14, v12
.LBB1_252:
	s_or_b64 exec, exec, s[6:7]
	s_movk_i32 s4, 0x7f
	v_cmp_gt_i16_sdwa s[6:7], v15, s4 src0_sel:BYTE_3 src1_sel:DWORD
	s_mov_b64 s[4:5], 0
                                        ; implicit-def: $sgpr10
	s_and_saveexec_b64 s[8:9], s[6:7]
	s_xor_b64 s[6:7], exec, s[8:9]
	s_cbranch_execz .LBB1_253
; %bb.10245:
	s_getpc_b64 s[14:15]
.Lpost_getpc1026:
	s_add_u32 s14, s14, (.LBB1_4349-.Lpost_getpc1026)&4294967295
	s_addc_u32 s15, s15, (.LBB1_4349-.Lpost_getpc1026)>>32
	s_setpc_b64 s[14:15]
.LBB1_253:
	s_or_saveexec_b64 s[6:7], s[6:7]
	v_mov_b32_e32 v13, s10
	s_xor_b64 exec, exec, s[6:7]
	s_cbranch_execz .LBB1_254
; %bb.10247:
	s_getpc_b64 s[14:15]
.Lpost_getpc1027:
	s_add_u32 s14, s14, (.LBB1_4352-.Lpost_getpc1027)&4294967295
	s_addc_u32 s15, s15, (.LBB1_4352-.Lpost_getpc1027)>>32
	s_setpc_b64 s[14:15]
.LBB1_254:
	s_or_b64 exec, exec, s[6:7]
	s_and_saveexec_b64 s[6:7], s[4:5]
	s_cbranch_execz .LBB1_256
.LBB1_255:
	v_bfe_u32 v13, v15, 24, 2
	v_ffbh_u32_e32 v18, v13
	v_min_u32_e32 v18, 32, v18
	v_lshrrev_b32_e32 v16, 26, v15
	v_subrev_u32_e32 v19, 29, v18
	v_and_b32_e32 v14, 0x80000000, v15
	v_and_b32_e32 v16, 31, v16
	v_bfe_u32 v17, v15, 26, 5
	v_lshlrev_b32_sdwa v15, v19, v15 dst_sel:DWORD dst_unused:UNUSED_PAD src0_sel:DWORD src1_sel:BYTE_3
	v_sub_u32_e32 v18, 30, v18
	v_and_b32_e32 v15, 3, v15
	v_cmp_eq_u16_e32 vcc, 0, v16
	v_cndmask_b32_e32 v13, v13, v15, vcc
	v_cndmask_b32_e32 v15, v17, v18, vcc
	v_mov_b32_e32 v16, 0x37800000
	v_lshlrev_b32_e32 v13, 21, v13
	v_lshl_add_u32 v15, v15, 23, v16
	v_or3_b32 v13, v14, v15, v13
.LBB1_256:
	s_or_b64 exec, exec, s[6:7]
	s_nop 0
	v_mfma_f32_16x16x4f32 a[0:3], v12, v13, a[0:3]
	v_mov_b32_e32 v16, 8
	s_movk_i32 s4, 0x7f
                                        ; implicit-def: $sgpr10
	s_nop 7
	s_nop 0
	flat_store_dwordx4 v[10:11], a[0:3] offset:16
	flat_load_dword v14, v[0:1] offset:544
	flat_load_dwordx2 v[12:13], v[6:7]
	s_waitcnt vmcnt(0) lgkmcnt(0)
	v_ashrrev_i32_e32 v15, 31, v14
	v_add_co_u32_e32 v12, vcc, v12, v14
	v_addc_co_u32_e32 v13, vcc, v13, v15, vcc
	flat_load_dwordx4 v[12:15], v[12:13] offset:1024
	s_waitcnt vmcnt(0) lgkmcnt(0)
	v_lshrrev_b32_sdwa v20, v16, v14 dst_sel:BYTE_1 dst_unused:UNUSED_PAD src0_sel:DWORD src1_sel:DWORD
	flat_store_dwordx4 v[8:9], v[12:15]
	flat_load_dwordx4 v[16:19], v[4:5]
	s_waitcnt vmcnt(0) lgkmcnt(0)
	v_cmp_gt_i16_sdwa s[6:7], v16, s4 src0_sel:BYTE_0 src1_sel:DWORD
	s_mov_b64 s[4:5], 0
	s_and_saveexec_b64 s[8:9], s[6:7]
	s_xor_b64 s[6:7], exec, s[8:9]
	s_cbranch_execz .LBB1_257
; %bb.10249:
	s_getpc_b64 s[14:15]
.Lpost_getpc1028:
	s_add_u32 s14, s14, (.LBB1_4353-.Lpost_getpc1028)&4294967295
	s_addc_u32 s15, s15, (.LBB1_4353-.Lpost_getpc1028)>>32
	s_setpc_b64 s[14:15]
.LBB1_257:
	s_or_saveexec_b64 s[6:7], s[6:7]
	v_mov_b32_e32 v21, s10
	s_xor_b64 exec, exec, s[6:7]
	s_cbranch_execz .LBB1_258
; %bb.10251:
	s_getpc_b64 s[14:15]
.Lpost_getpc1029:
	s_add_u32 s14, s14, (.LBB1_4356-.Lpost_getpc1029)&4294967295
	s_addc_u32 s15, s15, (.LBB1_4356-.Lpost_getpc1029)>>32
	s_setpc_b64 s[14:15]
.LBB1_258:
	s_or_b64 exec, exec, s[6:7]
	s_and_saveexec_b64 s[6:7], s[4:5]
	s_cbranch_execz .LBB1_260
.LBB1_259:
	v_and_b32_e32 v21, 7, v16
	v_ffbh_u32_e32 v23, v21
	v_min_u32_e32 v23, 32, v23
	v_lshrrev_b16_e32 v22, 3, v16
	v_subrev_u32_e32 v24, 28, v23
	v_and_b32_e32 v22, 15, v22
	v_lshlrev_b32_e32 v24, v24, v16
	v_sub_u32_e32 v23, 29, v23
	v_and_b32_e32 v24, 7, v24
	v_cmp_eq_u16_e32 vcc, 0, v22
	v_cndmask_b32_e32 v21, v21, v24, vcc
	v_cndmask_b32_e32 v22, v22, v23, vcc
	v_lshlrev_b32_e32 v23, 24, v16
	v_mov_b32_e32 v24, 0x3b800000
	v_lshlrev_b32_e32 v21, 20, v21
	v_and_b32_e32 v23, 0x80000000, v23
	v_lshl_add_u32 v22, v22, 23, v24
	v_or3_b32 v21, v23, v22, v21
.LBB1_260:
	s_or_b64 exec, exec, s[6:7]
	s_movk_i32 s4, 0x7f
	v_cmp_gt_i16_sdwa s[6:7], v12, s4 src0_sel:BYTE_0 src1_sel:DWORD
	s_mov_b64 s[4:5], 0
                                        ; implicit-def: $sgpr10
	s_and_saveexec_b64 s[8:9], s[6:7]
	s_xor_b64 s[6:7], exec, s[8:9]
	s_cbranch_execz .LBB1_261
; %bb.10253:
	s_getpc_b64 s[14:15]
.Lpost_getpc1030:
	s_add_u32 s14, s14, (.LBB1_4357-.Lpost_getpc1030)&4294967295
	s_addc_u32 s15, s15, (.LBB1_4357-.Lpost_getpc1030)>>32
	s_setpc_b64 s[14:15]
.LBB1_261:
	s_or_saveexec_b64 s[6:7], s[6:7]
	v_mov_b32_e32 v22, s10
	s_xor_b64 exec, exec, s[6:7]
	s_cbranch_execz .LBB1_262
; %bb.10255:
	s_getpc_b64 s[14:15]
.Lpost_getpc1031:
	s_add_u32 s14, s14, (.LBB1_4360-.Lpost_getpc1031)&4294967295
	s_addc_u32 s15, s15, (.LBB1_4360-.Lpost_getpc1031)>>32
	s_setpc_b64 s[14:15]
.LBB1_262:
	s_or_b64 exec, exec, s[6:7]
	s_and_saveexec_b64 s[6:7], s[4:5]
	s_cbranch_execz .LBB1_264
.LBB1_263:
	v_and_b32_e32 v22, 3, v12
	v_ffbh_u32_e32 v24, v22
	v_min_u32_e32 v24, 32, v24
	v_lshrrev_b16_e32 v23, 2, v12
	v_subrev_u32_e32 v25, 29, v24
	v_and_b32_e32 v23, 31, v23
	v_lshlrev_b32_e32 v25, v25, v12
	v_sub_u32_e32 v24, 30, v24
	v_and_b32_e32 v25, 3, v25
	v_cmp_eq_u16_e32 vcc, 0, v23
	v_cndmask_b32_e32 v22, v22, v25, vcc
	v_cndmask_b32_e32 v23, v23, v24, vcc
	v_lshlrev_b32_e32 v24, 24, v12
	v_mov_b32_e32 v25, 0x37800000
	v_lshlrev_b32_e32 v22, 21, v22
	v_and_b32_e32 v24, 0x80000000, v24
	v_lshl_add_u32 v23, v23, 23, v25
	v_or3_b32 v22, v24, v23, v22
.LBB1_264:
	s_or_b64 exec, exec, s[6:7]
	flat_load_dwordx4 a[0:3], v[10:11] offset:32
	s_movk_i32 s4, 0x7f
                                        ; implicit-def: $sgpr10
	s_waitcnt vmcnt(0) lgkmcnt(0)
	v_mfma_f32_16x16x4f32 a[0:3], v21, v22, a[0:3]
	v_lshrrev_b32_e32 v22, 8, v16
	v_cmp_gt_i16_sdwa s[6:7], v22, s4 src0_sel:BYTE_0 src1_sel:DWORD
	s_mov_b64 s[4:5], 0
	s_and_saveexec_b64 s[8:9], s[6:7]
	s_xor_b64 s[6:7], exec, s[8:9]
	s_cbranch_execz .LBB1_265
; %bb.10257:
	s_getpc_b64 s[14:15]
.Lpost_getpc1032:
	s_add_u32 s14, s14, (.LBB1_4361-.Lpost_getpc1032)&4294967295
	s_addc_u32 s15, s15, (.LBB1_4361-.Lpost_getpc1032)>>32
	s_setpc_b64 s[14:15]
.LBB1_265:
	s_or_saveexec_b64 s[6:7], s[6:7]
	v_mov_b32_e32 v21, s10
	s_xor_b64 exec, exec, s[6:7]
	s_cbranch_execz .LBB1_266
; %bb.10259:
	s_getpc_b64 s[14:15]
.Lpost_getpc1033:
	s_add_u32 s14, s14, (.LBB1_4364-.Lpost_getpc1033)&4294967295
	s_addc_u32 s15, s15, (.LBB1_4364-.Lpost_getpc1033)>>32
	s_setpc_b64 s[14:15]
.LBB1_266:
	s_or_b64 exec, exec, s[6:7]
	s_and_saveexec_b64 s[6:7], s[4:5]
	s_cbranch_execz .LBB1_268
.LBB1_267:
	v_bfe_u32 v21, v16, 8, 3
	v_ffbh_u32_e32 v24, v21
	v_min_u32_e32 v24, 32, v24
	v_lshrrev_b16_e32 v23, 3, v22
	v_subrev_u32_e32 v25, 28, v24
	v_and_b32_e32 v23, 15, v23
	v_lshlrev_b32_e32 v22, v25, v22
	v_sub_u32_e32 v24, 29, v24
	v_and_b32_e32 v22, 7, v22
	v_cmp_eq_u16_e32 vcc, 0, v23
	v_cndmask_b32_e32 v21, v21, v22, vcc
	v_cndmask_b32_e32 v22, v23, v24, vcc
	v_lshlrev_b32_e32 v23, 16, v16
	v_mov_b32_e32 v24, 0x3b800000
	v_lshlrev_b32_e32 v21, 20, v21
	v_and_b32_e32 v23, 0x80000000, v23
	v_lshl_add_u32 v22, v22, 23, v24
	v_or3_b32 v21, v23, v22, v21
.LBB1_268:
	s_or_b64 exec, exec, s[6:7]
	v_lshrrev_b32_e32 v22, 8, v12
	s_movk_i32 s4, 0x7f
	v_cmp_gt_i16_sdwa s[6:7], v22, s4 src0_sel:BYTE_0 src1_sel:DWORD
	s_mov_b64 s[4:5], 0
                                        ; implicit-def: $sgpr10
	s_and_saveexec_b64 s[8:9], s[6:7]
	s_xor_b64 s[6:7], exec, s[8:9]
	s_cbranch_execz .LBB1_269
; %bb.10261:
	s_getpc_b64 s[14:15]
.Lpost_getpc1034:
	s_add_u32 s14, s14, (.LBB1_4365-.Lpost_getpc1034)&4294967295
	s_addc_u32 s15, s15, (.LBB1_4365-.Lpost_getpc1034)>>32
	s_setpc_b64 s[14:15]
.LBB1_269:
	s_or_saveexec_b64 s[6:7], s[6:7]
	v_mov_b32_e32 v23, s10
	s_xor_b64 exec, exec, s[6:7]
	s_cbranch_execz .LBB1_270
; %bb.10263:
	s_getpc_b64 s[14:15]
.Lpost_getpc1035:
	s_add_u32 s14, s14, (.LBB1_4368-.Lpost_getpc1035)&4294967295
	s_addc_u32 s15, s15, (.LBB1_4368-.Lpost_getpc1035)>>32
	s_setpc_b64 s[14:15]
.LBB1_270:
	s_or_b64 exec, exec, s[6:7]
	s_and_saveexec_b64 s[6:7], s[4:5]
	s_cbranch_execz .LBB1_272
.LBB1_271:
	v_bfe_u32 v23, v12, 8, 2
	v_ffbh_u32_e32 v25, v23
	v_min_u32_e32 v25, 32, v25
	v_lshrrev_b16_e32 v24, 2, v22
	v_subrev_u32_e32 v26, 29, v25
	v_and_b32_e32 v24, 31, v24
	v_lshlrev_b32_e32 v22, v26, v22
	v_sub_u32_e32 v25, 30, v25
	v_and_b32_e32 v22, 3, v22
	v_cmp_eq_u16_e32 vcc, 0, v24
	v_cndmask_b32_e32 v22, v23, v22, vcc
	v_cndmask_b32_e32 v23, v24, v25, vcc
	v_lshlrev_b32_e32 v24, 16, v12
	v_mov_b32_e32 v25, 0x37800000
	v_lshlrev_b32_e32 v22, 21, v22
	v_and_b32_e32 v24, 0x80000000, v24
	v_lshl_add_u32 v23, v23, 23, v25
	v_or3_b32 v23, v24, v23, v22
.LBB1_272:
	s_or_b64 exec, exec, s[6:7]
	s_nop 0
	v_mfma_f32_16x16x4f32 a[0:3], v21, v23, a[0:3]
	s_movk_i32 s4, 0xff
	v_and_b32_sdwa v22, v16, s4 dst_sel:DWORD dst_unused:UNUSED_PAD src0_sel:WORD_1 src1_sel:DWORD
	s_movk_i32 s4, 0x7f
	v_cmp_lt_i16_e32 vcc, s4, v22
	s_mov_b64 s[4:5], 0
                                        ; implicit-def: $sgpr10
	s_and_saveexec_b64 s[6:7], vcc
	s_xor_b64 s[6:7], exec, s[6:7]
	s_cbranch_execz .LBB1_273
; %bb.10265:
	s_getpc_b64 s[14:15]
.Lpost_getpc1036:
	s_add_u32 s14, s14, (.LBB1_4369-.Lpost_getpc1036)&4294967295
	s_addc_u32 s15, s15, (.LBB1_4369-.Lpost_getpc1036)>>32
	s_setpc_b64 s[14:15]
.LBB1_273:
	s_or_saveexec_b64 s[6:7], s[6:7]
	v_mov_b32_e32 v21, s10
	s_xor_b64 exec, exec, s[6:7]
	s_cbranch_execz .LBB1_274
; %bb.10267:
	s_getpc_b64 s[14:15]
.Lpost_getpc1037:
	s_add_u32 s14, s14, (.LBB1_4372-.Lpost_getpc1037)&4294967295
	s_addc_u32 s15, s15, (.LBB1_4372-.Lpost_getpc1037)>>32
	s_setpc_b64 s[14:15]
.LBB1_274:
	s_or_b64 exec, exec, s[6:7]
	s_and_saveexec_b64 s[6:7], s[4:5]
	s_cbranch_execz .LBB1_276
.LBB1_275:
	v_bfe_u32 v21, v16, 16, 3
	v_ffbh_u32_e32 v24, v21
	v_min_u32_e32 v24, 32, v24
	v_lshrrev_b32_e32 v22, 19, v16
	v_subrev_u32_e32 v25, 28, v24
	v_and_b32_e32 v22, 15, v22
	v_lshlrev_b32_sdwa v25, v25, v16 dst_sel:DWORD dst_unused:UNUSED_PAD src0_sel:DWORD src1_sel:WORD_1
	v_bfe_u32 v23, v16, 19, 4
	v_sub_u32_e32 v24, 29, v24
	v_and_b32_e32 v25, 7, v25
	v_cmp_eq_u16_e32 vcc, 0, v22
	v_cndmask_b32_e32 v21, v21, v25, vcc
	v_cndmask_b32_e32 v22, v23, v24, vcc
	v_lshlrev_b32_e32 v23, 8, v16
	v_mov_b32_e32 v24, 0x3b800000
	v_lshlrev_b32_e32 v21, 20, v21
	v_and_b32_e32 v23, 0x80000000, v23
	v_lshl_add_u32 v22, v22, 23, v24
	v_or3_b32 v21, v23, v22, v21
.LBB1_276:
	s_or_b64 exec, exec, s[6:7]
	s_movk_i32 s4, 0xff
	v_and_b32_sdwa v22, v12, s4 dst_sel:DWORD dst_unused:UNUSED_PAD src0_sel:WORD_1 src1_sel:DWORD
	s_movk_i32 s4, 0x7f
	v_cmp_lt_i16_e32 vcc, s4, v22
	s_mov_b64 s[4:5], 0
                                        ; implicit-def: $sgpr10
	s_and_saveexec_b64 s[6:7], vcc
	s_xor_b64 s[6:7], exec, s[6:7]
	s_cbranch_execz .LBB1_277
; %bb.10269:
	s_getpc_b64 s[14:15]
.Lpost_getpc1038:
	s_add_u32 s14, s14, (.LBB1_4373-.Lpost_getpc1038)&4294967295
	s_addc_u32 s15, s15, (.LBB1_4373-.Lpost_getpc1038)>>32
	s_setpc_b64 s[14:15]
.LBB1_277:
	s_or_saveexec_b64 s[6:7], s[6:7]
	v_mov_b32_e32 v23, s10
	s_xor_b64 exec, exec, s[6:7]
	s_cbranch_execz .LBB1_278
; %bb.10271:
	s_getpc_b64 s[14:15]
.Lpost_getpc1039:
	s_add_u32 s14, s14, (.LBB1_4376-.Lpost_getpc1039)&4294967295
	s_addc_u32 s15, s15, (.LBB1_4376-.Lpost_getpc1039)>>32
	s_setpc_b64 s[14:15]
.LBB1_278:
	s_or_b64 exec, exec, s[6:7]
	s_and_saveexec_b64 s[6:7], s[4:5]
	s_cbranch_execz .LBB1_280
.LBB1_279:
	v_bfe_u32 v22, v12, 16, 2
	v_ffbh_u32_e32 v25, v22
	v_min_u32_e32 v25, 32, v25
	v_lshrrev_b32_e32 v23, 18, v12
	v_subrev_u32_e32 v26, 29, v25
	v_and_b32_e32 v23, 31, v23
	v_lshlrev_b32_sdwa v26, v26, v12 dst_sel:DWORD dst_unused:UNUSED_PAD src0_sel:DWORD src1_sel:WORD_1
	v_bfe_u32 v24, v12, 18, 5
	v_sub_u32_e32 v25, 30, v25
	v_and_b32_e32 v26, 3, v26
	v_cmp_eq_u16_e32 vcc, 0, v23
	v_cndmask_b32_e32 v22, v22, v26, vcc
	v_cndmask_b32_e32 v23, v24, v25, vcc
	v_lshlrev_b32_e32 v24, 8, v12
	v_mov_b32_e32 v25, 0x37800000
	v_lshlrev_b32_e32 v22, 21, v22
	v_and_b32_e32 v24, 0x80000000, v24
	v_lshl_add_u32 v23, v23, 23, v25
	v_or3_b32 v23, v24, v23, v22
.LBB1_280:
	s_or_b64 exec, exec, s[6:7]
	s_nop 0
	v_mfma_f32_16x16x4f32 a[0:3], v21, v23, a[0:3]
	s_movk_i32 s4, 0x7f
	v_cmp_gt_i16_sdwa s[6:7], v16, s4 src0_sel:BYTE_3 src1_sel:DWORD
	s_mov_b64 s[4:5], 0
                                        ; implicit-def: $sgpr10
	s_and_saveexec_b64 s[8:9], s[6:7]
	s_xor_b64 s[6:7], exec, s[8:9]
	s_cbranch_execz .LBB1_281
; %bb.10273:
	s_getpc_b64 s[14:15]
.Lpost_getpc1040:
	s_add_u32 s14, s14, (.LBB1_4377-.Lpost_getpc1040)&4294967295
	s_addc_u32 s15, s15, (.LBB1_4377-.Lpost_getpc1040)>>32
	s_setpc_b64 s[14:15]
.LBB1_281:
	s_or_saveexec_b64 s[6:7], s[6:7]
	v_mov_b32_e32 v21, s10
	s_xor_b64 exec, exec, s[6:7]
	s_cbranch_execz .LBB1_282
; %bb.10275:
	s_getpc_b64 s[14:15]
.Lpost_getpc1041:
	s_add_u32 s14, s14, (.LBB1_4380-.Lpost_getpc1041)&4294967295
	s_addc_u32 s15, s15, (.LBB1_4380-.Lpost_getpc1041)>>32
	s_setpc_b64 s[14:15]
.LBB1_282:
	s_or_b64 exec, exec, s[6:7]
	s_and_saveexec_b64 s[6:7], s[4:5]
	s_cbranch_execz .LBB1_284
.LBB1_283:
	v_bfe_u32 v21, v16, 24, 3
	v_ffbh_u32_e32 v25, v21
	v_min_u32_e32 v25, 32, v25
	v_lshrrev_b32_e32 v23, 27, v16
	v_subrev_u32_e32 v26, 28, v25
	v_and_b32_e32 v22, 0x80000000, v16
	v_and_b32_e32 v23, 15, v23
	v_bfe_u32 v24, v16, 27, 4
	v_lshlrev_b32_sdwa v16, v26, v16 dst_sel:DWORD dst_unused:UNUSED_PAD src0_sel:DWORD src1_sel:BYTE_3
	v_sub_u32_e32 v25, 29, v25
	v_and_b32_e32 v16, 7, v16
	v_cmp_eq_u16_e32 vcc, 0, v23
	v_cndmask_b32_e32 v16, v21, v16, vcc
	v_cndmask_b32_e32 v21, v24, v25, vcc
	v_mov_b32_e32 v23, 0x3b800000
	v_lshlrev_b32_e32 v16, 20, v16
	v_lshl_add_u32 v21, v21, 23, v23
	v_or3_b32 v21, v22, v21, v16
.LBB1_284:
	s_or_b64 exec, exec, s[6:7]
	s_movk_i32 s4, 0x7f
	v_cmp_gt_i16_sdwa s[6:7], v12, s4 src0_sel:BYTE_3 src1_sel:DWORD
	s_mov_b64 s[4:5], 0
                                        ; implicit-def: $sgpr10
	s_and_saveexec_b64 s[8:9], s[6:7]
	s_xor_b64 s[6:7], exec, s[8:9]
	s_cbranch_execz .LBB1_285
; %bb.10277:
	s_getpc_b64 s[14:15]
.Lpost_getpc1042:
	s_add_u32 s14, s14, (.LBB1_4381-.Lpost_getpc1042)&4294967295
	s_addc_u32 s15, s15, (.LBB1_4381-.Lpost_getpc1042)>>32
	s_setpc_b64 s[14:15]
.LBB1_285:
	s_or_saveexec_b64 s[6:7], s[6:7]
	v_mov_b32_e32 v16, s10
	s_xor_b64 exec, exec, s[6:7]
	s_cbranch_execz .LBB1_286
; %bb.10279:
	s_getpc_b64 s[14:15]
.Lpost_getpc1043:
	s_add_u32 s14, s14, (.LBB1_4384-.Lpost_getpc1043)&4294967295
	s_addc_u32 s15, s15, (.LBB1_4384-.Lpost_getpc1043)>>32
	s_setpc_b64 s[14:15]
.LBB1_286:
	s_or_b64 exec, exec, s[6:7]
	s_and_saveexec_b64 s[6:7], s[4:5]
	s_cbranch_execz .LBB1_288
.LBB1_287:
	v_bfe_u32 v16, v12, 24, 2
	v_ffbh_u32_e32 v25, v16
	v_min_u32_e32 v25, 32, v25
	v_lshrrev_b32_e32 v23, 26, v12
	v_subrev_u32_e32 v26, 29, v25
	v_and_b32_e32 v22, 0x80000000, v12
	v_and_b32_e32 v23, 31, v23
	v_bfe_u32 v24, v12, 26, 5
	v_lshlrev_b32_sdwa v12, v26, v12 dst_sel:DWORD dst_unused:UNUSED_PAD src0_sel:DWORD src1_sel:BYTE_3
	v_sub_u32_e32 v25, 30, v25
	v_and_b32_e32 v12, 3, v12
	v_cmp_eq_u16_e32 vcc, 0, v23
	v_cndmask_b32_e32 v12, v16, v12, vcc
	v_cndmask_b32_e32 v16, v24, v25, vcc
	v_mov_b32_e32 v23, 0x37800000
	v_lshlrev_b32_e32 v12, 21, v12
	v_lshl_add_u32 v16, v16, 23, v23
	v_or3_b32 v16, v22, v16, v12
.LBB1_288:
	s_or_b64 exec, exec, s[6:7]
	s_nop 0
	v_mfma_f32_16x16x4f32 a[0:3], v21, v16, a[0:3]
	s_movk_i32 s4, 0x7f
	v_cmp_gt_i16_sdwa s[6:7], v17, s4 src0_sel:BYTE_0 src1_sel:DWORD
	s_mov_b64 s[4:5], 0
                                        ; implicit-def: $sgpr10
	s_and_saveexec_b64 s[8:9], s[6:7]
	s_xor_b64 s[6:7], exec, s[8:9]
	s_cbranch_execz .LBB1_289
; %bb.10281:
	s_getpc_b64 s[14:15]
.Lpost_getpc1044:
	s_add_u32 s14, s14, (.LBB1_4385-.Lpost_getpc1044)&4294967295
	s_addc_u32 s15, s15, (.LBB1_4385-.Lpost_getpc1044)>>32
	s_setpc_b64 s[14:15]
.LBB1_289:
	s_or_saveexec_b64 s[6:7], s[6:7]
	v_mov_b32_e32 v12, s10
	s_xor_b64 exec, exec, s[6:7]
	s_cbranch_execz .LBB1_290
; %bb.10283:
	s_getpc_b64 s[14:15]
.Lpost_getpc1045:
	s_add_u32 s14, s14, (.LBB1_4388-.Lpost_getpc1045)&4294967295
	s_addc_u32 s15, s15, (.LBB1_4388-.Lpost_getpc1045)>>32
	s_setpc_b64 s[14:15]
.LBB1_290:
	s_or_b64 exec, exec, s[6:7]
	s_and_saveexec_b64 s[6:7], s[4:5]
	s_cbranch_execz .LBB1_292
.LBB1_291:
	v_and_b32_e32 v12, 7, v17
	v_ffbh_u32_e32 v21, v12
	v_min_u32_e32 v21, 32, v21
	v_lshrrev_b16_e32 v16, 3, v17
	v_subrev_u32_e32 v22, 28, v21
	v_and_b32_e32 v16, 15, v16
	v_lshlrev_b32_e32 v22, v22, v17
	v_sub_u32_e32 v21, 29, v21
	v_and_b32_e32 v22, 7, v22
	v_cmp_eq_u16_e32 vcc, 0, v16
	v_cndmask_b32_e32 v12, v12, v22, vcc
	v_cndmask_b32_e32 v16, v16, v21, vcc
	v_lshlrev_b32_e32 v21, 24, v17
	v_mov_b32_e32 v22, 0x3b800000
	v_lshlrev_b32_e32 v12, 20, v12
	v_and_b32_e32 v21, 0x80000000, v21
	v_lshl_add_u32 v16, v16, 23, v22
	v_or3_b32 v12, v21, v16, v12
.LBB1_292:
	s_or_b64 exec, exec, s[6:7]
	s_movk_i32 s4, 0x7f
	v_cmp_gt_i16_sdwa s[6:7], v13, s4 src0_sel:BYTE_0 src1_sel:DWORD
	s_mov_b64 s[4:5], 0
                                        ; implicit-def: $sgpr10
	s_and_saveexec_b64 s[8:9], s[6:7]
	s_xor_b64 s[6:7], exec, s[8:9]
	s_cbranch_execz .LBB1_293
; %bb.10285:
	s_getpc_b64 s[14:15]
.Lpost_getpc1046:
	s_add_u32 s14, s14, (.LBB1_4389-.Lpost_getpc1046)&4294967295
	s_addc_u32 s15, s15, (.LBB1_4389-.Lpost_getpc1046)>>32
	s_setpc_b64 s[14:15]
.LBB1_293:
	s_or_saveexec_b64 s[6:7], s[6:7]
	v_mov_b32_e32 v16, s10
	s_xor_b64 exec, exec, s[6:7]
	s_cbranch_execz .LBB1_294
; %bb.10287:
	s_getpc_b64 s[14:15]
.Lpost_getpc1047:
	s_add_u32 s14, s14, (.LBB1_4392-.Lpost_getpc1047)&4294967295
	s_addc_u32 s15, s15, (.LBB1_4392-.Lpost_getpc1047)>>32
	s_setpc_b64 s[14:15]
.LBB1_294:
	s_or_b64 exec, exec, s[6:7]
	s_and_saveexec_b64 s[6:7], s[4:5]
	s_cbranch_execz .LBB1_296
.LBB1_295:
	v_and_b32_e32 v16, 3, v13
	v_ffbh_u32_e32 v22, v16
	v_min_u32_e32 v22, 32, v22
	v_lshrrev_b16_e32 v21, 2, v13
	v_subrev_u32_e32 v23, 29, v22
	v_and_b32_e32 v21, 31, v21
	v_lshlrev_b32_e32 v23, v23, v13
	v_sub_u32_e32 v22, 30, v22
	v_and_b32_e32 v23, 3, v23
	v_cmp_eq_u16_e32 vcc, 0, v21
	v_cndmask_b32_e32 v16, v16, v23, vcc
	v_cndmask_b32_e32 v21, v21, v22, vcc
	v_lshlrev_b32_e32 v22, 24, v13
	v_mov_b32_e32 v23, 0x37800000
	v_lshlrev_b32_e32 v16, 21, v16
	v_and_b32_e32 v22, 0x80000000, v22
	v_lshl_add_u32 v21, v21, 23, v23
	v_or3_b32 v16, v22, v21, v16
.LBB1_296:
	s_or_b64 exec, exec, s[6:7]
	s_nop 0
	v_mfma_f32_16x16x4f32 a[0:3], v12, v16, a[0:3]
	v_lshrrev_b32_e32 v16, 8, v17
	s_movk_i32 s4, 0x7f
	v_cmp_gt_i16_sdwa s[6:7], v16, s4 src0_sel:BYTE_0 src1_sel:DWORD
	s_mov_b64 s[4:5], 0
                                        ; implicit-def: $sgpr10
	s_and_saveexec_b64 s[8:9], s[6:7]
	s_xor_b64 s[6:7], exec, s[8:9]
	s_cbranch_execz .LBB1_297
; %bb.10289:
	s_getpc_b64 s[14:15]
.Lpost_getpc1048:
	s_add_u32 s14, s14, (.LBB1_4393-.Lpost_getpc1048)&4294967295
	s_addc_u32 s15, s15, (.LBB1_4393-.Lpost_getpc1048)>>32
	s_setpc_b64 s[14:15]
.LBB1_297:
	s_or_saveexec_b64 s[6:7], s[6:7]
	v_mov_b32_e32 v12, s10
	s_xor_b64 exec, exec, s[6:7]
	s_cbranch_execz .LBB1_298
; %bb.10291:
	s_getpc_b64 s[14:15]
.Lpost_getpc1049:
	s_add_u32 s14, s14, (.LBB1_4396-.Lpost_getpc1049)&4294967295
	s_addc_u32 s15, s15, (.LBB1_4396-.Lpost_getpc1049)>>32
	s_setpc_b64 s[14:15]
.LBB1_298:
	s_or_b64 exec, exec, s[6:7]
	s_and_saveexec_b64 s[6:7], s[4:5]
	s_cbranch_execz .LBB1_300
.LBB1_299:
	v_bfe_u32 v12, v17, 8, 3
	v_ffbh_u32_e32 v22, v12
	v_min_u32_e32 v22, 32, v22
	v_lshrrev_b16_e32 v21, 3, v16
	v_subrev_u32_e32 v23, 28, v22
	v_and_b32_e32 v21, 15, v21
	v_lshlrev_b32_e32 v16, v23, v16
	v_sub_u32_e32 v22, 29, v22
	v_and_b32_e32 v16, 7, v16
	v_cmp_eq_u16_e32 vcc, 0, v21
	v_cndmask_b32_e32 v12, v12, v16, vcc
	v_cndmask_b32_e32 v16, v21, v22, vcc
	v_lshlrev_b32_e32 v21, 16, v17
	v_mov_b32_e32 v22, 0x3b800000
	v_lshlrev_b32_e32 v12, 20, v12
	v_and_b32_e32 v21, 0x80000000, v21
	v_lshl_add_u32 v16, v16, 23, v22
	v_or3_b32 v12, v21, v16, v12
.LBB1_300:
	s_or_b64 exec, exec, s[6:7]
	v_lshrrev_b32_e32 v16, 8, v13
	s_movk_i32 s4, 0x7f
	v_cmp_gt_i16_sdwa s[6:7], v16, s4 src0_sel:BYTE_0 src1_sel:DWORD
	s_mov_b64 s[4:5], 0
                                        ; implicit-def: $sgpr10
	s_and_saveexec_b64 s[8:9], s[6:7]
	s_xor_b64 s[6:7], exec, s[8:9]
	s_cbranch_execz .LBB1_301
; %bb.10293:
	s_getpc_b64 s[14:15]
.Lpost_getpc1050:
	s_add_u32 s14, s14, (.LBB1_4397-.Lpost_getpc1050)&4294967295
	s_addc_u32 s15, s15, (.LBB1_4397-.Lpost_getpc1050)>>32
	s_setpc_b64 s[14:15]
.LBB1_301:
	s_or_saveexec_b64 s[6:7], s[6:7]
	v_mov_b32_e32 v21, s10
	s_xor_b64 exec, exec, s[6:7]
	s_cbranch_execz .LBB1_302
; %bb.10295:
	s_getpc_b64 s[14:15]
.Lpost_getpc1051:
	s_add_u32 s14, s14, (.LBB1_4400-.Lpost_getpc1051)&4294967295
	s_addc_u32 s15, s15, (.LBB1_4400-.Lpost_getpc1051)>>32
	s_setpc_b64 s[14:15]
.LBB1_302:
	s_or_b64 exec, exec, s[6:7]
	s_and_saveexec_b64 s[6:7], s[4:5]
	s_cbranch_execz .LBB1_304
.LBB1_303:
	v_bfe_u32 v21, v13, 8, 2
	v_ffbh_u32_e32 v23, v21
	v_min_u32_e32 v23, 32, v23
	v_lshrrev_b16_e32 v22, 2, v16
	v_subrev_u32_e32 v24, 29, v23
	v_and_b32_e32 v22, 31, v22
	v_lshlrev_b32_e32 v16, v24, v16
	v_sub_u32_e32 v23, 30, v23
	v_and_b32_e32 v16, 3, v16
	v_cmp_eq_u16_e32 vcc, 0, v22
	v_cndmask_b32_e32 v16, v21, v16, vcc
	v_cndmask_b32_e32 v21, v22, v23, vcc
	v_lshlrev_b32_e32 v22, 16, v13
	v_mov_b32_e32 v23, 0x37800000
	v_lshlrev_b32_e32 v16, 21, v16
	v_and_b32_e32 v22, 0x80000000, v22
	v_lshl_add_u32 v21, v21, 23, v23
	v_or3_b32 v21, v22, v21, v16
.LBB1_304:
	s_or_b64 exec, exec, s[6:7]
	s_nop 0
	v_mfma_f32_16x16x4f32 a[0:3], v12, v21, a[0:3]
	s_movk_i32 s4, 0xff
	v_and_b32_sdwa v16, v17, s4 dst_sel:DWORD dst_unused:UNUSED_PAD src0_sel:WORD_1 src1_sel:DWORD
	s_movk_i32 s4, 0x7f
	v_cmp_lt_i16_e32 vcc, s4, v16
	s_mov_b64 s[4:5], 0
                                        ; implicit-def: $sgpr10
	s_and_saveexec_b64 s[6:7], vcc
	s_xor_b64 s[6:7], exec, s[6:7]
	s_cbranch_execz .LBB1_305
; %bb.10297:
	s_getpc_b64 s[14:15]
.Lpost_getpc1052:
	s_add_u32 s14, s14, (.LBB1_4401-.Lpost_getpc1052)&4294967295
	s_addc_u32 s15, s15, (.LBB1_4401-.Lpost_getpc1052)>>32
	s_setpc_b64 s[14:15]
.LBB1_305:
	s_or_saveexec_b64 s[6:7], s[6:7]
	v_mov_b32_e32 v12, s10
	s_xor_b64 exec, exec, s[6:7]
	s_cbranch_execz .LBB1_306
; %bb.10299:
	s_getpc_b64 s[14:15]
.Lpost_getpc1053:
	s_add_u32 s14, s14, (.LBB1_4404-.Lpost_getpc1053)&4294967295
	s_addc_u32 s15, s15, (.LBB1_4404-.Lpost_getpc1053)>>32
	s_setpc_b64 s[14:15]
.LBB1_306:
	s_or_b64 exec, exec, s[6:7]
	s_and_saveexec_b64 s[6:7], s[4:5]
	s_cbranch_execz .LBB1_308
.LBB1_307:
	v_bfe_u32 v12, v17, 16, 3
	v_ffbh_u32_e32 v22, v12
	v_min_u32_e32 v22, 32, v22
	v_lshrrev_b32_e32 v16, 19, v17
	v_subrev_u32_e32 v23, 28, v22
	v_and_b32_e32 v16, 15, v16
	v_lshlrev_b32_sdwa v23, v23, v17 dst_sel:DWORD dst_unused:UNUSED_PAD src0_sel:DWORD src1_sel:WORD_1
	v_bfe_u32 v21, v17, 19, 4
	v_sub_u32_e32 v22, 29, v22
	v_and_b32_e32 v23, 7, v23
	v_cmp_eq_u16_e32 vcc, 0, v16
	v_cndmask_b32_e32 v12, v12, v23, vcc
	v_cndmask_b32_e32 v16, v21, v22, vcc
	v_lshlrev_b32_e32 v21, 8, v17
	v_mov_b32_e32 v22, 0x3b800000
	v_lshlrev_b32_e32 v12, 20, v12
	v_and_b32_e32 v21, 0x80000000, v21
	v_lshl_add_u32 v16, v16, 23, v22
	v_or3_b32 v12, v21, v16, v12
.LBB1_308:
	s_or_b64 exec, exec, s[6:7]
	s_movk_i32 s4, 0xff
	v_and_b32_sdwa v16, v13, s4 dst_sel:DWORD dst_unused:UNUSED_PAD src0_sel:WORD_1 src1_sel:DWORD
	s_movk_i32 s4, 0x7f
	v_cmp_lt_i16_e32 vcc, s4, v16
	s_mov_b64 s[4:5], 0
                                        ; implicit-def: $sgpr10
	s_and_saveexec_b64 s[6:7], vcc
	s_xor_b64 s[6:7], exec, s[6:7]
	s_cbranch_execz .LBB1_309
; %bb.10301:
	s_getpc_b64 s[14:15]
.Lpost_getpc1054:
	s_add_u32 s14, s14, (.LBB1_4405-.Lpost_getpc1054)&4294967295
	s_addc_u32 s15, s15, (.LBB1_4405-.Lpost_getpc1054)>>32
	s_setpc_b64 s[14:15]
.LBB1_309:
	s_or_saveexec_b64 s[6:7], s[6:7]
	v_mov_b32_e32 v21, s10
	s_xor_b64 exec, exec, s[6:7]
	s_cbranch_execz .LBB1_310
; %bb.10303:
	s_getpc_b64 s[14:15]
.Lpost_getpc1055:
	s_add_u32 s14, s14, (.LBB1_4408-.Lpost_getpc1055)&4294967295
	s_addc_u32 s15, s15, (.LBB1_4408-.Lpost_getpc1055)>>32
	s_setpc_b64 s[14:15]
.LBB1_310:
	s_or_b64 exec, exec, s[6:7]
	s_and_saveexec_b64 s[6:7], s[4:5]
	s_cbranch_execz .LBB1_312
.LBB1_311:
	v_bfe_u32 v16, v13, 16, 2
	v_ffbh_u32_e32 v23, v16
	v_min_u32_e32 v23, 32, v23
	v_lshrrev_b32_e32 v21, 18, v13
	v_subrev_u32_e32 v24, 29, v23
	v_and_b32_e32 v21, 31, v21
	v_lshlrev_b32_sdwa v24, v24, v13 dst_sel:DWORD dst_unused:UNUSED_PAD src0_sel:DWORD src1_sel:WORD_1
	v_bfe_u32 v22, v13, 18, 5
	v_sub_u32_e32 v23, 30, v23
	v_and_b32_e32 v24, 3, v24
	v_cmp_eq_u16_e32 vcc, 0, v21
	v_cndmask_b32_e32 v16, v16, v24, vcc
	v_cndmask_b32_e32 v21, v22, v23, vcc
	v_lshlrev_b32_e32 v22, 8, v13
	v_mov_b32_e32 v23, 0x37800000
	v_lshlrev_b32_e32 v16, 21, v16
	v_and_b32_e32 v22, 0x80000000, v22
	v_lshl_add_u32 v21, v21, 23, v23
	v_or3_b32 v21, v22, v21, v16
.LBB1_312:
	s_or_b64 exec, exec, s[6:7]
	s_nop 0
	v_mfma_f32_16x16x4f32 a[0:3], v12, v21, a[0:3]
	s_movk_i32 s4, 0x7f
	v_cmp_gt_i16_sdwa s[6:7], v17, s4 src0_sel:BYTE_3 src1_sel:DWORD
	s_mov_b64 s[4:5], 0
                                        ; implicit-def: $sgpr10
	s_and_saveexec_b64 s[8:9], s[6:7]
	s_xor_b64 s[6:7], exec, s[8:9]
	s_cbranch_execz .LBB1_313
; %bb.10305:
	s_getpc_b64 s[14:15]
.Lpost_getpc1056:
	s_add_u32 s14, s14, (.LBB1_4409-.Lpost_getpc1056)&4294967295
	s_addc_u32 s15, s15, (.LBB1_4409-.Lpost_getpc1056)>>32
	s_setpc_b64 s[14:15]
.LBB1_313:
	s_or_saveexec_b64 s[6:7], s[6:7]
	v_mov_b32_e32 v12, s10
	s_xor_b64 exec, exec, s[6:7]
	s_cbranch_execz .LBB1_314
; %bb.10307:
	s_getpc_b64 s[14:15]
.Lpost_getpc1057:
	s_add_u32 s14, s14, (.LBB1_4412-.Lpost_getpc1057)&4294967295
	s_addc_u32 s15, s15, (.LBB1_4412-.Lpost_getpc1057)>>32
	s_setpc_b64 s[14:15]
.LBB1_314:
	s_or_b64 exec, exec, s[6:7]
	s_and_saveexec_b64 s[6:7], s[4:5]
	s_cbranch_execz .LBB1_316
.LBB1_315:
	v_bfe_u32 v12, v17, 24, 3
	v_ffbh_u32_e32 v23, v12
	v_min_u32_e32 v23, 32, v23
	v_lshrrev_b32_e32 v21, 27, v17
	v_subrev_u32_e32 v24, 28, v23
	v_and_b32_e32 v16, 0x80000000, v17
	v_and_b32_e32 v21, 15, v21
	v_bfe_u32 v22, v17, 27, 4
	v_lshlrev_b32_sdwa v17, v24, v17 dst_sel:DWORD dst_unused:UNUSED_PAD src0_sel:DWORD src1_sel:BYTE_3
	v_sub_u32_e32 v23, 29, v23
	v_and_b32_e32 v17, 7, v17
	v_cmp_eq_u16_e32 vcc, 0, v21
	v_cndmask_b32_e32 v12, v12, v17, vcc
	v_cndmask_b32_e32 v17, v22, v23, vcc
	v_mov_b32_e32 v21, 0x3b800000
	v_lshlrev_b32_e32 v12, 20, v12
	v_lshl_add_u32 v17, v17, 23, v21
	v_or3_b32 v12, v16, v17, v12
.LBB1_316:
	s_or_b64 exec, exec, s[6:7]
	s_movk_i32 s4, 0x7f
	v_cmp_gt_i16_sdwa s[6:7], v13, s4 src0_sel:BYTE_3 src1_sel:DWORD
	s_mov_b64 s[4:5], 0
                                        ; implicit-def: $sgpr10
	s_and_saveexec_b64 s[8:9], s[6:7]
	s_xor_b64 s[6:7], exec, s[8:9]
	s_cbranch_execz .LBB1_317
; %bb.10309:
	s_getpc_b64 s[14:15]
.Lpost_getpc1058:
	s_add_u32 s14, s14, (.LBB1_4413-.Lpost_getpc1058)&4294967295
	s_addc_u32 s15, s15, (.LBB1_4413-.Lpost_getpc1058)>>32
	s_setpc_b64 s[14:15]
.LBB1_317:
	s_or_saveexec_b64 s[6:7], s[6:7]
	v_mov_b32_e32 v16, s10
	s_xor_b64 exec, exec, s[6:7]
	s_cbranch_execz .LBB1_318
; %bb.10311:
	s_getpc_b64 s[14:15]
.Lpost_getpc1059:
	s_add_u32 s14, s14, (.LBB1_4416-.Lpost_getpc1059)&4294967295
	s_addc_u32 s15, s15, (.LBB1_4416-.Lpost_getpc1059)>>32
	s_setpc_b64 s[14:15]
.LBB1_318:
	s_or_b64 exec, exec, s[6:7]
	s_and_saveexec_b64 s[6:7], s[4:5]
	s_cbranch_execz .LBB1_320
.LBB1_319:
	v_bfe_u32 v16, v13, 24, 2
	v_ffbh_u32_e32 v23, v16
	v_min_u32_e32 v23, 32, v23
	v_lshrrev_b32_e32 v21, 26, v13
	v_subrev_u32_e32 v24, 29, v23
	v_and_b32_e32 v17, 0x80000000, v13
	v_and_b32_e32 v21, 31, v21
	v_bfe_u32 v22, v13, 26, 5
	v_lshlrev_b32_sdwa v13, v24, v13 dst_sel:DWORD dst_unused:UNUSED_PAD src0_sel:DWORD src1_sel:BYTE_3
	v_sub_u32_e32 v23, 30, v23
	v_and_b32_e32 v13, 3, v13
	v_cmp_eq_u16_e32 vcc, 0, v21
	v_cndmask_b32_e32 v13, v16, v13, vcc
	v_cndmask_b32_e32 v16, v22, v23, vcc
	v_mov_b32_e32 v21, 0x37800000
	v_lshlrev_b32_e32 v13, 21, v13
	v_lshl_add_u32 v16, v16, 23, v21
	v_or3_b32 v16, v17, v16, v13
.LBB1_320:
	s_or_b64 exec, exec, s[6:7]
	s_nop 0
	v_mfma_f32_16x16x4f32 a[0:3], v12, v16, a[0:3]
	s_movk_i32 s4, 0x7f
	v_cmp_gt_i16_sdwa s[6:7], v18, s4 src0_sel:BYTE_0 src1_sel:DWORD
	s_mov_b64 s[4:5], 0
                                        ; implicit-def: $sgpr10
	s_and_saveexec_b64 s[8:9], s[6:7]
	s_xor_b64 s[6:7], exec, s[8:9]
	s_cbranch_execz .LBB1_321
; %bb.10313:
	s_getpc_b64 s[14:15]
.Lpost_getpc1060:
	s_add_u32 s14, s14, (.LBB1_4417-.Lpost_getpc1060)&4294967295
	s_addc_u32 s15, s15, (.LBB1_4417-.Lpost_getpc1060)>>32
	s_setpc_b64 s[14:15]
.LBB1_321:
	s_or_saveexec_b64 s[6:7], s[6:7]
	v_mov_b32_e32 v13, s10
	s_xor_b64 exec, exec, s[6:7]
	s_cbranch_execz .LBB1_322
; %bb.10315:
	s_getpc_b64 s[14:15]
.Lpost_getpc1061:
	s_add_u32 s14, s14, (.LBB1_4420-.Lpost_getpc1061)&4294967295
	s_addc_u32 s15, s15, (.LBB1_4420-.Lpost_getpc1061)>>32
	s_setpc_b64 s[14:15]
.LBB1_322:
	s_or_b64 exec, exec, s[6:7]
	s_and_saveexec_b64 s[6:7], s[4:5]
	s_cbranch_execz .LBB1_324
.LBB1_323:
	v_and_b32_e32 v12, 7, v18
	v_ffbh_u32_e32 v16, v12
	v_min_u32_e32 v16, 32, v16
	v_lshrrev_b16_e32 v13, 3, v18
	v_subrev_u32_e32 v17, 28, v16
	v_and_b32_e32 v13, 15, v13
	v_lshlrev_b32_e32 v17, v17, v18
	v_sub_u32_e32 v16, 29, v16
	v_and_b32_e32 v17, 7, v17
	v_cmp_eq_u16_e32 vcc, 0, v13
	v_cndmask_b32_e32 v12, v12, v17, vcc
	v_cndmask_b32_e32 v13, v13, v16, vcc
	v_lshlrev_b32_e32 v16, 24, v18
	v_mov_b32_e32 v17, 0x3b800000
	v_lshlrev_b32_e32 v12, 20, v12
	v_and_b32_e32 v16, 0x80000000, v16
	v_lshl_add_u32 v13, v13, 23, v17
	v_or3_b32 v13, v16, v13, v12
.LBB1_324:
	s_or_b64 exec, exec, s[6:7]
	s_movk_i32 s4, 0xff
	v_mov_b32_e32 v12, 8
	v_or_b32_sdwa v16, v14, v20 dst_sel:DWORD dst_unused:UNUSED_PAD src0_sel:BYTE_0 src1_sel:DWORD
	v_lshlrev_b16_sdwa v12, v12, v14 dst_sel:DWORD dst_unused:UNUSED_PAD src0_sel:DWORD src1_sel:BYTE_3
	v_and_b32_sdwa v14, v14, s4 dst_sel:DWORD dst_unused:UNUSED_PAD src0_sel:WORD_1 src1_sel:DWORD
	s_movk_i32 s4, 0x7f
	v_or_b32_sdwa v12, v14, v12 dst_sel:WORD_1 dst_unused:UNUSED_PAD src0_sel:DWORD src1_sel:DWORD
	v_cmp_gt_i16_sdwa s[6:7], v16, s4 src0_sel:BYTE_0 src1_sel:DWORD
	s_mov_b64 s[4:5], 0
                                        ; implicit-def: $sgpr10
	s_and_saveexec_b64 s[8:9], s[6:7]
	s_xor_b64 s[6:7], exec, s[8:9]
	s_cbranch_execz .LBB1_325
; %bb.10317:
	s_getpc_b64 s[14:15]
.Lpost_getpc1062:
	s_add_u32 s14, s14, (.LBB1_4421-.Lpost_getpc1062)&4294967295
	s_addc_u32 s15, s15, (.LBB1_4421-.Lpost_getpc1062)>>32
	s_setpc_b64 s[14:15]
.LBB1_325:
	s_or_saveexec_b64 s[6:7], s[6:7]
	v_mov_b32_e32 v14, s10
	s_xor_b64 exec, exec, s[6:7]
	s_cbranch_execz .LBB1_326
; %bb.10319:
	s_getpc_b64 s[14:15]
.Lpost_getpc1063:
	s_add_u32 s14, s14, (.LBB1_4424-.Lpost_getpc1063)&4294967295
	s_addc_u32 s15, s15, (.LBB1_4424-.Lpost_getpc1063)>>32
	s_setpc_b64 s[14:15]
.LBB1_326:
	s_or_b64 exec, exec, s[6:7]
	v_or_b32_sdwa v12, v16, v12 dst_sel:DWORD dst_unused:UNUSED_PAD src0_sel:WORD_0 src1_sel:DWORD
	s_and_saveexec_b64 s[6:7], s[4:5]
	s_cbranch_execz .LBB1_328
.LBB1_327:
	v_and_b32_e32 v14, 3, v12
	v_ffbh_u32_e32 v17, v14
	v_min_u32_e32 v17, 32, v17
	v_lshrrev_b16_e32 v16, 2, v16
	v_subrev_u32_e32 v20, 29, v17
	v_and_b32_e32 v16, 31, v16
	v_lshlrev_b32_e32 v20, v20, v12
	v_sub_u32_e32 v17, 30, v17
	v_and_b32_e32 v20, 3, v20
	v_cmp_eq_u16_e32 vcc, 0, v16
	v_cndmask_b32_e32 v14, v14, v20, vcc
	v_cndmask_b32_e32 v16, v16, v17, vcc
	v_lshlrev_b32_e32 v17, 24, v12
	v_mov_b32_e32 v20, 0x37800000
	v_lshlrev_b32_e32 v14, 21, v14
	v_and_b32_e32 v17, 0x80000000, v17
	v_lshl_add_u32 v16, v16, 23, v20
	v_or3_b32 v14, v17, v16, v14
.LBB1_328:
	s_or_b64 exec, exec, s[6:7]
	s_nop 0
	v_mfma_f32_16x16x4f32 a[0:3], v13, v14, a[0:3]
	v_lshrrev_b32_e32 v14, 8, v18
	s_movk_i32 s4, 0x7f
	v_cmp_gt_i16_sdwa s[6:7], v14, s4 src0_sel:BYTE_0 src1_sel:DWORD
	s_mov_b64 s[4:5], 0
                                        ; implicit-def: $sgpr10
	s_and_saveexec_b64 s[8:9], s[6:7]
	s_xor_b64 s[6:7], exec, s[8:9]
	s_cbranch_execz .LBB1_329
; %bb.10321:
	s_getpc_b64 s[14:15]
.Lpost_getpc1064:
	s_add_u32 s14, s14, (.LBB1_4425-.Lpost_getpc1064)&4294967295
	s_addc_u32 s15, s15, (.LBB1_4425-.Lpost_getpc1064)>>32
	s_setpc_b64 s[14:15]
.LBB1_329:
	s_or_saveexec_b64 s[6:7], s[6:7]
	v_mov_b32_e32 v13, s10
	s_xor_b64 exec, exec, s[6:7]
	s_cbranch_execz .LBB1_330
; %bb.10323:
	s_getpc_b64 s[14:15]
.Lpost_getpc1065:
	s_add_u32 s14, s14, (.LBB1_4428-.Lpost_getpc1065)&4294967295
	s_addc_u32 s15, s15, (.LBB1_4428-.Lpost_getpc1065)>>32
	s_setpc_b64 s[14:15]
.LBB1_330:
	s_or_b64 exec, exec, s[6:7]
	s_and_saveexec_b64 s[6:7], s[4:5]
	s_cbranch_execz .LBB1_332
.LBB1_331:
	v_bfe_u32 v13, v18, 8, 3
	v_ffbh_u32_e32 v17, v13
	v_min_u32_e32 v17, 32, v17
	v_lshrrev_b16_e32 v16, 3, v14
	v_subrev_u32_e32 v20, 28, v17
	v_and_b32_e32 v16, 15, v16
	v_lshlrev_b32_e32 v14, v20, v14
	v_sub_u32_e32 v17, 29, v17
	v_and_b32_e32 v14, 7, v14
	v_cmp_eq_u16_e32 vcc, 0, v16
	v_cndmask_b32_e32 v13, v13, v14, vcc
	v_cndmask_b32_e32 v14, v16, v17, vcc
	v_lshlrev_b32_e32 v16, 16, v18
	v_mov_b32_e32 v17, 0x3b800000
	v_lshlrev_b32_e32 v13, 20, v13
	v_and_b32_e32 v16, 0x80000000, v16
	v_lshl_add_u32 v14, v14, 23, v17
	v_or3_b32 v13, v16, v14, v13
.LBB1_332:
	s_or_b64 exec, exec, s[6:7]
	v_lshrrev_b32_e32 v14, 8, v12
	s_movk_i32 s4, 0x7f
	v_cmp_gt_i16_sdwa s[6:7], v14, s4 src0_sel:BYTE_0 src1_sel:DWORD
	s_mov_b64 s[4:5], 0
                                        ; implicit-def: $sgpr10
	s_and_saveexec_b64 s[8:9], s[6:7]
	s_xor_b64 s[6:7], exec, s[8:9]
	s_cbranch_execz .LBB1_333
; %bb.10325:
	s_getpc_b64 s[14:15]
.Lpost_getpc1066:
	s_add_u32 s14, s14, (.LBB1_4429-.Lpost_getpc1066)&4294967295
	s_addc_u32 s15, s15, (.LBB1_4429-.Lpost_getpc1066)>>32
	s_setpc_b64 s[14:15]
.LBB1_333:
	s_or_saveexec_b64 s[6:7], s[6:7]
	v_mov_b32_e32 v16, s10
	s_xor_b64 exec, exec, s[6:7]
	s_cbranch_execz .LBB1_334
; %bb.10327:
	s_getpc_b64 s[14:15]
.Lpost_getpc1067:
	s_add_u32 s14, s14, (.LBB1_4432-.Lpost_getpc1067)&4294967295
	s_addc_u32 s15, s15, (.LBB1_4432-.Lpost_getpc1067)>>32
	s_setpc_b64 s[14:15]
.LBB1_334:
	s_or_b64 exec, exec, s[6:7]
	s_and_saveexec_b64 s[6:7], s[4:5]
	s_cbranch_execz .LBB1_336
.LBB1_335:
	v_bfe_u32 v16, v12, 8, 2
	v_ffbh_u32_e32 v20, v16
	v_min_u32_e32 v20, 32, v20
	v_lshrrev_b16_e32 v17, 2, v14
	v_subrev_u32_e32 v21, 29, v20
	v_and_b32_e32 v17, 31, v17
	v_lshlrev_b32_e32 v14, v21, v14
	v_sub_u32_e32 v20, 30, v20
	v_and_b32_e32 v14, 3, v14
	v_cmp_eq_u16_e32 vcc, 0, v17
	v_cndmask_b32_e32 v14, v16, v14, vcc
	v_cndmask_b32_e32 v16, v17, v20, vcc
	v_lshlrev_b32_e32 v17, 16, v12
	v_mov_b32_e32 v20, 0x37800000
	v_lshlrev_b32_e32 v14, 21, v14
	v_and_b32_e32 v17, 0x80000000, v17
	v_lshl_add_u32 v16, v16, 23, v20
	v_or3_b32 v16, v17, v16, v14
.LBB1_336:
	s_or_b64 exec, exec, s[6:7]
	s_nop 0
	v_mfma_f32_16x16x4f32 a[0:3], v13, v16, a[0:3]
	s_movk_i32 s4, 0xff
	v_and_b32_sdwa v14, v18, s4 dst_sel:DWORD dst_unused:UNUSED_PAD src0_sel:WORD_1 src1_sel:DWORD
	s_movk_i32 s4, 0x7f
	v_cmp_lt_i16_e32 vcc, s4, v14
	s_mov_b64 s[4:5], 0
                                        ; implicit-def: $sgpr10
	s_and_saveexec_b64 s[6:7], vcc
	s_xor_b64 s[6:7], exec, s[6:7]
	s_cbranch_execz .LBB1_337
; %bb.10329:
	s_getpc_b64 s[14:15]
.Lpost_getpc1068:
	s_add_u32 s14, s14, (.LBB1_4433-.Lpost_getpc1068)&4294967295
	s_addc_u32 s15, s15, (.LBB1_4433-.Lpost_getpc1068)>>32
	s_setpc_b64 s[14:15]
.LBB1_337:
	s_or_saveexec_b64 s[6:7], s[6:7]
	v_mov_b32_e32 v13, s10
	s_xor_b64 exec, exec, s[6:7]
	s_cbranch_execz .LBB1_338
; %bb.10331:
	s_getpc_b64 s[14:15]
.Lpost_getpc1069:
	s_add_u32 s14, s14, (.LBB1_4436-.Lpost_getpc1069)&4294967295
	s_addc_u32 s15, s15, (.LBB1_4436-.Lpost_getpc1069)>>32
	s_setpc_b64 s[14:15]
.LBB1_338:
	s_or_b64 exec, exec, s[6:7]
	s_and_saveexec_b64 s[6:7], s[4:5]
	s_cbranch_execz .LBB1_340
.LBB1_339:
	v_bfe_u32 v13, v18, 16, 3
	v_ffbh_u32_e32 v17, v13
	v_min_u32_e32 v17, 32, v17
	v_lshrrev_b32_e32 v14, 19, v18
	v_subrev_u32_e32 v20, 28, v17
	v_and_b32_e32 v14, 15, v14
	v_lshlrev_b32_sdwa v20, v20, v18 dst_sel:DWORD dst_unused:UNUSED_PAD src0_sel:DWORD src1_sel:WORD_1
	v_bfe_u32 v16, v18, 19, 4
	v_sub_u32_e32 v17, 29, v17
	v_and_b32_e32 v20, 7, v20
	v_cmp_eq_u16_e32 vcc, 0, v14
	v_cndmask_b32_e32 v13, v13, v20, vcc
	v_cndmask_b32_e32 v14, v16, v17, vcc
	v_lshlrev_b32_e32 v16, 8, v18
	v_mov_b32_e32 v17, 0x3b800000
	v_lshlrev_b32_e32 v13, 20, v13
	v_and_b32_e32 v16, 0x80000000, v16
	v_lshl_add_u32 v14, v14, 23, v17
	v_or3_b32 v13, v16, v14, v13
.LBB1_340:
	s_or_b64 exec, exec, s[6:7]
	s_movk_i32 s4, 0xff
	v_and_b32_sdwa v14, v12, s4 dst_sel:DWORD dst_unused:UNUSED_PAD src0_sel:WORD_1 src1_sel:DWORD
	s_movk_i32 s4, 0x7f
	v_cmp_lt_i16_e32 vcc, s4, v14
	s_mov_b64 s[4:5], 0
                                        ; implicit-def: $sgpr10
	s_and_saveexec_b64 s[6:7], vcc
	s_xor_b64 s[6:7], exec, s[6:7]
	s_cbranch_execz .LBB1_341
; %bb.10333:
	s_getpc_b64 s[14:15]
.Lpost_getpc1070:
	s_add_u32 s14, s14, (.LBB1_4437-.Lpost_getpc1070)&4294967295
	s_addc_u32 s15, s15, (.LBB1_4437-.Lpost_getpc1070)>>32
	s_setpc_b64 s[14:15]
.LBB1_341:
	s_or_saveexec_b64 s[6:7], s[6:7]
	v_mov_b32_e32 v16, s10
	s_xor_b64 exec, exec, s[6:7]
	s_cbranch_execz .LBB1_342
; %bb.10335:
	s_getpc_b64 s[14:15]
.Lpost_getpc1071:
	s_add_u32 s14, s14, (.LBB1_4440-.Lpost_getpc1071)&4294967295
	s_addc_u32 s15, s15, (.LBB1_4440-.Lpost_getpc1071)>>32
	s_setpc_b64 s[14:15]
.LBB1_342:
	s_or_b64 exec, exec, s[6:7]
	s_and_saveexec_b64 s[6:7], s[4:5]
	s_cbranch_execz .LBB1_344
.LBB1_343:
	v_bfe_u32 v14, v12, 16, 2
	v_ffbh_u32_e32 v20, v14
	v_min_u32_e32 v20, 32, v20
	v_lshrrev_b32_e32 v16, 18, v12
	v_subrev_u32_e32 v21, 29, v20
	v_and_b32_e32 v16, 31, v16
	v_lshlrev_b32_sdwa v21, v21, v12 dst_sel:DWORD dst_unused:UNUSED_PAD src0_sel:DWORD src1_sel:WORD_1
	v_bfe_u32 v17, v12, 18, 5
	v_sub_u32_e32 v20, 30, v20
	v_and_b32_e32 v21, 3, v21
	v_cmp_eq_u16_e32 vcc, 0, v16
	v_cndmask_b32_e32 v14, v14, v21, vcc
	v_cndmask_b32_e32 v16, v17, v20, vcc
	v_lshlrev_b32_e32 v17, 8, v12
	v_mov_b32_e32 v20, 0x37800000
	v_lshlrev_b32_e32 v14, 21, v14
	v_and_b32_e32 v17, 0x80000000, v17
	v_lshl_add_u32 v16, v16, 23, v20
	v_or3_b32 v16, v17, v16, v14
.LBB1_344:
	s_or_b64 exec, exec, s[6:7]
	s_nop 0
	v_mfma_f32_16x16x4f32 a[0:3], v13, v16, a[0:3]
	s_movk_i32 s4, 0x7f
	v_cmp_gt_i16_sdwa s[6:7], v18, s4 src0_sel:BYTE_3 src1_sel:DWORD
	s_mov_b64 s[4:5], 0
                                        ; implicit-def: $sgpr10
	s_and_saveexec_b64 s[8:9], s[6:7]
	s_xor_b64 s[6:7], exec, s[8:9]
	s_cbranch_execz .LBB1_345
; %bb.10337:
	s_getpc_b64 s[14:15]
.Lpost_getpc1072:
	s_add_u32 s14, s14, (.LBB1_4441-.Lpost_getpc1072)&4294967295
	s_addc_u32 s15, s15, (.LBB1_4441-.Lpost_getpc1072)>>32
	s_setpc_b64 s[14:15]
.LBB1_345:
	s_or_saveexec_b64 s[6:7], s[6:7]
	v_mov_b32_e32 v13, s10
	s_xor_b64 exec, exec, s[6:7]
	s_cbranch_execz .LBB1_346
; %bb.10339:
	s_getpc_b64 s[14:15]
.Lpost_getpc1073:
	s_add_u32 s14, s14, (.LBB1_4444-.Lpost_getpc1073)&4294967295
	s_addc_u32 s15, s15, (.LBB1_4444-.Lpost_getpc1073)>>32
	s_setpc_b64 s[14:15]
.LBB1_346:
	s_or_b64 exec, exec, s[6:7]
	s_and_saveexec_b64 s[6:7], s[4:5]
	s_cbranch_execz .LBB1_348
.LBB1_347:
	v_bfe_u32 v13, v18, 24, 3
	v_ffbh_u32_e32 v20, v13
	v_min_u32_e32 v20, 32, v20
	v_lshrrev_b32_e32 v16, 27, v18
	v_subrev_u32_e32 v21, 28, v20
	v_and_b32_e32 v14, 0x80000000, v18
	v_and_b32_e32 v16, 15, v16
	v_bfe_u32 v17, v18, 27, 4
	v_lshlrev_b32_sdwa v18, v21, v18 dst_sel:DWORD dst_unused:UNUSED_PAD src0_sel:DWORD src1_sel:BYTE_3
	v_sub_u32_e32 v20, 29, v20
	v_and_b32_e32 v18, 7, v18
	v_cmp_eq_u16_e32 vcc, 0, v16
	v_cndmask_b32_e32 v13, v13, v18, vcc
	v_cndmask_b32_e32 v16, v17, v20, vcc
	v_mov_b32_e32 v17, 0x3b800000
	v_lshlrev_b32_e32 v13, 20, v13
	v_lshl_add_u32 v16, v16, 23, v17
	v_or3_b32 v13, v14, v16, v13
.LBB1_348:
	s_or_b64 exec, exec, s[6:7]
	s_movk_i32 s4, 0x7f
	v_cmp_gt_i16_sdwa s[6:7], v12, s4 src0_sel:BYTE_3 src1_sel:DWORD
	s_mov_b64 s[4:5], 0
                                        ; implicit-def: $sgpr10
	s_and_saveexec_b64 s[8:9], s[6:7]
	s_xor_b64 s[6:7], exec, s[8:9]
	s_cbranch_execz .LBB1_349
; %bb.10341:
	s_getpc_b64 s[14:15]
.Lpost_getpc1074:
	s_add_u32 s14, s14, (.LBB1_4445-.Lpost_getpc1074)&4294967295
	s_addc_u32 s15, s15, (.LBB1_4445-.Lpost_getpc1074)>>32
	s_setpc_b64 s[14:15]
.LBB1_349:
	s_or_saveexec_b64 s[6:7], s[6:7]
	v_mov_b32_e32 v14, s10
	s_xor_b64 exec, exec, s[6:7]
	s_cbranch_execz .LBB1_350
; %bb.10343:
	s_getpc_b64 s[14:15]
.Lpost_getpc1075:
	s_add_u32 s14, s14, (.LBB1_4448-.Lpost_getpc1075)&4294967295
	s_addc_u32 s15, s15, (.LBB1_4448-.Lpost_getpc1075)>>32
	s_setpc_b64 s[14:15]
.LBB1_350:
	s_or_b64 exec, exec, s[6:7]
	s_and_saveexec_b64 s[6:7], s[4:5]
	s_cbranch_execz .LBB1_352
.LBB1_351:
	v_bfe_u32 v14, v12, 24, 2
	v_ffbh_u32_e32 v20, v14
	v_min_u32_e32 v20, 32, v20
	v_lshrrev_b32_e32 v17, 26, v12
	v_subrev_u32_e32 v21, 29, v20
	v_and_b32_e32 v16, 0x80000000, v12
	v_and_b32_e32 v17, 31, v17
	v_bfe_u32 v18, v12, 26, 5
	v_lshlrev_b32_sdwa v12, v21, v12 dst_sel:DWORD dst_unused:UNUSED_PAD src0_sel:DWORD src1_sel:BYTE_3
	v_sub_u32_e32 v20, 30, v20
	v_and_b32_e32 v12, 3, v12
	v_cmp_eq_u16_e32 vcc, 0, v17
	v_cndmask_b32_e32 v12, v14, v12, vcc
	v_cndmask_b32_e32 v14, v18, v20, vcc
	v_mov_b32_e32 v17, 0x37800000
	v_lshlrev_b32_e32 v12, 21, v12
	v_lshl_add_u32 v14, v14, 23, v17
	v_or3_b32 v14, v16, v14, v12
.LBB1_352:
	s_or_b64 exec, exec, s[6:7]
	s_nop 0
	v_mfma_f32_16x16x4f32 a[0:3], v13, v14, a[0:3]
	s_movk_i32 s4, 0x7f
	v_cmp_gt_i16_sdwa s[6:7], v19, s4 src0_sel:BYTE_0 src1_sel:DWORD
	s_mov_b64 s[4:5], 0
                                        ; implicit-def: $sgpr10
	s_and_saveexec_b64 s[8:9], s[6:7]
	s_xor_b64 s[6:7], exec, s[8:9]
	s_cbranch_execz .LBB1_353
; %bb.10345:
	s_getpc_b64 s[14:15]
.Lpost_getpc1076:
	s_add_u32 s14, s14, (.LBB1_4449-.Lpost_getpc1076)&4294967295
	s_addc_u32 s15, s15, (.LBB1_4449-.Lpost_getpc1076)>>32
	s_setpc_b64 s[14:15]
.LBB1_353:
	s_or_saveexec_b64 s[6:7], s[6:7]
	v_mov_b32_e32 v12, s10
	s_xor_b64 exec, exec, s[6:7]
	s_cbranch_execz .LBB1_354
; %bb.10347:
	s_getpc_b64 s[14:15]
.Lpost_getpc1077:
	s_add_u32 s14, s14, (.LBB1_4452-.Lpost_getpc1077)&4294967295
	s_addc_u32 s15, s15, (.LBB1_4452-.Lpost_getpc1077)>>32
	s_setpc_b64 s[14:15]
.LBB1_354:
	s_or_b64 exec, exec, s[6:7]
	s_and_saveexec_b64 s[6:7], s[4:5]
	s_cbranch_execz .LBB1_356
.LBB1_355:
	v_mov_b32_e32 v12, 8
	v_and_b32_e32 v13, 7, v19
	v_lshrrev_b32_sdwa v12, v12, v19 dst_sel:BYTE_1 dst_unused:UNUSED_PAD src0_sel:DWORD src1_sel:DWORD
	v_ffbh_u32_e32 v14, v13
	v_or_b32_sdwa v12, v19, v12 dst_sel:DWORD dst_unused:UNUSED_PAD src0_sel:BYTE_0 src1_sel:DWORD
	v_min_u32_e32 v14, 32, v14
	v_lshrrev_b16_e32 v12, 3, v12
	v_subrev_u32_e32 v16, 28, v14
	v_and_b32_e32 v12, 15, v12
	v_lshlrev_b32_e32 v16, v16, v19
	v_sub_u32_e32 v14, 29, v14
	v_and_b32_e32 v16, 7, v16
	v_cmp_eq_u16_e32 vcc, 0, v12
	v_cndmask_b32_e32 v13, v13, v16, vcc
	v_cndmask_b32_e32 v12, v12, v14, vcc
	v_lshlrev_b32_e32 v14, 24, v19
	v_mov_b32_e32 v16, 0x3b800000
	v_lshlrev_b32_e32 v13, 20, v13
	v_and_b32_e32 v14, 0x80000000, v14
	v_lshl_add_u32 v12, v12, 23, v16
	v_or3_b32 v12, v14, v12, v13
.LBB1_356:
	s_or_b64 exec, exec, s[6:7]
	s_movk_i32 s4, 0x7f
	v_cmp_gt_i16_sdwa s[6:7], v15, s4 src0_sel:BYTE_0 src1_sel:DWORD
	s_mov_b64 s[4:5], 0
                                        ; implicit-def: $sgpr10
	s_and_saveexec_b64 s[8:9], s[6:7]
	s_xor_b64 s[6:7], exec, s[8:9]
	s_cbranch_execz .LBB1_357
; %bb.10349:
	s_getpc_b64 s[14:15]
.Lpost_getpc1078:
	s_add_u32 s14, s14, (.LBB1_4453-.Lpost_getpc1078)&4294967295
	s_addc_u32 s15, s15, (.LBB1_4453-.Lpost_getpc1078)>>32
	s_setpc_b64 s[14:15]
.LBB1_357:
	s_or_saveexec_b64 s[6:7], s[6:7]
	v_mov_b32_e32 v13, s10
	s_xor_b64 exec, exec, s[6:7]
	s_cbranch_execz .LBB1_358
; %bb.10351:
	s_getpc_b64 s[14:15]
.Lpost_getpc1079:
	s_add_u32 s14, s14, (.LBB1_4456-.Lpost_getpc1079)&4294967295
	s_addc_u32 s15, s15, (.LBB1_4456-.Lpost_getpc1079)>>32
	s_setpc_b64 s[14:15]
.LBB1_358:
	s_or_b64 exec, exec, s[6:7]
	s_and_saveexec_b64 s[6:7], s[4:5]
	s_cbranch_execz .LBB1_360
.LBB1_359:
	v_and_b32_e32 v13, 3, v15
	v_ffbh_u32_e32 v16, v13
	v_min_u32_e32 v16, 32, v16
	v_lshrrev_b16_e32 v14, 2, v15
	v_subrev_u32_e32 v17, 29, v16
	v_and_b32_e32 v14, 31, v14
	v_lshlrev_b32_e32 v17, v17, v15
	v_sub_u32_e32 v16, 30, v16
	v_and_b32_e32 v17, 3, v17
	v_cmp_eq_u16_e32 vcc, 0, v14
	v_cndmask_b32_e32 v13, v13, v17, vcc
	v_cndmask_b32_e32 v14, v14, v16, vcc
	v_lshlrev_b32_e32 v16, 24, v15
	v_mov_b32_e32 v17, 0x37800000
	v_lshlrev_b32_e32 v13, 21, v13
	v_and_b32_e32 v16, 0x80000000, v16
	v_lshl_add_u32 v14, v14, 23, v17
	v_or3_b32 v13, v16, v14, v13
.LBB1_360:
	s_or_b64 exec, exec, s[6:7]
	s_nop 0
	v_mfma_f32_16x16x4f32 a[0:3], v12, v13, a[0:3]
	v_lshrrev_b32_e32 v13, 8, v19
	s_movk_i32 s4, 0x7f
	v_cmp_gt_i16_sdwa s[6:7], v13, s4 src0_sel:BYTE_0 src1_sel:DWORD
	s_mov_b64 s[4:5], 0
                                        ; implicit-def: $sgpr10
	s_and_saveexec_b64 s[8:9], s[6:7]
	s_xor_b64 s[6:7], exec, s[8:9]
	s_cbranch_execz .LBB1_361
; %bb.10353:
	s_getpc_b64 s[14:15]
.Lpost_getpc1080:
	s_add_u32 s14, s14, (.LBB1_4457-.Lpost_getpc1080)&4294967295
	s_addc_u32 s15, s15, (.LBB1_4457-.Lpost_getpc1080)>>32
	s_setpc_b64 s[14:15]
.LBB1_361:
	s_or_saveexec_b64 s[6:7], s[6:7]
	v_mov_b32_e32 v12, s10
	s_xor_b64 exec, exec, s[6:7]
	s_cbranch_execz .LBB1_362
; %bb.10355:
	s_getpc_b64 s[14:15]
.Lpost_getpc1081:
	s_add_u32 s14, s14, (.LBB1_4460-.Lpost_getpc1081)&4294967295
	s_addc_u32 s15, s15, (.LBB1_4460-.Lpost_getpc1081)>>32
	s_setpc_b64 s[14:15]
.LBB1_362:
	s_or_b64 exec, exec, s[6:7]
	s_and_saveexec_b64 s[6:7], s[4:5]
	s_cbranch_execz .LBB1_364
.LBB1_363:
	v_bfe_u32 v12, v19, 8, 3
	v_ffbh_u32_e32 v16, v12
	v_min_u32_e32 v16, 32, v16
	v_lshrrev_b16_e32 v14, 3, v13
	v_subrev_u32_e32 v17, 28, v16
	v_and_b32_e32 v14, 15, v14
	v_lshlrev_b32_e32 v13, v17, v13
	v_sub_u32_e32 v16, 29, v16
	v_and_b32_e32 v13, 7, v13
	v_cmp_eq_u16_e32 vcc, 0, v14
	v_cndmask_b32_e32 v12, v12, v13, vcc
	v_cndmask_b32_e32 v13, v14, v16, vcc
	v_lshlrev_b32_e32 v14, 16, v19
	v_mov_b32_e32 v16, 0x3b800000
	v_lshlrev_b32_e32 v12, 20, v12
	v_and_b32_e32 v14, 0x80000000, v14
	v_lshl_add_u32 v13, v13, 23, v16
	v_or3_b32 v12, v14, v13, v12
.LBB1_364:
	s_or_b64 exec, exec, s[6:7]
	v_lshrrev_b32_e32 v13, 8, v15
	s_movk_i32 s4, 0x7f
	v_cmp_gt_i16_sdwa s[6:7], v13, s4 src0_sel:BYTE_0 src1_sel:DWORD
	s_mov_b64 s[4:5], 0
                                        ; implicit-def: $sgpr10
	s_and_saveexec_b64 s[8:9], s[6:7]
	s_xor_b64 s[6:7], exec, s[8:9]
	s_cbranch_execz .LBB1_365
; %bb.10357:
	s_getpc_b64 s[14:15]
.Lpost_getpc1082:
	s_add_u32 s14, s14, (.LBB1_4461-.Lpost_getpc1082)&4294967295
	s_addc_u32 s15, s15, (.LBB1_4461-.Lpost_getpc1082)>>32
	s_setpc_b64 s[14:15]
.LBB1_365:
	s_or_saveexec_b64 s[6:7], s[6:7]
	v_mov_b32_e32 v14, s10
	s_xor_b64 exec, exec, s[6:7]
	s_cbranch_execz .LBB1_366
; %bb.10359:
	s_getpc_b64 s[14:15]
.Lpost_getpc1083:
	s_add_u32 s14, s14, (.LBB1_4464-.Lpost_getpc1083)&4294967295
	s_addc_u32 s15, s15, (.LBB1_4464-.Lpost_getpc1083)>>32
	s_setpc_b64 s[14:15]
.LBB1_366:
	s_or_b64 exec, exec, s[6:7]
	s_and_saveexec_b64 s[6:7], s[4:5]
	s_cbranch_execz .LBB1_368
.LBB1_367:
	v_bfe_u32 v14, v15, 8, 2
	v_ffbh_u32_e32 v17, v14
	v_min_u32_e32 v17, 32, v17
	v_lshrrev_b16_e32 v16, 2, v13
	v_subrev_u32_e32 v18, 29, v17
	v_and_b32_e32 v16, 31, v16
	v_lshlrev_b32_e32 v13, v18, v13
	v_sub_u32_e32 v17, 30, v17
	v_and_b32_e32 v13, 3, v13
	v_cmp_eq_u16_e32 vcc, 0, v16
	v_cndmask_b32_e32 v13, v14, v13, vcc
	v_cndmask_b32_e32 v14, v16, v17, vcc
	v_lshlrev_b32_e32 v16, 16, v15
	v_mov_b32_e32 v17, 0x37800000
	v_lshlrev_b32_e32 v13, 21, v13
	v_and_b32_e32 v16, 0x80000000, v16
	v_lshl_add_u32 v14, v14, 23, v17
	v_or3_b32 v14, v16, v14, v13
.LBB1_368:
	s_or_b64 exec, exec, s[6:7]
	s_nop 0
	v_mfma_f32_16x16x4f32 a[0:3], v12, v14, a[0:3]
	s_movk_i32 s4, 0xff
	v_and_b32_sdwa v13, v19, s4 dst_sel:DWORD dst_unused:UNUSED_PAD src0_sel:WORD_1 src1_sel:DWORD
	s_movk_i32 s4, 0x7f
	v_cmp_lt_i16_e32 vcc, s4, v13
	s_mov_b64 s[4:5], 0
                                        ; implicit-def: $sgpr10
	s_and_saveexec_b64 s[6:7], vcc
	s_xor_b64 s[6:7], exec, s[6:7]
	s_cbranch_execz .LBB1_369
; %bb.10361:
	s_getpc_b64 s[14:15]
.Lpost_getpc1084:
	s_add_u32 s14, s14, (.LBB1_4465-.Lpost_getpc1084)&4294967295
	s_addc_u32 s15, s15, (.LBB1_4465-.Lpost_getpc1084)>>32
	s_setpc_b64 s[14:15]
.LBB1_369:
	s_or_saveexec_b64 s[6:7], s[6:7]
	v_mov_b32_e32 v12, s10
	s_xor_b64 exec, exec, s[6:7]
	s_cbranch_execz .LBB1_370
; %bb.10363:
	s_getpc_b64 s[14:15]
.Lpost_getpc1085:
	s_add_u32 s14, s14, (.LBB1_4468-.Lpost_getpc1085)&4294967295
	s_addc_u32 s15, s15, (.LBB1_4468-.Lpost_getpc1085)>>32
	s_setpc_b64 s[14:15]
.LBB1_370:
	s_or_b64 exec, exec, s[6:7]
	s_and_saveexec_b64 s[6:7], s[4:5]
	s_cbranch_execz .LBB1_372
.LBB1_371:
	v_bfe_u32 v12, v19, 16, 3
	v_ffbh_u32_e32 v16, v12
	v_min_u32_e32 v16, 32, v16
	v_lshrrev_b32_e32 v13, 19, v19
	v_subrev_u32_e32 v17, 28, v16
	v_and_b32_e32 v13, 15, v13
	v_lshlrev_b32_sdwa v17, v17, v19 dst_sel:DWORD dst_unused:UNUSED_PAD src0_sel:DWORD src1_sel:WORD_1
	v_bfe_u32 v14, v19, 19, 4
	v_sub_u32_e32 v16, 29, v16
	v_and_b32_e32 v17, 7, v17
	v_cmp_eq_u16_e32 vcc, 0, v13
	v_cndmask_b32_e32 v12, v12, v17, vcc
	v_cndmask_b32_e32 v13, v14, v16, vcc
	v_lshlrev_b32_e32 v14, 8, v19
	v_mov_b32_e32 v16, 0x3b800000
	v_lshlrev_b32_e32 v12, 20, v12
	v_and_b32_e32 v14, 0x80000000, v14
	v_lshl_add_u32 v13, v13, 23, v16
	v_or3_b32 v12, v14, v13, v12
.LBB1_372:
	s_or_b64 exec, exec, s[6:7]
	s_movk_i32 s4, 0xff
	v_and_b32_sdwa v13, v15, s4 dst_sel:DWORD dst_unused:UNUSED_PAD src0_sel:WORD_1 src1_sel:DWORD
	s_movk_i32 s4, 0x7f
	v_cmp_lt_i16_e32 vcc, s4, v13
	s_mov_b64 s[4:5], 0
                                        ; implicit-def: $sgpr10
	s_and_saveexec_b64 s[6:7], vcc
	s_xor_b64 s[6:7], exec, s[6:7]
	s_cbranch_execz .LBB1_373
; %bb.10365:
	s_getpc_b64 s[14:15]
.Lpost_getpc1086:
	s_add_u32 s14, s14, (.LBB1_4469-.Lpost_getpc1086)&4294967295
	s_addc_u32 s15, s15, (.LBB1_4469-.Lpost_getpc1086)>>32
	s_setpc_b64 s[14:15]
.LBB1_373:
	s_or_saveexec_b64 s[6:7], s[6:7]
	v_mov_b32_e32 v14, s10
	s_xor_b64 exec, exec, s[6:7]
	s_cbranch_execz .LBB1_374
; %bb.10367:
	s_getpc_b64 s[14:15]
.Lpost_getpc1087:
	s_add_u32 s14, s14, (.LBB1_4472-.Lpost_getpc1087)&4294967295
	s_addc_u32 s15, s15, (.LBB1_4472-.Lpost_getpc1087)>>32
	s_setpc_b64 s[14:15]
.LBB1_374:
	s_or_b64 exec, exec, s[6:7]
	s_and_saveexec_b64 s[6:7], s[4:5]
	s_cbranch_execz .LBB1_376
.LBB1_375:
	v_bfe_u32 v13, v15, 16, 2
	v_ffbh_u32_e32 v17, v13
	v_min_u32_e32 v17, 32, v17
	v_lshrrev_b32_e32 v14, 18, v15
	v_subrev_u32_e32 v18, 29, v17
	v_and_b32_e32 v14, 31, v14
	v_lshlrev_b32_sdwa v18, v18, v15 dst_sel:DWORD dst_unused:UNUSED_PAD src0_sel:DWORD src1_sel:WORD_1
	v_bfe_u32 v16, v15, 18, 5
	v_sub_u32_e32 v17, 30, v17
	v_and_b32_e32 v18, 3, v18
	v_cmp_eq_u16_e32 vcc, 0, v14
	v_cndmask_b32_e32 v13, v13, v18, vcc
	v_cndmask_b32_e32 v14, v16, v17, vcc
	v_lshlrev_b32_e32 v16, 8, v15
	v_mov_b32_e32 v17, 0x37800000
	v_lshlrev_b32_e32 v13, 21, v13
	v_and_b32_e32 v16, 0x80000000, v16
	v_lshl_add_u32 v14, v14, 23, v17
	v_or3_b32 v14, v16, v14, v13
.LBB1_376:
	s_or_b64 exec, exec, s[6:7]
	s_nop 0
	v_mfma_f32_16x16x4f32 a[0:3], v12, v14, a[0:3]
	s_movk_i32 s4, 0x7f
	v_cmp_gt_i16_sdwa s[6:7], v19, s4 src0_sel:BYTE_3 src1_sel:DWORD
	s_mov_b64 s[4:5], 0
                                        ; implicit-def: $sgpr10
	s_and_saveexec_b64 s[8:9], s[6:7]
	s_xor_b64 s[6:7], exec, s[8:9]
	s_cbranch_execz .LBB1_377
; %bb.10369:
	s_getpc_b64 s[14:15]
.Lpost_getpc1088:
	s_add_u32 s14, s14, (.LBB1_4473-.Lpost_getpc1088)&4294967295
	s_addc_u32 s15, s15, (.LBB1_4473-.Lpost_getpc1088)>>32
	s_setpc_b64 s[14:15]
.LBB1_377:
	s_or_saveexec_b64 s[6:7], s[6:7]
	v_mov_b32_e32 v12, s10
	s_xor_b64 exec, exec, s[6:7]
	s_cbranch_execz .LBB1_378
; %bb.10371:
	s_getpc_b64 s[14:15]
.Lpost_getpc1089:
	s_add_u32 s14, s14, (.LBB1_4476-.Lpost_getpc1089)&4294967295
	s_addc_u32 s15, s15, (.LBB1_4476-.Lpost_getpc1089)>>32
	s_setpc_b64 s[14:15]
.LBB1_378:
	s_or_b64 exec, exec, s[6:7]
	s_and_saveexec_b64 s[6:7], s[4:5]
	s_cbranch_execz .LBB1_380
.LBB1_379:
	v_bfe_u32 v12, v19, 24, 3
	v_ffbh_u32_e32 v17, v12
	v_min_u32_e32 v17, 32, v17
	v_lshrrev_b32_e32 v14, 27, v19
	v_subrev_u32_e32 v18, 28, v17
	v_and_b32_e32 v14, 15, v14
	v_lshlrev_b32_sdwa v18, v18, v19 dst_sel:DWORD dst_unused:UNUSED_PAD src0_sel:DWORD src1_sel:BYTE_3
	v_bfe_u32 v16, v19, 27, 4
	v_sub_u32_e32 v17, 29, v17
	v_and_b32_e32 v18, 7, v18
	v_cmp_eq_u16_e32 vcc, 0, v14
	v_cndmask_b32_e32 v12, v12, v18, vcc
	v_cndmask_b32_e32 v14, v16, v17, vcc
	v_mov_b32_e32 v16, 0x3b800000
	v_and_b32_e32 v13, 0x80000000, v19
	v_lshlrev_b32_e32 v12, 20, v12
	v_lshl_add_u32 v14, v14, 23, v16
	v_or3_b32 v12, v13, v14, v12
.LBB1_380:
	s_or_b64 exec, exec, s[6:7]
	s_movk_i32 s4, 0x7f
	v_cmp_gt_i16_sdwa s[6:7], v15, s4 src0_sel:BYTE_3 src1_sel:DWORD
	s_mov_b64 s[4:5], 0
                                        ; implicit-def: $sgpr10
	s_and_saveexec_b64 s[8:9], s[6:7]
	s_xor_b64 s[6:7], exec, s[8:9]
	s_cbranch_execz .LBB1_381
; %bb.10373:
	s_getpc_b64 s[14:15]
.Lpost_getpc1090:
	s_add_u32 s14, s14, (.LBB1_4477-.Lpost_getpc1090)&4294967295
	s_addc_u32 s15, s15, (.LBB1_4477-.Lpost_getpc1090)>>32
	s_setpc_b64 s[14:15]
.LBB1_381:
	s_or_saveexec_b64 s[6:7], s[6:7]
	v_mov_b32_e32 v13, s10
	s_xor_b64 exec, exec, s[6:7]
	s_cbranch_execz .LBB1_382
; %bb.10375:
	s_getpc_b64 s[14:15]
.Lpost_getpc1091:
	s_add_u32 s14, s14, (.LBB1_4480-.Lpost_getpc1091)&4294967295
	s_addc_u32 s15, s15, (.LBB1_4480-.Lpost_getpc1091)>>32
	s_setpc_b64 s[14:15]
.LBB1_382:
	s_or_b64 exec, exec, s[6:7]
	s_and_saveexec_b64 s[6:7], s[4:5]
	s_cbranch_execz .LBB1_384
.LBB1_383:
	v_bfe_u32 v13, v15, 24, 2
	v_ffbh_u32_e32 v18, v13
	v_min_u32_e32 v18, 32, v18
	v_lshrrev_b32_e32 v16, 26, v15
	v_subrev_u32_e32 v19, 29, v18
	v_and_b32_e32 v14, 0x80000000, v15
	v_and_b32_e32 v16, 31, v16
	v_bfe_u32 v17, v15, 26, 5
	v_lshlrev_b32_sdwa v15, v19, v15 dst_sel:DWORD dst_unused:UNUSED_PAD src0_sel:DWORD src1_sel:BYTE_3
	v_sub_u32_e32 v18, 30, v18
	v_and_b32_e32 v15, 3, v15
	v_cmp_eq_u16_e32 vcc, 0, v16
	v_cndmask_b32_e32 v13, v13, v15, vcc
	v_cndmask_b32_e32 v15, v17, v18, vcc
	v_mov_b32_e32 v16, 0x37800000
	v_lshlrev_b32_e32 v13, 21, v13
	v_lshl_add_u32 v15, v15, 23, v16
	v_or3_b32 v13, v14, v15, v13
.LBB1_384:
	s_or_b64 exec, exec, s[6:7]
	s_nop 0
	v_mfma_f32_16x16x4f32 a[0:3], v12, v13, a[0:3]
	v_mov_b32_e32 v16, 8
	s_movk_i32 s4, 0x7f
                                        ; implicit-def: $sgpr10
	s_nop 7
	s_nop 0
	flat_store_dwordx4 v[10:11], a[0:3] offset:32
	flat_load_dword v14, v[0:1] offset:544
	flat_load_dwordx2 v[12:13], v[6:7]
	s_waitcnt vmcnt(0) lgkmcnt(0)
	v_ashrrev_i32_e32 v15, 31, v14
	v_add_co_u32_e32 v12, vcc, v12, v14
	v_addc_co_u32_e32 v13, vcc, v13, v15, vcc
	flat_load_dwordx4 v[12:15], v[12:13] offset:1536
	s_waitcnt vmcnt(0) lgkmcnt(0)
	v_lshrrev_b32_sdwa v20, v16, v14 dst_sel:BYTE_1 dst_unused:UNUSED_PAD src0_sel:DWORD src1_sel:DWORD
	flat_store_dwordx4 v[8:9], v[12:15]
	flat_load_dwordx4 v[16:19], v[4:5]
	s_waitcnt vmcnt(0) lgkmcnt(0)
	v_cmp_gt_i16_sdwa s[6:7], v16, s4 src0_sel:BYTE_0 src1_sel:DWORD
	s_mov_b64 s[4:5], 0
	s_and_saveexec_b64 s[8:9], s[6:7]
	s_xor_b64 s[6:7], exec, s[8:9]
	s_cbranch_execz .LBB1_385
; %bb.10377:
	s_getpc_b64 s[14:15]
.Lpost_getpc1092:
	s_add_u32 s14, s14, (.LBB1_4481-.Lpost_getpc1092)&4294967295
	s_addc_u32 s15, s15, (.LBB1_4481-.Lpost_getpc1092)>>32
	s_setpc_b64 s[14:15]
.LBB1_385:
	s_or_saveexec_b64 s[6:7], s[6:7]
	v_mov_b32_e32 v21, s10
	s_xor_b64 exec, exec, s[6:7]
	s_cbranch_execz .LBB1_386
; %bb.10379:
	s_getpc_b64 s[14:15]
.Lpost_getpc1093:
	s_add_u32 s14, s14, (.LBB1_4484-.Lpost_getpc1093)&4294967295
	s_addc_u32 s15, s15, (.LBB1_4484-.Lpost_getpc1093)>>32
	s_setpc_b64 s[14:15]
.LBB1_386:
	s_or_b64 exec, exec, s[6:7]
	s_and_saveexec_b64 s[6:7], s[4:5]
	s_cbranch_execz .LBB1_388
.LBB1_387:
	v_and_b32_e32 v21, 7, v16
	v_ffbh_u32_e32 v23, v21
	v_min_u32_e32 v23, 32, v23
	v_lshrrev_b16_e32 v22, 3, v16
	v_subrev_u32_e32 v24, 28, v23
	v_and_b32_e32 v22, 15, v22
	v_lshlrev_b32_e32 v24, v24, v16
	v_sub_u32_e32 v23, 29, v23
	v_and_b32_e32 v24, 7, v24
	v_cmp_eq_u16_e32 vcc, 0, v22
	v_cndmask_b32_e32 v21, v21, v24, vcc
	v_cndmask_b32_e32 v22, v22, v23, vcc
	v_lshlrev_b32_e32 v23, 24, v16
	v_mov_b32_e32 v24, 0x3b800000
	v_lshlrev_b32_e32 v21, 20, v21
	v_and_b32_e32 v23, 0x80000000, v23
	v_lshl_add_u32 v22, v22, 23, v24
	v_or3_b32 v21, v23, v22, v21
.LBB1_388:
	s_or_b64 exec, exec, s[6:7]
	s_movk_i32 s4, 0x7f
	v_cmp_gt_i16_sdwa s[6:7], v12, s4 src0_sel:BYTE_0 src1_sel:DWORD
	s_mov_b64 s[4:5], 0
                                        ; implicit-def: $sgpr10
	s_and_saveexec_b64 s[8:9], s[6:7]
	s_xor_b64 s[6:7], exec, s[8:9]
	s_cbranch_execz .LBB1_389
; %bb.10381:
	s_getpc_b64 s[14:15]
.Lpost_getpc1094:
	s_add_u32 s14, s14, (.LBB1_4485-.Lpost_getpc1094)&4294967295
	s_addc_u32 s15, s15, (.LBB1_4485-.Lpost_getpc1094)>>32
	s_setpc_b64 s[14:15]
.LBB1_389:
	s_or_saveexec_b64 s[6:7], s[6:7]
	v_mov_b32_e32 v22, s10
	s_xor_b64 exec, exec, s[6:7]
	s_cbranch_execz .LBB1_390
; %bb.10383:
	s_getpc_b64 s[14:15]
.Lpost_getpc1095:
	s_add_u32 s14, s14, (.LBB1_4488-.Lpost_getpc1095)&4294967295
	s_addc_u32 s15, s15, (.LBB1_4488-.Lpost_getpc1095)>>32
	s_setpc_b64 s[14:15]
.LBB1_390:
	s_or_b64 exec, exec, s[6:7]
	s_and_saveexec_b64 s[6:7], s[4:5]
	s_cbranch_execz .LBB1_392
.LBB1_391:
	v_and_b32_e32 v22, 3, v12
	v_ffbh_u32_e32 v24, v22
	v_min_u32_e32 v24, 32, v24
	v_lshrrev_b16_e32 v23, 2, v12
	v_subrev_u32_e32 v25, 29, v24
	v_and_b32_e32 v23, 31, v23
	v_lshlrev_b32_e32 v25, v25, v12
	v_sub_u32_e32 v24, 30, v24
	v_and_b32_e32 v25, 3, v25
	v_cmp_eq_u16_e32 vcc, 0, v23
	v_cndmask_b32_e32 v22, v22, v25, vcc
	v_cndmask_b32_e32 v23, v23, v24, vcc
	v_lshlrev_b32_e32 v24, 24, v12
	v_mov_b32_e32 v25, 0x37800000
	v_lshlrev_b32_e32 v22, 21, v22
	v_and_b32_e32 v24, 0x80000000, v24
	v_lshl_add_u32 v23, v23, 23, v25
	v_or3_b32 v22, v24, v23, v22
.LBB1_392:
	s_or_b64 exec, exec, s[6:7]
	flat_load_dwordx4 a[0:3], v[10:11] offset:48
	s_movk_i32 s4, 0x7f
                                        ; implicit-def: $sgpr10
	s_waitcnt vmcnt(0) lgkmcnt(0)
	v_mfma_f32_16x16x4f32 a[0:3], v21, v22, a[0:3]
	v_lshrrev_b32_e32 v22, 8, v16
	v_cmp_gt_i16_sdwa s[6:7], v22, s4 src0_sel:BYTE_0 src1_sel:DWORD
	s_mov_b64 s[4:5], 0
	s_and_saveexec_b64 s[8:9], s[6:7]
	s_xor_b64 s[6:7], exec, s[8:9]
	s_cbranch_execz .LBB1_393
; %bb.10385:
	s_getpc_b64 s[14:15]
.Lpost_getpc1096:
	s_add_u32 s14, s14, (.LBB1_4489-.Lpost_getpc1096)&4294967295
	s_addc_u32 s15, s15, (.LBB1_4489-.Lpost_getpc1096)>>32
	s_setpc_b64 s[14:15]
.LBB1_393:
	s_or_saveexec_b64 s[6:7], s[6:7]
	v_mov_b32_e32 v21, s10
	s_xor_b64 exec, exec, s[6:7]
	s_cbranch_execz .LBB1_394
; %bb.10387:
	s_getpc_b64 s[14:15]
.Lpost_getpc1097:
	s_add_u32 s14, s14, (.LBB1_4492-.Lpost_getpc1097)&4294967295
	s_addc_u32 s15, s15, (.LBB1_4492-.Lpost_getpc1097)>>32
	s_setpc_b64 s[14:15]
.LBB1_394:
	s_or_b64 exec, exec, s[6:7]
	s_and_saveexec_b64 s[6:7], s[4:5]
	s_cbranch_execz .LBB1_396
.LBB1_395:
	v_bfe_u32 v21, v16, 8, 3
	v_ffbh_u32_e32 v24, v21
	v_min_u32_e32 v24, 32, v24
	v_lshrrev_b16_e32 v23, 3, v22
	v_subrev_u32_e32 v25, 28, v24
	v_and_b32_e32 v23, 15, v23
	v_lshlrev_b32_e32 v22, v25, v22
	v_sub_u32_e32 v24, 29, v24
	v_and_b32_e32 v22, 7, v22
	v_cmp_eq_u16_e32 vcc, 0, v23
	v_cndmask_b32_e32 v21, v21, v22, vcc
	v_cndmask_b32_e32 v22, v23, v24, vcc
	v_lshlrev_b32_e32 v23, 16, v16
	v_mov_b32_e32 v24, 0x3b800000
	v_lshlrev_b32_e32 v21, 20, v21
	v_and_b32_e32 v23, 0x80000000, v23
	v_lshl_add_u32 v22, v22, 23, v24
	v_or3_b32 v21, v23, v22, v21
.LBB1_396:
	s_or_b64 exec, exec, s[6:7]
	v_lshrrev_b32_e32 v22, 8, v12
	s_movk_i32 s4, 0x7f
	v_cmp_gt_i16_sdwa s[6:7], v22, s4 src0_sel:BYTE_0 src1_sel:DWORD
	s_mov_b64 s[4:5], 0
                                        ; implicit-def: $sgpr10
	s_and_saveexec_b64 s[8:9], s[6:7]
	s_xor_b64 s[6:7], exec, s[8:9]
	s_cbranch_execz .LBB1_397
; %bb.10389:
	s_getpc_b64 s[14:15]
.Lpost_getpc1098:
	s_add_u32 s14, s14, (.LBB1_4493-.Lpost_getpc1098)&4294967295
	s_addc_u32 s15, s15, (.LBB1_4493-.Lpost_getpc1098)>>32
	s_setpc_b64 s[14:15]
.LBB1_397:
	s_or_saveexec_b64 s[6:7], s[6:7]
	v_mov_b32_e32 v23, s10
	s_xor_b64 exec, exec, s[6:7]
	s_cbranch_execz .LBB1_398
; %bb.10391:
	s_getpc_b64 s[14:15]
.Lpost_getpc1099:
	s_add_u32 s14, s14, (.LBB1_4496-.Lpost_getpc1099)&4294967295
	s_addc_u32 s15, s15, (.LBB1_4496-.Lpost_getpc1099)>>32
	s_setpc_b64 s[14:15]
.LBB1_398:
	s_or_b64 exec, exec, s[6:7]
	s_and_saveexec_b64 s[6:7], s[4:5]
	s_cbranch_execz .LBB1_400
.LBB1_399:
	v_bfe_u32 v23, v12, 8, 2
	v_ffbh_u32_e32 v25, v23
	v_min_u32_e32 v25, 32, v25
	v_lshrrev_b16_e32 v24, 2, v22
	v_subrev_u32_e32 v26, 29, v25
	v_and_b32_e32 v24, 31, v24
	v_lshlrev_b32_e32 v22, v26, v22
	v_sub_u32_e32 v25, 30, v25
	v_and_b32_e32 v22, 3, v22
	v_cmp_eq_u16_e32 vcc, 0, v24
	v_cndmask_b32_e32 v22, v23, v22, vcc
	v_cndmask_b32_e32 v23, v24, v25, vcc
	v_lshlrev_b32_e32 v24, 16, v12
	v_mov_b32_e32 v25, 0x37800000
	v_lshlrev_b32_e32 v22, 21, v22
	v_and_b32_e32 v24, 0x80000000, v24
	v_lshl_add_u32 v23, v23, 23, v25
	v_or3_b32 v23, v24, v23, v22
.LBB1_400:
	s_or_b64 exec, exec, s[6:7]
	s_nop 0
	v_mfma_f32_16x16x4f32 a[0:3], v21, v23, a[0:3]
	s_movk_i32 s4, 0xff
	v_and_b32_sdwa v22, v16, s4 dst_sel:DWORD dst_unused:UNUSED_PAD src0_sel:WORD_1 src1_sel:DWORD
	s_movk_i32 s4, 0x7f
	v_cmp_lt_i16_e32 vcc, s4, v22
	s_mov_b64 s[4:5], 0
                                        ; implicit-def: $sgpr10
	s_and_saveexec_b64 s[6:7], vcc
	s_xor_b64 s[6:7], exec, s[6:7]
	s_cbranch_execz .LBB1_401
; %bb.10393:
	s_getpc_b64 s[14:15]
.Lpost_getpc1100:
	s_add_u32 s14, s14, (.LBB1_4497-.Lpost_getpc1100)&4294967295
	s_addc_u32 s15, s15, (.LBB1_4497-.Lpost_getpc1100)>>32
	s_setpc_b64 s[14:15]
.LBB1_401:
	s_or_saveexec_b64 s[6:7], s[6:7]
	v_mov_b32_e32 v21, s10
	s_xor_b64 exec, exec, s[6:7]
	s_cbranch_execz .LBB1_402
; %bb.10395:
	s_getpc_b64 s[14:15]
.Lpost_getpc1101:
	s_add_u32 s14, s14, (.LBB1_4500-.Lpost_getpc1101)&4294967295
	s_addc_u32 s15, s15, (.LBB1_4500-.Lpost_getpc1101)>>32
	s_setpc_b64 s[14:15]
.LBB1_402:
	s_or_b64 exec, exec, s[6:7]
	s_and_saveexec_b64 s[6:7], s[4:5]
	s_cbranch_execz .LBB1_404
.LBB1_403:
	v_bfe_u32 v21, v16, 16, 3
	v_ffbh_u32_e32 v24, v21
	v_min_u32_e32 v24, 32, v24
	v_lshrrev_b32_e32 v22, 19, v16
	v_subrev_u32_e32 v25, 28, v24
	v_and_b32_e32 v22, 15, v22
	v_lshlrev_b32_sdwa v25, v25, v16 dst_sel:DWORD dst_unused:UNUSED_PAD src0_sel:DWORD src1_sel:WORD_1
	v_bfe_u32 v23, v16, 19, 4
	v_sub_u32_e32 v24, 29, v24
	v_and_b32_e32 v25, 7, v25
	v_cmp_eq_u16_e32 vcc, 0, v22
	v_cndmask_b32_e32 v21, v21, v25, vcc
	v_cndmask_b32_e32 v22, v23, v24, vcc
	v_lshlrev_b32_e32 v23, 8, v16
	v_mov_b32_e32 v24, 0x3b800000
	v_lshlrev_b32_e32 v21, 20, v21
	v_and_b32_e32 v23, 0x80000000, v23
	v_lshl_add_u32 v22, v22, 23, v24
	v_or3_b32 v21, v23, v22, v21
.LBB1_404:
	s_or_b64 exec, exec, s[6:7]
	s_movk_i32 s4, 0xff
	v_and_b32_sdwa v22, v12, s4 dst_sel:DWORD dst_unused:UNUSED_PAD src0_sel:WORD_1 src1_sel:DWORD
	s_movk_i32 s4, 0x7f
	v_cmp_lt_i16_e32 vcc, s4, v22
	s_mov_b64 s[4:5], 0
                                        ; implicit-def: $sgpr10
	s_and_saveexec_b64 s[6:7], vcc
	s_xor_b64 s[6:7], exec, s[6:7]
	s_cbranch_execz .LBB1_405
; %bb.10397:
	s_getpc_b64 s[14:15]
.Lpost_getpc1102:
	s_add_u32 s14, s14, (.LBB1_4501-.Lpost_getpc1102)&4294967295
	s_addc_u32 s15, s15, (.LBB1_4501-.Lpost_getpc1102)>>32
	s_setpc_b64 s[14:15]
.LBB1_405:
	s_or_saveexec_b64 s[6:7], s[6:7]
	v_mov_b32_e32 v23, s10
	s_xor_b64 exec, exec, s[6:7]
	s_cbranch_execz .LBB1_406
; %bb.10399:
	s_getpc_b64 s[14:15]
.Lpost_getpc1103:
	s_add_u32 s14, s14, (.LBB1_4504-.Lpost_getpc1103)&4294967295
	s_addc_u32 s15, s15, (.LBB1_4504-.Lpost_getpc1103)>>32
	s_setpc_b64 s[14:15]
.LBB1_406:
	s_or_b64 exec, exec, s[6:7]
	s_and_saveexec_b64 s[6:7], s[4:5]
	s_cbranch_execz .LBB1_408
.LBB1_407:
	v_bfe_u32 v22, v12, 16, 2
	v_ffbh_u32_e32 v25, v22
	v_min_u32_e32 v25, 32, v25
	v_lshrrev_b32_e32 v23, 18, v12
	v_subrev_u32_e32 v26, 29, v25
	v_and_b32_e32 v23, 31, v23
	v_lshlrev_b32_sdwa v26, v26, v12 dst_sel:DWORD dst_unused:UNUSED_PAD src0_sel:DWORD src1_sel:WORD_1
	v_bfe_u32 v24, v12, 18, 5
	v_sub_u32_e32 v25, 30, v25
	v_and_b32_e32 v26, 3, v26
	v_cmp_eq_u16_e32 vcc, 0, v23
	v_cndmask_b32_e32 v22, v22, v26, vcc
	v_cndmask_b32_e32 v23, v24, v25, vcc
	v_lshlrev_b32_e32 v24, 8, v12
	v_mov_b32_e32 v25, 0x37800000
	v_lshlrev_b32_e32 v22, 21, v22
	v_and_b32_e32 v24, 0x80000000, v24
	v_lshl_add_u32 v23, v23, 23, v25
	v_or3_b32 v23, v24, v23, v22
.LBB1_408:
	s_or_b64 exec, exec, s[6:7]
	s_nop 0
	v_mfma_f32_16x16x4f32 a[0:3], v21, v23, a[0:3]
	s_movk_i32 s4, 0x7f
	v_cmp_gt_i16_sdwa s[6:7], v16, s4 src0_sel:BYTE_3 src1_sel:DWORD
	s_mov_b64 s[4:5], 0
                                        ; implicit-def: $sgpr10
	s_and_saveexec_b64 s[8:9], s[6:7]
	s_xor_b64 s[6:7], exec, s[8:9]
	s_cbranch_execz .LBB1_409
; %bb.10401:
	s_getpc_b64 s[14:15]
.Lpost_getpc1104:
	s_add_u32 s14, s14, (.LBB1_4505-.Lpost_getpc1104)&4294967295
	s_addc_u32 s15, s15, (.LBB1_4505-.Lpost_getpc1104)>>32
	s_setpc_b64 s[14:15]
.LBB1_409:
	s_or_saveexec_b64 s[6:7], s[6:7]
	v_mov_b32_e32 v21, s10
	s_xor_b64 exec, exec, s[6:7]
	s_cbranch_execz .LBB1_410
; %bb.10403:
	s_getpc_b64 s[14:15]
.Lpost_getpc1105:
	s_add_u32 s14, s14, (.LBB1_4508-.Lpost_getpc1105)&4294967295
	s_addc_u32 s15, s15, (.LBB1_4508-.Lpost_getpc1105)>>32
	s_setpc_b64 s[14:15]
.LBB1_410:
	s_or_b64 exec, exec, s[6:7]
	s_and_saveexec_b64 s[6:7], s[4:5]
	s_cbranch_execz .LBB1_412
.LBB1_411:
	v_bfe_u32 v21, v16, 24, 3
	v_ffbh_u32_e32 v25, v21
	v_min_u32_e32 v25, 32, v25
	v_lshrrev_b32_e32 v23, 27, v16
	v_subrev_u32_e32 v26, 28, v25
	v_and_b32_e32 v22, 0x80000000, v16
	v_and_b32_e32 v23, 15, v23
	v_bfe_u32 v24, v16, 27, 4
	v_lshlrev_b32_sdwa v16, v26, v16 dst_sel:DWORD dst_unused:UNUSED_PAD src0_sel:DWORD src1_sel:BYTE_3
	v_sub_u32_e32 v25, 29, v25
	v_and_b32_e32 v16, 7, v16
	v_cmp_eq_u16_e32 vcc, 0, v23
	v_cndmask_b32_e32 v16, v21, v16, vcc
	v_cndmask_b32_e32 v21, v24, v25, vcc
	v_mov_b32_e32 v23, 0x3b800000
	v_lshlrev_b32_e32 v16, 20, v16
	v_lshl_add_u32 v21, v21, 23, v23
	v_or3_b32 v21, v22, v21, v16
.LBB1_412:
	s_or_b64 exec, exec, s[6:7]
	s_movk_i32 s4, 0x7f
	v_cmp_gt_i16_sdwa s[6:7], v12, s4 src0_sel:BYTE_3 src1_sel:DWORD
	s_mov_b64 s[4:5], 0
                                        ; implicit-def: $sgpr10
	s_and_saveexec_b64 s[8:9], s[6:7]
	s_xor_b64 s[6:7], exec, s[8:9]
	s_cbranch_execz .LBB1_413
; %bb.10405:
	s_getpc_b64 s[14:15]
.Lpost_getpc1106:
	s_add_u32 s14, s14, (.LBB1_4509-.Lpost_getpc1106)&4294967295
	s_addc_u32 s15, s15, (.LBB1_4509-.Lpost_getpc1106)>>32
	s_setpc_b64 s[14:15]
.LBB1_413:
	s_or_saveexec_b64 s[6:7], s[6:7]
	v_mov_b32_e32 v16, s10
	s_xor_b64 exec, exec, s[6:7]
	s_cbranch_execz .LBB1_414
; %bb.10407:
	s_getpc_b64 s[14:15]
.Lpost_getpc1107:
	s_add_u32 s14, s14, (.LBB1_4512-.Lpost_getpc1107)&4294967295
	s_addc_u32 s15, s15, (.LBB1_4512-.Lpost_getpc1107)>>32
	s_setpc_b64 s[14:15]
.LBB1_414:
	s_or_b64 exec, exec, s[6:7]
	s_and_saveexec_b64 s[6:7], s[4:5]
	s_cbranch_execz .LBB1_416
.LBB1_415:
	v_bfe_u32 v16, v12, 24, 2
	v_ffbh_u32_e32 v25, v16
	v_min_u32_e32 v25, 32, v25
	v_lshrrev_b32_e32 v23, 26, v12
	v_subrev_u32_e32 v26, 29, v25
	v_and_b32_e32 v22, 0x80000000, v12
	v_and_b32_e32 v23, 31, v23
	v_bfe_u32 v24, v12, 26, 5
	v_lshlrev_b32_sdwa v12, v26, v12 dst_sel:DWORD dst_unused:UNUSED_PAD src0_sel:DWORD src1_sel:BYTE_3
	v_sub_u32_e32 v25, 30, v25
	v_and_b32_e32 v12, 3, v12
	v_cmp_eq_u16_e32 vcc, 0, v23
	v_cndmask_b32_e32 v12, v16, v12, vcc
	v_cndmask_b32_e32 v16, v24, v25, vcc
	v_mov_b32_e32 v23, 0x37800000
	v_lshlrev_b32_e32 v12, 21, v12
	v_lshl_add_u32 v16, v16, 23, v23
	v_or3_b32 v16, v22, v16, v12
.LBB1_416:
	s_or_b64 exec, exec, s[6:7]
	s_nop 0
	v_mfma_f32_16x16x4f32 a[0:3], v21, v16, a[0:3]
	s_movk_i32 s4, 0x7f
	v_cmp_gt_i16_sdwa s[6:7], v17, s4 src0_sel:BYTE_0 src1_sel:DWORD
	s_mov_b64 s[4:5], 0
                                        ; implicit-def: $sgpr10
	s_and_saveexec_b64 s[8:9], s[6:7]
	s_xor_b64 s[6:7], exec, s[8:9]
	s_cbranch_execz .LBB1_417
; %bb.10409:
	s_getpc_b64 s[14:15]
.Lpost_getpc1108:
	s_add_u32 s14, s14, (.LBB1_4513-.Lpost_getpc1108)&4294967295
	s_addc_u32 s15, s15, (.LBB1_4513-.Lpost_getpc1108)>>32
	s_setpc_b64 s[14:15]
.LBB1_417:
	s_or_saveexec_b64 s[6:7], s[6:7]
	v_mov_b32_e32 v12, s10
	s_xor_b64 exec, exec, s[6:7]
	s_cbranch_execz .LBB1_418
; %bb.10411:
	s_getpc_b64 s[14:15]
.Lpost_getpc1109:
	s_add_u32 s14, s14, (.LBB1_4516-.Lpost_getpc1109)&4294967295
	s_addc_u32 s15, s15, (.LBB1_4516-.Lpost_getpc1109)>>32
	s_setpc_b64 s[14:15]
.LBB1_418:
	s_or_b64 exec, exec, s[6:7]
	s_and_saveexec_b64 s[6:7], s[4:5]
	s_cbranch_execz .LBB1_420
.LBB1_419:
	v_and_b32_e32 v12, 7, v17
	v_ffbh_u32_e32 v21, v12
	v_min_u32_e32 v21, 32, v21
	v_lshrrev_b16_e32 v16, 3, v17
	v_subrev_u32_e32 v22, 28, v21
	v_and_b32_e32 v16, 15, v16
	v_lshlrev_b32_e32 v22, v22, v17
	v_sub_u32_e32 v21, 29, v21
	v_and_b32_e32 v22, 7, v22
	v_cmp_eq_u16_e32 vcc, 0, v16
	v_cndmask_b32_e32 v12, v12, v22, vcc
	v_cndmask_b32_e32 v16, v16, v21, vcc
	v_lshlrev_b32_e32 v21, 24, v17
	v_mov_b32_e32 v22, 0x3b800000
	v_lshlrev_b32_e32 v12, 20, v12
	v_and_b32_e32 v21, 0x80000000, v21
	v_lshl_add_u32 v16, v16, 23, v22
	v_or3_b32 v12, v21, v16, v12
.LBB1_420:
	s_or_b64 exec, exec, s[6:7]
	s_movk_i32 s4, 0x7f
	v_cmp_gt_i16_sdwa s[6:7], v13, s4 src0_sel:BYTE_0 src1_sel:DWORD
	s_mov_b64 s[4:5], 0
                                        ; implicit-def: $sgpr10
	s_and_saveexec_b64 s[8:9], s[6:7]
	s_xor_b64 s[6:7], exec, s[8:9]
	s_cbranch_execz .LBB1_421
; %bb.10413:
	s_getpc_b64 s[14:15]
.Lpost_getpc1110:
	s_add_u32 s14, s14, (.LBB1_4517-.Lpost_getpc1110)&4294967295
	s_addc_u32 s15, s15, (.LBB1_4517-.Lpost_getpc1110)>>32
	s_setpc_b64 s[14:15]
.LBB1_421:
	s_or_saveexec_b64 s[6:7], s[6:7]
	v_mov_b32_e32 v16, s10
	s_xor_b64 exec, exec, s[6:7]
	s_cbranch_execz .LBB1_422
; %bb.10415:
	s_getpc_b64 s[14:15]
.Lpost_getpc1111:
	s_add_u32 s14, s14, (.LBB1_4520-.Lpost_getpc1111)&4294967295
	s_addc_u32 s15, s15, (.LBB1_4520-.Lpost_getpc1111)>>32
	s_setpc_b64 s[14:15]
.LBB1_422:
	s_or_b64 exec, exec, s[6:7]
	s_and_saveexec_b64 s[6:7], s[4:5]
	s_cbranch_execz .LBB1_424
.LBB1_423:
	v_and_b32_e32 v16, 3, v13
	v_ffbh_u32_e32 v22, v16
	v_min_u32_e32 v22, 32, v22
	v_lshrrev_b16_e32 v21, 2, v13
	v_subrev_u32_e32 v23, 29, v22
	v_and_b32_e32 v21, 31, v21
	v_lshlrev_b32_e32 v23, v23, v13
	v_sub_u32_e32 v22, 30, v22
	v_and_b32_e32 v23, 3, v23
	v_cmp_eq_u16_e32 vcc, 0, v21
	v_cndmask_b32_e32 v16, v16, v23, vcc
	v_cndmask_b32_e32 v21, v21, v22, vcc
	v_lshlrev_b32_e32 v22, 24, v13
	v_mov_b32_e32 v23, 0x37800000
	v_lshlrev_b32_e32 v16, 21, v16
	v_and_b32_e32 v22, 0x80000000, v22
	v_lshl_add_u32 v21, v21, 23, v23
	v_or3_b32 v16, v22, v21, v16
.LBB1_424:
	s_or_b64 exec, exec, s[6:7]
	s_nop 0
	v_mfma_f32_16x16x4f32 a[0:3], v12, v16, a[0:3]
	v_lshrrev_b32_e32 v16, 8, v17
	s_movk_i32 s4, 0x7f
	v_cmp_gt_i16_sdwa s[6:7], v16, s4 src0_sel:BYTE_0 src1_sel:DWORD
	s_mov_b64 s[4:5], 0
                                        ; implicit-def: $sgpr10
	s_and_saveexec_b64 s[8:9], s[6:7]
	s_xor_b64 s[6:7], exec, s[8:9]
	s_cbranch_execz .LBB1_425
; %bb.10417:
	s_getpc_b64 s[14:15]
.Lpost_getpc1112:
	s_add_u32 s14, s14, (.LBB1_4521-.Lpost_getpc1112)&4294967295
	s_addc_u32 s15, s15, (.LBB1_4521-.Lpost_getpc1112)>>32
	s_setpc_b64 s[14:15]
.LBB1_425:
	s_or_saveexec_b64 s[6:7], s[6:7]
	v_mov_b32_e32 v12, s10
	s_xor_b64 exec, exec, s[6:7]
	s_cbranch_execz .LBB1_426
; %bb.10419:
	s_getpc_b64 s[14:15]
.Lpost_getpc1113:
	s_add_u32 s14, s14, (.LBB1_4524-.Lpost_getpc1113)&4294967295
	s_addc_u32 s15, s15, (.LBB1_4524-.Lpost_getpc1113)>>32
	s_setpc_b64 s[14:15]
.LBB1_426:
	s_or_b64 exec, exec, s[6:7]
	s_and_saveexec_b64 s[6:7], s[4:5]
	s_cbranch_execz .LBB1_428
.LBB1_427:
	v_bfe_u32 v12, v17, 8, 3
	v_ffbh_u32_e32 v22, v12
	v_min_u32_e32 v22, 32, v22
	v_lshrrev_b16_e32 v21, 3, v16
	v_subrev_u32_e32 v23, 28, v22
	v_and_b32_e32 v21, 15, v21
	v_lshlrev_b32_e32 v16, v23, v16
	v_sub_u32_e32 v22, 29, v22
	v_and_b32_e32 v16, 7, v16
	v_cmp_eq_u16_e32 vcc, 0, v21
	v_cndmask_b32_e32 v12, v12, v16, vcc
	v_cndmask_b32_e32 v16, v21, v22, vcc
	v_lshlrev_b32_e32 v21, 16, v17
	v_mov_b32_e32 v22, 0x3b800000
	v_lshlrev_b32_e32 v12, 20, v12
	v_and_b32_e32 v21, 0x80000000, v21
	v_lshl_add_u32 v16, v16, 23, v22
	v_or3_b32 v12, v21, v16, v12
.LBB1_428:
	s_or_b64 exec, exec, s[6:7]
	v_lshrrev_b32_e32 v16, 8, v13
	s_movk_i32 s4, 0x7f
	v_cmp_gt_i16_sdwa s[6:7], v16, s4 src0_sel:BYTE_0 src1_sel:DWORD
	s_mov_b64 s[4:5], 0
                                        ; implicit-def: $sgpr10
	s_and_saveexec_b64 s[8:9], s[6:7]
	s_xor_b64 s[6:7], exec, s[8:9]
	s_cbranch_execz .LBB1_429
; %bb.10421:
	s_getpc_b64 s[14:15]
.Lpost_getpc1114:
	s_add_u32 s14, s14, (.LBB1_4525-.Lpost_getpc1114)&4294967295
	s_addc_u32 s15, s15, (.LBB1_4525-.Lpost_getpc1114)>>32
	s_setpc_b64 s[14:15]
.LBB1_429:
	s_or_saveexec_b64 s[6:7], s[6:7]
	v_mov_b32_e32 v21, s10
	s_xor_b64 exec, exec, s[6:7]
	s_cbranch_execz .LBB1_430
; %bb.10423:
	s_getpc_b64 s[14:15]
.Lpost_getpc1115:
	s_add_u32 s14, s14, (.LBB1_4528-.Lpost_getpc1115)&4294967295
	s_addc_u32 s15, s15, (.LBB1_4528-.Lpost_getpc1115)>>32
	s_setpc_b64 s[14:15]
.LBB1_430:
	s_or_b64 exec, exec, s[6:7]
	s_and_saveexec_b64 s[6:7], s[4:5]
	s_cbranch_execz .LBB1_432
.LBB1_431:
	v_bfe_u32 v21, v13, 8, 2
	v_ffbh_u32_e32 v23, v21
	v_min_u32_e32 v23, 32, v23
	v_lshrrev_b16_e32 v22, 2, v16
	v_subrev_u32_e32 v24, 29, v23
	v_and_b32_e32 v22, 31, v22
	v_lshlrev_b32_e32 v16, v24, v16
	v_sub_u32_e32 v23, 30, v23
	v_and_b32_e32 v16, 3, v16
	v_cmp_eq_u16_e32 vcc, 0, v22
	v_cndmask_b32_e32 v16, v21, v16, vcc
	v_cndmask_b32_e32 v21, v22, v23, vcc
	v_lshlrev_b32_e32 v22, 16, v13
	v_mov_b32_e32 v23, 0x37800000
	v_lshlrev_b32_e32 v16, 21, v16
	v_and_b32_e32 v22, 0x80000000, v22
	v_lshl_add_u32 v21, v21, 23, v23
	v_or3_b32 v21, v22, v21, v16
.LBB1_432:
	s_or_b64 exec, exec, s[6:7]
	s_nop 0
	v_mfma_f32_16x16x4f32 a[0:3], v12, v21, a[0:3]
	s_movk_i32 s4, 0xff
	v_and_b32_sdwa v16, v17, s4 dst_sel:DWORD dst_unused:UNUSED_PAD src0_sel:WORD_1 src1_sel:DWORD
	s_movk_i32 s4, 0x7f
	v_cmp_lt_i16_e32 vcc, s4, v16
	s_mov_b64 s[4:5], 0
                                        ; implicit-def: $sgpr10
	s_and_saveexec_b64 s[6:7], vcc
	s_xor_b64 s[6:7], exec, s[6:7]
	s_cbranch_execz .LBB1_433
; %bb.10425:
	s_getpc_b64 s[14:15]
.Lpost_getpc1116:
	s_add_u32 s14, s14, (.LBB1_4529-.Lpost_getpc1116)&4294967295
	s_addc_u32 s15, s15, (.LBB1_4529-.Lpost_getpc1116)>>32
	s_setpc_b64 s[14:15]
.LBB1_433:
	s_or_saveexec_b64 s[6:7], s[6:7]
	v_mov_b32_e32 v12, s10
	s_xor_b64 exec, exec, s[6:7]
	s_cbranch_execz .LBB1_434
; %bb.10427:
	s_getpc_b64 s[14:15]
.Lpost_getpc1117:
	s_add_u32 s14, s14, (.LBB1_4532-.Lpost_getpc1117)&4294967295
	s_addc_u32 s15, s15, (.LBB1_4532-.Lpost_getpc1117)>>32
	s_setpc_b64 s[14:15]
.LBB1_434:
	s_or_b64 exec, exec, s[6:7]
	s_and_saveexec_b64 s[6:7], s[4:5]
	s_cbranch_execz .LBB1_436
.LBB1_435:
	v_bfe_u32 v12, v17, 16, 3
	v_ffbh_u32_e32 v22, v12
	v_min_u32_e32 v22, 32, v22
	v_lshrrev_b32_e32 v16, 19, v17
	v_subrev_u32_e32 v23, 28, v22
	v_and_b32_e32 v16, 15, v16
	v_lshlrev_b32_sdwa v23, v23, v17 dst_sel:DWORD dst_unused:UNUSED_PAD src0_sel:DWORD src1_sel:WORD_1
	v_bfe_u32 v21, v17, 19, 4
	v_sub_u32_e32 v22, 29, v22
	v_and_b32_e32 v23, 7, v23
	v_cmp_eq_u16_e32 vcc, 0, v16
	v_cndmask_b32_e32 v12, v12, v23, vcc
	v_cndmask_b32_e32 v16, v21, v22, vcc
	v_lshlrev_b32_e32 v21, 8, v17
	v_mov_b32_e32 v22, 0x3b800000
	v_lshlrev_b32_e32 v12, 20, v12
	v_and_b32_e32 v21, 0x80000000, v21
	v_lshl_add_u32 v16, v16, 23, v22
	v_or3_b32 v12, v21, v16, v12
.LBB1_436:
	s_or_b64 exec, exec, s[6:7]
	s_movk_i32 s4, 0xff
	v_and_b32_sdwa v16, v13, s4 dst_sel:DWORD dst_unused:UNUSED_PAD src0_sel:WORD_1 src1_sel:DWORD
	s_movk_i32 s4, 0x7f
	v_cmp_lt_i16_e32 vcc, s4, v16
	s_mov_b64 s[4:5], 0
                                        ; implicit-def: $sgpr10
	s_and_saveexec_b64 s[6:7], vcc
	s_xor_b64 s[6:7], exec, s[6:7]
	s_cbranch_execz .LBB1_437
; %bb.10429:
	s_getpc_b64 s[14:15]
.Lpost_getpc1118:
	s_add_u32 s14, s14, (.LBB1_4533-.Lpost_getpc1118)&4294967295
	s_addc_u32 s15, s15, (.LBB1_4533-.Lpost_getpc1118)>>32
	s_setpc_b64 s[14:15]
.LBB1_437:
	s_or_saveexec_b64 s[6:7], s[6:7]
	v_mov_b32_e32 v21, s10
	s_xor_b64 exec, exec, s[6:7]
	s_cbranch_execz .LBB1_438
; %bb.10431:
	s_getpc_b64 s[14:15]
.Lpost_getpc1119:
	s_add_u32 s14, s14, (.LBB1_4536-.Lpost_getpc1119)&4294967295
	s_addc_u32 s15, s15, (.LBB1_4536-.Lpost_getpc1119)>>32
	s_setpc_b64 s[14:15]
.LBB1_438:
	s_or_b64 exec, exec, s[6:7]
	s_and_saveexec_b64 s[6:7], s[4:5]
	s_cbranch_execz .LBB1_440
.LBB1_439:
	v_bfe_u32 v16, v13, 16, 2
	v_ffbh_u32_e32 v23, v16
	v_min_u32_e32 v23, 32, v23
	v_lshrrev_b32_e32 v21, 18, v13
	v_subrev_u32_e32 v24, 29, v23
	v_and_b32_e32 v21, 31, v21
	v_lshlrev_b32_sdwa v24, v24, v13 dst_sel:DWORD dst_unused:UNUSED_PAD src0_sel:DWORD src1_sel:WORD_1
	v_bfe_u32 v22, v13, 18, 5
	v_sub_u32_e32 v23, 30, v23
	v_and_b32_e32 v24, 3, v24
	v_cmp_eq_u16_e32 vcc, 0, v21
	v_cndmask_b32_e32 v16, v16, v24, vcc
	v_cndmask_b32_e32 v21, v22, v23, vcc
	v_lshlrev_b32_e32 v22, 8, v13
	v_mov_b32_e32 v23, 0x37800000
	v_lshlrev_b32_e32 v16, 21, v16
	v_and_b32_e32 v22, 0x80000000, v22
	v_lshl_add_u32 v21, v21, 23, v23
	v_or3_b32 v21, v22, v21, v16
.LBB1_440:
	s_or_b64 exec, exec, s[6:7]
	s_nop 0
	v_mfma_f32_16x16x4f32 a[0:3], v12, v21, a[0:3]
	s_movk_i32 s4, 0x7f
	v_cmp_gt_i16_sdwa s[6:7], v17, s4 src0_sel:BYTE_3 src1_sel:DWORD
	s_mov_b64 s[4:5], 0
                                        ; implicit-def: $sgpr10
	s_and_saveexec_b64 s[8:9], s[6:7]
	s_xor_b64 s[6:7], exec, s[8:9]
	s_cbranch_execz .LBB1_441
; %bb.10433:
	s_getpc_b64 s[14:15]
.Lpost_getpc1120:
	s_add_u32 s14, s14, (.LBB1_4537-.Lpost_getpc1120)&4294967295
	s_addc_u32 s15, s15, (.LBB1_4537-.Lpost_getpc1120)>>32
	s_setpc_b64 s[14:15]
.LBB1_441:
	s_or_saveexec_b64 s[6:7], s[6:7]
	v_mov_b32_e32 v12, s10
	s_xor_b64 exec, exec, s[6:7]
	s_cbranch_execz .LBB1_442
; %bb.10435:
	s_getpc_b64 s[14:15]
.Lpost_getpc1121:
	s_add_u32 s14, s14, (.LBB1_4540-.Lpost_getpc1121)&4294967295
	s_addc_u32 s15, s15, (.LBB1_4540-.Lpost_getpc1121)>>32
	s_setpc_b64 s[14:15]
.LBB1_442:
	s_or_b64 exec, exec, s[6:7]
	s_and_saveexec_b64 s[6:7], s[4:5]
	s_cbranch_execz .LBB1_444
.LBB1_443:
	v_bfe_u32 v12, v17, 24, 3
	v_ffbh_u32_e32 v23, v12
	v_min_u32_e32 v23, 32, v23
	v_lshrrev_b32_e32 v21, 27, v17
	v_subrev_u32_e32 v24, 28, v23
	v_and_b32_e32 v16, 0x80000000, v17
	v_and_b32_e32 v21, 15, v21
	v_bfe_u32 v22, v17, 27, 4
	v_lshlrev_b32_sdwa v17, v24, v17 dst_sel:DWORD dst_unused:UNUSED_PAD src0_sel:DWORD src1_sel:BYTE_3
	v_sub_u32_e32 v23, 29, v23
	v_and_b32_e32 v17, 7, v17
	v_cmp_eq_u16_e32 vcc, 0, v21
	v_cndmask_b32_e32 v12, v12, v17, vcc
	v_cndmask_b32_e32 v17, v22, v23, vcc
	v_mov_b32_e32 v21, 0x3b800000
	v_lshlrev_b32_e32 v12, 20, v12
	v_lshl_add_u32 v17, v17, 23, v21
	v_or3_b32 v12, v16, v17, v12
.LBB1_444:
	s_or_b64 exec, exec, s[6:7]
	s_movk_i32 s4, 0x7f
	v_cmp_gt_i16_sdwa s[6:7], v13, s4 src0_sel:BYTE_3 src1_sel:DWORD
	s_mov_b64 s[4:5], 0
                                        ; implicit-def: $sgpr10
	s_and_saveexec_b64 s[8:9], s[6:7]
	s_xor_b64 s[6:7], exec, s[8:9]
	s_cbranch_execz .LBB1_445
; %bb.10437:
	s_getpc_b64 s[14:15]
.Lpost_getpc1122:
	s_add_u32 s14, s14, (.LBB1_4541-.Lpost_getpc1122)&4294967295
	s_addc_u32 s15, s15, (.LBB1_4541-.Lpost_getpc1122)>>32
	s_setpc_b64 s[14:15]
.LBB1_445:
	s_or_saveexec_b64 s[6:7], s[6:7]
	v_mov_b32_e32 v16, s10
	s_xor_b64 exec, exec, s[6:7]
	s_cbranch_execz .LBB1_446
; %bb.10439:
	s_getpc_b64 s[14:15]
.Lpost_getpc1123:
	s_add_u32 s14, s14, (.LBB1_4544-.Lpost_getpc1123)&4294967295
	s_addc_u32 s15, s15, (.LBB1_4544-.Lpost_getpc1123)>>32
	s_setpc_b64 s[14:15]
.LBB1_446:
	s_or_b64 exec, exec, s[6:7]
	s_and_saveexec_b64 s[6:7], s[4:5]
	s_cbranch_execz .LBB1_448
.LBB1_447:
	v_bfe_u32 v16, v13, 24, 2
	v_ffbh_u32_e32 v23, v16
	v_min_u32_e32 v23, 32, v23
	v_lshrrev_b32_e32 v21, 26, v13
	v_subrev_u32_e32 v24, 29, v23
	v_and_b32_e32 v17, 0x80000000, v13
	v_and_b32_e32 v21, 31, v21
	v_bfe_u32 v22, v13, 26, 5
	v_lshlrev_b32_sdwa v13, v24, v13 dst_sel:DWORD dst_unused:UNUSED_PAD src0_sel:DWORD src1_sel:BYTE_3
	v_sub_u32_e32 v23, 30, v23
	v_and_b32_e32 v13, 3, v13
	v_cmp_eq_u16_e32 vcc, 0, v21
	v_cndmask_b32_e32 v13, v16, v13, vcc
	v_cndmask_b32_e32 v16, v22, v23, vcc
	v_mov_b32_e32 v21, 0x37800000
	v_lshlrev_b32_e32 v13, 21, v13
	v_lshl_add_u32 v16, v16, 23, v21
	v_or3_b32 v16, v17, v16, v13
.LBB1_448:
	s_or_b64 exec, exec, s[6:7]
	s_nop 0
	v_mfma_f32_16x16x4f32 a[0:3], v12, v16, a[0:3]
	s_movk_i32 s4, 0x7f
	v_cmp_gt_i16_sdwa s[6:7], v18, s4 src0_sel:BYTE_0 src1_sel:DWORD
	s_mov_b64 s[4:5], 0
                                        ; implicit-def: $sgpr10
	s_and_saveexec_b64 s[8:9], s[6:7]
	s_xor_b64 s[6:7], exec, s[8:9]
	s_cbranch_execz .LBB1_449
; %bb.10441:
	s_getpc_b64 s[14:15]
.Lpost_getpc1124:
	s_add_u32 s14, s14, (.LBB1_4545-.Lpost_getpc1124)&4294967295
	s_addc_u32 s15, s15, (.LBB1_4545-.Lpost_getpc1124)>>32
	s_setpc_b64 s[14:15]
.LBB1_449:
	s_or_saveexec_b64 s[6:7], s[6:7]
	v_mov_b32_e32 v13, s10
	s_xor_b64 exec, exec, s[6:7]
	s_cbranch_execz .LBB1_450
; %bb.10443:
	s_getpc_b64 s[14:15]
.Lpost_getpc1125:
	s_add_u32 s14, s14, (.LBB1_4548-.Lpost_getpc1125)&4294967295
	s_addc_u32 s15, s15, (.LBB1_4548-.Lpost_getpc1125)>>32
	s_setpc_b64 s[14:15]
.LBB1_450:
	s_or_b64 exec, exec, s[6:7]
	s_and_saveexec_b64 s[6:7], s[4:5]
	s_cbranch_execz .LBB1_452
.LBB1_451:
	v_and_b32_e32 v12, 7, v18
	v_ffbh_u32_e32 v16, v12
	v_min_u32_e32 v16, 32, v16
	v_lshrrev_b16_e32 v13, 3, v18
	v_subrev_u32_e32 v17, 28, v16
	v_and_b32_e32 v13, 15, v13
	v_lshlrev_b32_e32 v17, v17, v18
	v_sub_u32_e32 v16, 29, v16
	v_and_b32_e32 v17, 7, v17
	v_cmp_eq_u16_e32 vcc, 0, v13
	v_cndmask_b32_e32 v12, v12, v17, vcc
	v_cndmask_b32_e32 v13, v13, v16, vcc
	v_lshlrev_b32_e32 v16, 24, v18
	v_mov_b32_e32 v17, 0x3b800000
	v_lshlrev_b32_e32 v12, 20, v12
	v_and_b32_e32 v16, 0x80000000, v16
	v_lshl_add_u32 v13, v13, 23, v17
	v_or3_b32 v13, v16, v13, v12
.LBB1_452:
	s_or_b64 exec, exec, s[6:7]
	s_movk_i32 s4, 0xff
	v_mov_b32_e32 v12, 8
	v_or_b32_sdwa v16, v14, v20 dst_sel:DWORD dst_unused:UNUSED_PAD src0_sel:BYTE_0 src1_sel:DWORD
	v_lshlrev_b16_sdwa v12, v12, v14 dst_sel:DWORD dst_unused:UNUSED_PAD src0_sel:DWORD src1_sel:BYTE_3
	v_and_b32_sdwa v14, v14, s4 dst_sel:DWORD dst_unused:UNUSED_PAD src0_sel:WORD_1 src1_sel:DWORD
	s_movk_i32 s4, 0x7f
	v_or_b32_sdwa v12, v14, v12 dst_sel:WORD_1 dst_unused:UNUSED_PAD src0_sel:DWORD src1_sel:DWORD
	v_cmp_gt_i16_sdwa s[6:7], v16, s4 src0_sel:BYTE_0 src1_sel:DWORD
	s_mov_b64 s[4:5], 0
                                        ; implicit-def: $sgpr10
	s_and_saveexec_b64 s[8:9], s[6:7]
	s_xor_b64 s[6:7], exec, s[8:9]
	s_cbranch_execz .LBB1_453
; %bb.10445:
	s_getpc_b64 s[14:15]
.Lpost_getpc1126:
	s_add_u32 s14, s14, (.LBB1_4549-.Lpost_getpc1126)&4294967295
	s_addc_u32 s15, s15, (.LBB1_4549-.Lpost_getpc1126)>>32
	s_setpc_b64 s[14:15]
.LBB1_453:
	s_or_saveexec_b64 s[6:7], s[6:7]
	v_mov_b32_e32 v14, s10
	s_xor_b64 exec, exec, s[6:7]
	s_cbranch_execz .LBB1_454
; %bb.10447:
	s_getpc_b64 s[14:15]
.Lpost_getpc1127:
	s_add_u32 s14, s14, (.LBB1_4552-.Lpost_getpc1127)&4294967295
	s_addc_u32 s15, s15, (.LBB1_4552-.Lpost_getpc1127)>>32
	s_setpc_b64 s[14:15]
.LBB1_454:
	s_or_b64 exec, exec, s[6:7]
	v_or_b32_sdwa v12, v16, v12 dst_sel:DWORD dst_unused:UNUSED_PAD src0_sel:WORD_0 src1_sel:DWORD
	s_and_saveexec_b64 s[6:7], s[4:5]
	s_cbranch_execz .LBB1_456
.LBB1_455:
	v_and_b32_e32 v14, 3, v12
	v_ffbh_u32_e32 v17, v14
	v_min_u32_e32 v17, 32, v17
	v_lshrrev_b16_e32 v16, 2, v16
	v_subrev_u32_e32 v20, 29, v17
	v_and_b32_e32 v16, 31, v16
	v_lshlrev_b32_e32 v20, v20, v12
	v_sub_u32_e32 v17, 30, v17
	v_and_b32_e32 v20, 3, v20
	v_cmp_eq_u16_e32 vcc, 0, v16
	v_cndmask_b32_e32 v14, v14, v20, vcc
	v_cndmask_b32_e32 v16, v16, v17, vcc
	v_lshlrev_b32_e32 v17, 24, v12
	v_mov_b32_e32 v20, 0x37800000
	v_lshlrev_b32_e32 v14, 21, v14
	v_and_b32_e32 v17, 0x80000000, v17
	v_lshl_add_u32 v16, v16, 23, v20
	v_or3_b32 v14, v17, v16, v14
.LBB1_456:
	s_or_b64 exec, exec, s[6:7]
	s_nop 0
	v_mfma_f32_16x16x4f32 a[0:3], v13, v14, a[0:3]
	v_lshrrev_b32_e32 v14, 8, v18
	s_movk_i32 s4, 0x7f
	v_cmp_gt_i16_sdwa s[6:7], v14, s4 src0_sel:BYTE_0 src1_sel:DWORD
	s_mov_b64 s[4:5], 0
                                        ; implicit-def: $sgpr10
	s_and_saveexec_b64 s[8:9], s[6:7]
	s_xor_b64 s[6:7], exec, s[8:9]
	s_cbranch_execz .LBB1_457
; %bb.10449:
	s_getpc_b64 s[14:15]
.Lpost_getpc1128:
	s_add_u32 s14, s14, (.LBB1_4553-.Lpost_getpc1128)&4294967295
	s_addc_u32 s15, s15, (.LBB1_4553-.Lpost_getpc1128)>>32
	s_setpc_b64 s[14:15]
.LBB1_457:
	s_or_saveexec_b64 s[6:7], s[6:7]
	v_mov_b32_e32 v13, s10
	s_xor_b64 exec, exec, s[6:7]
	s_cbranch_execz .LBB1_458
; %bb.10451:
	s_getpc_b64 s[14:15]
.Lpost_getpc1129:
	s_add_u32 s14, s14, (.LBB1_4556-.Lpost_getpc1129)&4294967295
	s_addc_u32 s15, s15, (.LBB1_4556-.Lpost_getpc1129)>>32
	s_setpc_b64 s[14:15]
.LBB1_458:
	s_or_b64 exec, exec, s[6:7]
	s_and_saveexec_b64 s[6:7], s[4:5]
	s_cbranch_execz .LBB1_460
.LBB1_459:
	v_bfe_u32 v13, v18, 8, 3
	v_ffbh_u32_e32 v17, v13
	v_min_u32_e32 v17, 32, v17
	v_lshrrev_b16_e32 v16, 3, v14
	v_subrev_u32_e32 v20, 28, v17
	v_and_b32_e32 v16, 15, v16
	v_lshlrev_b32_e32 v14, v20, v14
	v_sub_u32_e32 v17, 29, v17
	v_and_b32_e32 v14, 7, v14
	v_cmp_eq_u16_e32 vcc, 0, v16
	v_cndmask_b32_e32 v13, v13, v14, vcc
	v_cndmask_b32_e32 v14, v16, v17, vcc
	v_lshlrev_b32_e32 v16, 16, v18
	v_mov_b32_e32 v17, 0x3b800000
	v_lshlrev_b32_e32 v13, 20, v13
	v_and_b32_e32 v16, 0x80000000, v16
	v_lshl_add_u32 v14, v14, 23, v17
	v_or3_b32 v13, v16, v14, v13
.LBB1_460:
	s_or_b64 exec, exec, s[6:7]
	v_lshrrev_b32_e32 v14, 8, v12
	s_movk_i32 s4, 0x7f
	v_cmp_gt_i16_sdwa s[6:7], v14, s4 src0_sel:BYTE_0 src1_sel:DWORD
	s_mov_b64 s[4:5], 0
                                        ; implicit-def: $sgpr10
	s_and_saveexec_b64 s[8:9], s[6:7]
	s_xor_b64 s[6:7], exec, s[8:9]
	s_cbranch_execz .LBB1_461
; %bb.10453:
	s_getpc_b64 s[14:15]
.Lpost_getpc1130:
	s_add_u32 s14, s14, (.LBB1_4557-.Lpost_getpc1130)&4294967295
	s_addc_u32 s15, s15, (.LBB1_4557-.Lpost_getpc1130)>>32
	s_setpc_b64 s[14:15]
.LBB1_461:
	s_or_saveexec_b64 s[6:7], s[6:7]
	v_mov_b32_e32 v16, s10
	s_xor_b64 exec, exec, s[6:7]
	s_cbranch_execz .LBB1_462
; %bb.10455:
	s_getpc_b64 s[14:15]
.Lpost_getpc1131:
	s_add_u32 s14, s14, (.LBB1_4560-.Lpost_getpc1131)&4294967295
	s_addc_u32 s15, s15, (.LBB1_4560-.Lpost_getpc1131)>>32
	s_setpc_b64 s[14:15]
.LBB1_462:
	s_or_b64 exec, exec, s[6:7]
	s_and_saveexec_b64 s[6:7], s[4:5]
	s_cbranch_execz .LBB1_464
.LBB1_463:
	v_bfe_u32 v16, v12, 8, 2
	v_ffbh_u32_e32 v20, v16
	v_min_u32_e32 v20, 32, v20
	v_lshrrev_b16_e32 v17, 2, v14
	v_subrev_u32_e32 v21, 29, v20
	v_and_b32_e32 v17, 31, v17
	v_lshlrev_b32_e32 v14, v21, v14
	v_sub_u32_e32 v20, 30, v20
	v_and_b32_e32 v14, 3, v14
	v_cmp_eq_u16_e32 vcc, 0, v17
	v_cndmask_b32_e32 v14, v16, v14, vcc
	v_cndmask_b32_e32 v16, v17, v20, vcc
	v_lshlrev_b32_e32 v17, 16, v12
	v_mov_b32_e32 v20, 0x37800000
	v_lshlrev_b32_e32 v14, 21, v14
	v_and_b32_e32 v17, 0x80000000, v17
	v_lshl_add_u32 v16, v16, 23, v20
	v_or3_b32 v16, v17, v16, v14
.LBB1_464:
	s_or_b64 exec, exec, s[6:7]
	s_nop 0
	v_mfma_f32_16x16x4f32 a[0:3], v13, v16, a[0:3]
	s_movk_i32 s4, 0xff
	v_and_b32_sdwa v14, v18, s4 dst_sel:DWORD dst_unused:UNUSED_PAD src0_sel:WORD_1 src1_sel:DWORD
	s_movk_i32 s4, 0x7f
	v_cmp_lt_i16_e32 vcc, s4, v14
	s_mov_b64 s[4:5], 0
                                        ; implicit-def: $sgpr10
	s_and_saveexec_b64 s[6:7], vcc
	s_xor_b64 s[6:7], exec, s[6:7]
	s_cbranch_execz .LBB1_465
; %bb.10457:
	s_getpc_b64 s[14:15]
.Lpost_getpc1132:
	s_add_u32 s14, s14, (.LBB1_4561-.Lpost_getpc1132)&4294967295
	s_addc_u32 s15, s15, (.LBB1_4561-.Lpost_getpc1132)>>32
	s_setpc_b64 s[14:15]
.LBB1_465:
	s_or_saveexec_b64 s[6:7], s[6:7]
	v_mov_b32_e32 v13, s10
	s_xor_b64 exec, exec, s[6:7]
	s_cbranch_execz .LBB1_466
; %bb.10459:
	s_getpc_b64 s[14:15]
.Lpost_getpc1133:
	s_add_u32 s14, s14, (.LBB1_4564-.Lpost_getpc1133)&4294967295
	s_addc_u32 s15, s15, (.LBB1_4564-.Lpost_getpc1133)>>32
	s_setpc_b64 s[14:15]
.LBB1_466:
	s_or_b64 exec, exec, s[6:7]
	s_and_saveexec_b64 s[6:7], s[4:5]
	s_cbranch_execz .LBB1_468
.LBB1_467:
	v_bfe_u32 v13, v18, 16, 3
	v_ffbh_u32_e32 v17, v13
	v_min_u32_e32 v17, 32, v17
	v_lshrrev_b32_e32 v14, 19, v18
	v_subrev_u32_e32 v20, 28, v17
	v_and_b32_e32 v14, 15, v14
	v_lshlrev_b32_sdwa v20, v20, v18 dst_sel:DWORD dst_unused:UNUSED_PAD src0_sel:DWORD src1_sel:WORD_1
	v_bfe_u32 v16, v18, 19, 4
	v_sub_u32_e32 v17, 29, v17
	v_and_b32_e32 v20, 7, v20
	v_cmp_eq_u16_e32 vcc, 0, v14
	v_cndmask_b32_e32 v13, v13, v20, vcc
	v_cndmask_b32_e32 v14, v16, v17, vcc
	v_lshlrev_b32_e32 v16, 8, v18
	v_mov_b32_e32 v17, 0x3b800000
	v_lshlrev_b32_e32 v13, 20, v13
	v_and_b32_e32 v16, 0x80000000, v16
	v_lshl_add_u32 v14, v14, 23, v17
	v_or3_b32 v13, v16, v14, v13
.LBB1_468:
	s_or_b64 exec, exec, s[6:7]
	s_movk_i32 s4, 0xff
	v_and_b32_sdwa v14, v12, s4 dst_sel:DWORD dst_unused:UNUSED_PAD src0_sel:WORD_1 src1_sel:DWORD
	s_movk_i32 s4, 0x7f
	v_cmp_lt_i16_e32 vcc, s4, v14
	s_mov_b64 s[4:5], 0
                                        ; implicit-def: $sgpr10
	s_and_saveexec_b64 s[6:7], vcc
	s_xor_b64 s[6:7], exec, s[6:7]
	s_cbranch_execz .LBB1_469
; %bb.10461:
	s_getpc_b64 s[14:15]
.Lpost_getpc1134:
	s_add_u32 s14, s14, (.LBB1_4565-.Lpost_getpc1134)&4294967295
	s_addc_u32 s15, s15, (.LBB1_4565-.Lpost_getpc1134)>>32
	s_setpc_b64 s[14:15]
.LBB1_469:
	s_or_saveexec_b64 s[6:7], s[6:7]
	v_mov_b32_e32 v16, s10
	s_xor_b64 exec, exec, s[6:7]
	s_cbranch_execz .LBB1_470
; %bb.10463:
	s_getpc_b64 s[14:15]
.Lpost_getpc1135:
	s_add_u32 s14, s14, (.LBB1_4568-.Lpost_getpc1135)&4294967295
	s_addc_u32 s15, s15, (.LBB1_4568-.Lpost_getpc1135)>>32
	s_setpc_b64 s[14:15]
.LBB1_470:
	s_or_b64 exec, exec, s[6:7]
	s_and_saveexec_b64 s[6:7], s[4:5]
	s_cbranch_execz .LBB1_472
.LBB1_471:
	v_bfe_u32 v14, v12, 16, 2
	v_ffbh_u32_e32 v20, v14
	v_min_u32_e32 v20, 32, v20
	v_lshrrev_b32_e32 v16, 18, v12
	v_subrev_u32_e32 v21, 29, v20
	v_and_b32_e32 v16, 31, v16
	v_lshlrev_b32_sdwa v21, v21, v12 dst_sel:DWORD dst_unused:UNUSED_PAD src0_sel:DWORD src1_sel:WORD_1
	v_bfe_u32 v17, v12, 18, 5
	v_sub_u32_e32 v20, 30, v20
	v_and_b32_e32 v21, 3, v21
	v_cmp_eq_u16_e32 vcc, 0, v16
	v_cndmask_b32_e32 v14, v14, v21, vcc
	v_cndmask_b32_e32 v16, v17, v20, vcc
	v_lshlrev_b32_e32 v17, 8, v12
	v_mov_b32_e32 v20, 0x37800000
	v_lshlrev_b32_e32 v14, 21, v14
	v_and_b32_e32 v17, 0x80000000, v17
	v_lshl_add_u32 v16, v16, 23, v20
	v_or3_b32 v16, v17, v16, v14
.LBB1_472:
	s_or_b64 exec, exec, s[6:7]
	s_nop 0
	v_mfma_f32_16x16x4f32 a[0:3], v13, v16, a[0:3]
	s_movk_i32 s4, 0x7f
	v_cmp_gt_i16_sdwa s[6:7], v18, s4 src0_sel:BYTE_3 src1_sel:DWORD
	s_mov_b64 s[4:5], 0
                                        ; implicit-def: $sgpr10
	s_and_saveexec_b64 s[8:9], s[6:7]
	s_xor_b64 s[6:7], exec, s[8:9]
	s_cbranch_execz .LBB1_473
; %bb.10465:
	s_getpc_b64 s[14:15]
.Lpost_getpc1136:
	s_add_u32 s14, s14, (.LBB1_4569-.Lpost_getpc1136)&4294967295
	s_addc_u32 s15, s15, (.LBB1_4569-.Lpost_getpc1136)>>32
	s_setpc_b64 s[14:15]
.LBB1_473:
	s_or_saveexec_b64 s[6:7], s[6:7]
	v_mov_b32_e32 v13, s10
	s_xor_b64 exec, exec, s[6:7]
	s_cbranch_execz .LBB1_474
; %bb.10467:
	s_getpc_b64 s[14:15]
.Lpost_getpc1137:
	s_add_u32 s14, s14, (.LBB1_4572-.Lpost_getpc1137)&4294967295
	s_addc_u32 s15, s15, (.LBB1_4572-.Lpost_getpc1137)>>32
	s_setpc_b64 s[14:15]
.LBB1_474:
	s_or_b64 exec, exec, s[6:7]
	s_and_saveexec_b64 s[6:7], s[4:5]
	s_cbranch_execz .LBB1_476
.LBB1_475:
	v_bfe_u32 v13, v18, 24, 3
	v_ffbh_u32_e32 v20, v13
	v_min_u32_e32 v20, 32, v20
	v_lshrrev_b32_e32 v16, 27, v18
	v_subrev_u32_e32 v21, 28, v20
	v_and_b32_e32 v14, 0x80000000, v18
	v_and_b32_e32 v16, 15, v16
	v_bfe_u32 v17, v18, 27, 4
	v_lshlrev_b32_sdwa v18, v21, v18 dst_sel:DWORD dst_unused:UNUSED_PAD src0_sel:DWORD src1_sel:BYTE_3
	v_sub_u32_e32 v20, 29, v20
	v_and_b32_e32 v18, 7, v18
	v_cmp_eq_u16_e32 vcc, 0, v16
	v_cndmask_b32_e32 v13, v13, v18, vcc
	v_cndmask_b32_e32 v16, v17, v20, vcc
	v_mov_b32_e32 v17, 0x3b800000
	v_lshlrev_b32_e32 v13, 20, v13
	v_lshl_add_u32 v16, v16, 23, v17
	v_or3_b32 v13, v14, v16, v13
.LBB1_476:
	s_or_b64 exec, exec, s[6:7]
	s_movk_i32 s4, 0x7f
	v_cmp_gt_i16_sdwa s[6:7], v12, s4 src0_sel:BYTE_3 src1_sel:DWORD
	s_mov_b64 s[4:5], 0
                                        ; implicit-def: $sgpr10
	s_and_saveexec_b64 s[8:9], s[6:7]
	s_xor_b64 s[6:7], exec, s[8:9]
	s_cbranch_execz .LBB1_477
; %bb.10469:
	s_getpc_b64 s[14:15]
.Lpost_getpc1138:
	s_add_u32 s14, s14, (.LBB1_4573-.Lpost_getpc1138)&4294967295
	s_addc_u32 s15, s15, (.LBB1_4573-.Lpost_getpc1138)>>32
	s_setpc_b64 s[14:15]
.LBB1_477:
	s_or_saveexec_b64 s[6:7], s[6:7]
	v_mov_b32_e32 v14, s10
	s_xor_b64 exec, exec, s[6:7]
	s_cbranch_execz .LBB1_478
; %bb.10471:
	s_getpc_b64 s[14:15]
.Lpost_getpc1139:
	s_add_u32 s14, s14, (.LBB1_4576-.Lpost_getpc1139)&4294967295
	s_addc_u32 s15, s15, (.LBB1_4576-.Lpost_getpc1139)>>32
	s_setpc_b64 s[14:15]
.LBB1_478:
	s_or_b64 exec, exec, s[6:7]
	s_and_saveexec_b64 s[6:7], s[4:5]
	s_cbranch_execz .LBB1_480
.LBB1_479:
	v_bfe_u32 v14, v12, 24, 2
	v_ffbh_u32_e32 v20, v14
	v_min_u32_e32 v20, 32, v20
	v_lshrrev_b32_e32 v17, 26, v12
	v_subrev_u32_e32 v21, 29, v20
	v_and_b32_e32 v16, 0x80000000, v12
	v_and_b32_e32 v17, 31, v17
	v_bfe_u32 v18, v12, 26, 5
	v_lshlrev_b32_sdwa v12, v21, v12 dst_sel:DWORD dst_unused:UNUSED_PAD src0_sel:DWORD src1_sel:BYTE_3
	v_sub_u32_e32 v20, 30, v20
	v_and_b32_e32 v12, 3, v12
	v_cmp_eq_u16_e32 vcc, 0, v17
	v_cndmask_b32_e32 v12, v14, v12, vcc
	v_cndmask_b32_e32 v14, v18, v20, vcc
	v_mov_b32_e32 v17, 0x37800000
	v_lshlrev_b32_e32 v12, 21, v12
	v_lshl_add_u32 v14, v14, 23, v17
	v_or3_b32 v14, v16, v14, v12
.LBB1_480:
	s_or_b64 exec, exec, s[6:7]
	s_nop 0
	v_mfma_f32_16x16x4f32 a[0:3], v13, v14, a[0:3]
	s_movk_i32 s4, 0x7f
	v_cmp_gt_i16_sdwa s[6:7], v19, s4 src0_sel:BYTE_0 src1_sel:DWORD
	s_mov_b64 s[4:5], 0
                                        ; implicit-def: $sgpr10
	s_and_saveexec_b64 s[8:9], s[6:7]
	s_xor_b64 s[6:7], exec, s[8:9]
	s_cbranch_execz .LBB1_481
; %bb.10473:
	s_getpc_b64 s[14:15]
.Lpost_getpc1140:
	s_add_u32 s14, s14, (.LBB1_4577-.Lpost_getpc1140)&4294967295
	s_addc_u32 s15, s15, (.LBB1_4577-.Lpost_getpc1140)>>32
	s_setpc_b64 s[14:15]
.LBB1_481:
	s_or_saveexec_b64 s[6:7], s[6:7]
	v_mov_b32_e32 v12, s10
	s_xor_b64 exec, exec, s[6:7]
	s_cbranch_execz .LBB1_482
; %bb.10475:
	s_getpc_b64 s[14:15]
.Lpost_getpc1141:
	s_add_u32 s14, s14, (.LBB1_4580-.Lpost_getpc1141)&4294967295
	s_addc_u32 s15, s15, (.LBB1_4580-.Lpost_getpc1141)>>32
	s_setpc_b64 s[14:15]
.LBB1_482:
	s_or_b64 exec, exec, s[6:7]
	s_and_saveexec_b64 s[6:7], s[4:5]
	s_cbranch_execz .LBB1_484
.LBB1_483:
	v_mov_b32_e32 v12, 8
	v_and_b32_e32 v13, 7, v19
	v_lshrrev_b32_sdwa v12, v12, v19 dst_sel:BYTE_1 dst_unused:UNUSED_PAD src0_sel:DWORD src1_sel:DWORD
	v_ffbh_u32_e32 v14, v13
	v_or_b32_sdwa v12, v19, v12 dst_sel:DWORD dst_unused:UNUSED_PAD src0_sel:BYTE_0 src1_sel:DWORD
	v_min_u32_e32 v14, 32, v14
	v_lshrrev_b16_e32 v12, 3, v12
	v_subrev_u32_e32 v16, 28, v14
	v_and_b32_e32 v12, 15, v12
	v_lshlrev_b32_e32 v16, v16, v19
	v_sub_u32_e32 v14, 29, v14
	v_and_b32_e32 v16, 7, v16
	v_cmp_eq_u16_e32 vcc, 0, v12
	v_cndmask_b32_e32 v13, v13, v16, vcc
	v_cndmask_b32_e32 v12, v12, v14, vcc
	v_lshlrev_b32_e32 v14, 24, v19
	v_mov_b32_e32 v16, 0x3b800000
	v_lshlrev_b32_e32 v13, 20, v13
	v_and_b32_e32 v14, 0x80000000, v14
	v_lshl_add_u32 v12, v12, 23, v16
	v_or3_b32 v12, v14, v12, v13
.LBB1_484:
	s_or_b64 exec, exec, s[6:7]
	s_movk_i32 s4, 0x7f
	v_cmp_gt_i16_sdwa s[6:7], v15, s4 src0_sel:BYTE_0 src1_sel:DWORD
	s_mov_b64 s[4:5], 0
                                        ; implicit-def: $sgpr10
	s_and_saveexec_b64 s[8:9], s[6:7]
	s_xor_b64 s[6:7], exec, s[8:9]
	s_cbranch_execz .LBB1_485
; %bb.10477:
	s_getpc_b64 s[14:15]
.Lpost_getpc1142:
	s_add_u32 s14, s14, (.LBB1_4581-.Lpost_getpc1142)&4294967295
	s_addc_u32 s15, s15, (.LBB1_4581-.Lpost_getpc1142)>>32
	s_setpc_b64 s[14:15]
.LBB1_485:
	s_or_saveexec_b64 s[6:7], s[6:7]
	v_mov_b32_e32 v13, s10
	s_xor_b64 exec, exec, s[6:7]
	s_cbranch_execz .LBB1_486
; %bb.10479:
	s_getpc_b64 s[14:15]
.Lpost_getpc1143:
	s_add_u32 s14, s14, (.LBB1_4584-.Lpost_getpc1143)&4294967295
	s_addc_u32 s15, s15, (.LBB1_4584-.Lpost_getpc1143)>>32
	s_setpc_b64 s[14:15]
.LBB1_486:
	s_or_b64 exec, exec, s[6:7]
	s_and_saveexec_b64 s[6:7], s[4:5]
	s_cbranch_execz .LBB1_488
.LBB1_487:
	v_and_b32_e32 v13, 3, v15
	v_ffbh_u32_e32 v16, v13
	v_min_u32_e32 v16, 32, v16
	v_lshrrev_b16_e32 v14, 2, v15
	v_subrev_u32_e32 v17, 29, v16
	v_and_b32_e32 v14, 31, v14
	v_lshlrev_b32_e32 v17, v17, v15
	v_sub_u32_e32 v16, 30, v16
	v_and_b32_e32 v17, 3, v17
	v_cmp_eq_u16_e32 vcc, 0, v14
	v_cndmask_b32_e32 v13, v13, v17, vcc
	v_cndmask_b32_e32 v14, v14, v16, vcc
	v_lshlrev_b32_e32 v16, 24, v15
	v_mov_b32_e32 v17, 0x37800000
	v_lshlrev_b32_e32 v13, 21, v13
	v_and_b32_e32 v16, 0x80000000, v16
	v_lshl_add_u32 v14, v14, 23, v17
	v_or3_b32 v13, v16, v14, v13
.LBB1_488:
	s_or_b64 exec, exec, s[6:7]
	s_nop 0
	v_mfma_f32_16x16x4f32 a[0:3], v12, v13, a[0:3]
	v_lshrrev_b32_e32 v13, 8, v19
	s_movk_i32 s4, 0x7f
	v_cmp_gt_i16_sdwa s[6:7], v13, s4 src0_sel:BYTE_0 src1_sel:DWORD
	s_mov_b64 s[4:5], 0
                                        ; implicit-def: $sgpr10
	s_and_saveexec_b64 s[8:9], s[6:7]
	s_xor_b64 s[6:7], exec, s[8:9]
	s_cbranch_execz .LBB1_489
; %bb.10481:
	s_getpc_b64 s[14:15]
.Lpost_getpc1144:
	s_add_u32 s14, s14, (.LBB1_4585-.Lpost_getpc1144)&4294967295
	s_addc_u32 s15, s15, (.LBB1_4585-.Lpost_getpc1144)>>32
	s_setpc_b64 s[14:15]
.LBB1_489:
	s_or_saveexec_b64 s[6:7], s[6:7]
	v_mov_b32_e32 v12, s10
	s_xor_b64 exec, exec, s[6:7]
	s_cbranch_execz .LBB1_490
; %bb.10483:
	s_getpc_b64 s[14:15]
.Lpost_getpc1145:
	s_add_u32 s14, s14, (.LBB1_4588-.Lpost_getpc1145)&4294967295
	s_addc_u32 s15, s15, (.LBB1_4588-.Lpost_getpc1145)>>32
	s_setpc_b64 s[14:15]
.LBB1_490:
	s_or_b64 exec, exec, s[6:7]
	s_and_saveexec_b64 s[6:7], s[4:5]
	s_cbranch_execz .LBB1_492
.LBB1_491:
	v_bfe_u32 v12, v19, 8, 3
	v_ffbh_u32_e32 v16, v12
	v_min_u32_e32 v16, 32, v16
	v_lshrrev_b16_e32 v14, 3, v13
	v_subrev_u32_e32 v17, 28, v16
	v_and_b32_e32 v14, 15, v14
	v_lshlrev_b32_e32 v13, v17, v13
	v_sub_u32_e32 v16, 29, v16
	v_and_b32_e32 v13, 7, v13
	v_cmp_eq_u16_e32 vcc, 0, v14
	v_cndmask_b32_e32 v12, v12, v13, vcc
	v_cndmask_b32_e32 v13, v14, v16, vcc
	v_lshlrev_b32_e32 v14, 16, v19
	v_mov_b32_e32 v16, 0x3b800000
	v_lshlrev_b32_e32 v12, 20, v12
	v_and_b32_e32 v14, 0x80000000, v14
	v_lshl_add_u32 v13, v13, 23, v16
	v_or3_b32 v12, v14, v13, v12
.LBB1_492:
	s_or_b64 exec, exec, s[6:7]
	v_lshrrev_b32_e32 v13, 8, v15
	s_movk_i32 s4, 0x7f
	v_cmp_gt_i16_sdwa s[6:7], v13, s4 src0_sel:BYTE_0 src1_sel:DWORD
	s_mov_b64 s[4:5], 0
                                        ; implicit-def: $sgpr10
	s_and_saveexec_b64 s[8:9], s[6:7]
	s_xor_b64 s[6:7], exec, s[8:9]
	s_cbranch_execz .LBB1_493
; %bb.10485:
	s_getpc_b64 s[14:15]
.Lpost_getpc1146:
	s_add_u32 s14, s14, (.LBB1_4589-.Lpost_getpc1146)&4294967295
	s_addc_u32 s15, s15, (.LBB1_4589-.Lpost_getpc1146)>>32
	s_setpc_b64 s[14:15]
.LBB1_493:
	s_or_saveexec_b64 s[6:7], s[6:7]
	v_mov_b32_e32 v14, s10
	s_xor_b64 exec, exec, s[6:7]
	s_cbranch_execz .LBB1_494
; %bb.10487:
	s_getpc_b64 s[14:15]
.Lpost_getpc1147:
	s_add_u32 s14, s14, (.LBB1_4592-.Lpost_getpc1147)&4294967295
	s_addc_u32 s15, s15, (.LBB1_4592-.Lpost_getpc1147)>>32
	s_setpc_b64 s[14:15]
.LBB1_494:
	s_or_b64 exec, exec, s[6:7]
	s_and_saveexec_b64 s[6:7], s[4:5]
	s_cbranch_execz .LBB1_496
.LBB1_495:
	v_bfe_u32 v14, v15, 8, 2
	v_ffbh_u32_e32 v17, v14
	v_min_u32_e32 v17, 32, v17
	v_lshrrev_b16_e32 v16, 2, v13
	v_subrev_u32_e32 v18, 29, v17
	v_and_b32_e32 v16, 31, v16
	v_lshlrev_b32_e32 v13, v18, v13
	v_sub_u32_e32 v17, 30, v17
	v_and_b32_e32 v13, 3, v13
	v_cmp_eq_u16_e32 vcc, 0, v16
	v_cndmask_b32_e32 v13, v14, v13, vcc
	v_cndmask_b32_e32 v14, v16, v17, vcc
	v_lshlrev_b32_e32 v16, 16, v15
	v_mov_b32_e32 v17, 0x37800000
	v_lshlrev_b32_e32 v13, 21, v13
	v_and_b32_e32 v16, 0x80000000, v16
	v_lshl_add_u32 v14, v14, 23, v17
	v_or3_b32 v14, v16, v14, v13
.LBB1_496:
	s_or_b64 exec, exec, s[6:7]
	s_nop 0
	v_mfma_f32_16x16x4f32 a[0:3], v12, v14, a[0:3]
	s_movk_i32 s4, 0xff
	v_and_b32_sdwa v13, v19, s4 dst_sel:DWORD dst_unused:UNUSED_PAD src0_sel:WORD_1 src1_sel:DWORD
	s_movk_i32 s4, 0x7f
	v_cmp_lt_i16_e32 vcc, s4, v13
	s_mov_b64 s[4:5], 0
                                        ; implicit-def: $sgpr10
	s_and_saveexec_b64 s[6:7], vcc
	s_xor_b64 s[6:7], exec, s[6:7]
	s_cbranch_execz .LBB1_497
; %bb.10489:
	s_getpc_b64 s[14:15]
.Lpost_getpc1148:
	s_add_u32 s14, s14, (.LBB1_4593-.Lpost_getpc1148)&4294967295
	s_addc_u32 s15, s15, (.LBB1_4593-.Lpost_getpc1148)>>32
	s_setpc_b64 s[14:15]
.LBB1_497:
	s_or_saveexec_b64 s[6:7], s[6:7]
	v_mov_b32_e32 v12, s10
	s_xor_b64 exec, exec, s[6:7]
	s_cbranch_execz .LBB1_498
; %bb.10491:
	s_getpc_b64 s[14:15]
.Lpost_getpc1149:
	s_add_u32 s14, s14, (.LBB1_4596-.Lpost_getpc1149)&4294967295
	s_addc_u32 s15, s15, (.LBB1_4596-.Lpost_getpc1149)>>32
	s_setpc_b64 s[14:15]
.LBB1_498:
	s_or_b64 exec, exec, s[6:7]
	s_and_saveexec_b64 s[6:7], s[4:5]
	s_cbranch_execz .LBB1_500
.LBB1_499:
	v_bfe_u32 v12, v19, 16, 3
	v_ffbh_u32_e32 v16, v12
	v_min_u32_e32 v16, 32, v16
	v_lshrrev_b32_e32 v13, 19, v19
	v_subrev_u32_e32 v17, 28, v16
	v_and_b32_e32 v13, 15, v13
	v_lshlrev_b32_sdwa v17, v17, v19 dst_sel:DWORD dst_unused:UNUSED_PAD src0_sel:DWORD src1_sel:WORD_1
	v_bfe_u32 v14, v19, 19, 4
	v_sub_u32_e32 v16, 29, v16
	v_and_b32_e32 v17, 7, v17
	v_cmp_eq_u16_e32 vcc, 0, v13
	v_cndmask_b32_e32 v12, v12, v17, vcc
	v_cndmask_b32_e32 v13, v14, v16, vcc
	v_lshlrev_b32_e32 v14, 8, v19
	v_mov_b32_e32 v16, 0x3b800000
	v_lshlrev_b32_e32 v12, 20, v12
	v_and_b32_e32 v14, 0x80000000, v14
	v_lshl_add_u32 v13, v13, 23, v16
	v_or3_b32 v12, v14, v13, v12
.LBB1_500:
	s_or_b64 exec, exec, s[6:7]
	s_movk_i32 s4, 0xff
	v_and_b32_sdwa v13, v15, s4 dst_sel:DWORD dst_unused:UNUSED_PAD src0_sel:WORD_1 src1_sel:DWORD
	s_movk_i32 s4, 0x7f
	v_cmp_lt_i16_e32 vcc, s4, v13
	s_mov_b64 s[4:5], 0
                                        ; implicit-def: $sgpr10
	s_and_saveexec_b64 s[6:7], vcc
	s_xor_b64 s[6:7], exec, s[6:7]
	s_cbranch_execz .LBB1_501
; %bb.10493:
	s_getpc_b64 s[14:15]
.Lpost_getpc1150:
	s_add_u32 s14, s14, (.LBB1_4597-.Lpost_getpc1150)&4294967295
	s_addc_u32 s15, s15, (.LBB1_4597-.Lpost_getpc1150)>>32
	s_setpc_b64 s[14:15]
.LBB1_501:
	s_or_saveexec_b64 s[6:7], s[6:7]
	v_mov_b32_e32 v14, s10
	s_xor_b64 exec, exec, s[6:7]
	s_cbranch_execz .LBB1_502
; %bb.10495:
	s_getpc_b64 s[14:15]
.Lpost_getpc1151:
	s_add_u32 s14, s14, (.LBB1_4600-.Lpost_getpc1151)&4294967295
	s_addc_u32 s15, s15, (.LBB1_4600-.Lpost_getpc1151)>>32
	s_setpc_b64 s[14:15]
.LBB1_502:
	s_or_b64 exec, exec, s[6:7]
	s_and_saveexec_b64 s[6:7], s[4:5]
	s_cbranch_execz .LBB1_504
.LBB1_503:
	v_bfe_u32 v13, v15, 16, 2
	v_ffbh_u32_e32 v17, v13
	v_min_u32_e32 v17, 32, v17
	v_lshrrev_b32_e32 v14, 18, v15
	v_subrev_u32_e32 v18, 29, v17
	v_and_b32_e32 v14, 31, v14
	v_lshlrev_b32_sdwa v18, v18, v15 dst_sel:DWORD dst_unused:UNUSED_PAD src0_sel:DWORD src1_sel:WORD_1
	v_bfe_u32 v16, v15, 18, 5
	v_sub_u32_e32 v17, 30, v17
	v_and_b32_e32 v18, 3, v18
	v_cmp_eq_u16_e32 vcc, 0, v14
	v_cndmask_b32_e32 v13, v13, v18, vcc
	v_cndmask_b32_e32 v14, v16, v17, vcc
	v_lshlrev_b32_e32 v16, 8, v15
	v_mov_b32_e32 v17, 0x37800000
	v_lshlrev_b32_e32 v13, 21, v13
	v_and_b32_e32 v16, 0x80000000, v16
	v_lshl_add_u32 v14, v14, 23, v17
	v_or3_b32 v14, v16, v14, v13
.LBB1_504:
	s_or_b64 exec, exec, s[6:7]
	s_nop 0
	v_mfma_f32_16x16x4f32 a[0:3], v12, v14, a[0:3]
	s_movk_i32 s4, 0x7f
	v_cmp_gt_i16_sdwa s[6:7], v19, s4 src0_sel:BYTE_3 src1_sel:DWORD
	s_mov_b64 s[4:5], 0
                                        ; implicit-def: $sgpr10
	s_and_saveexec_b64 s[8:9], s[6:7]
	s_xor_b64 s[6:7], exec, s[8:9]
	s_cbranch_execz .LBB1_505
; %bb.10497:
	s_getpc_b64 s[14:15]
.Lpost_getpc1152:
	s_add_u32 s14, s14, (.LBB1_4601-.Lpost_getpc1152)&4294967295
	s_addc_u32 s15, s15, (.LBB1_4601-.Lpost_getpc1152)>>32
	s_setpc_b64 s[14:15]
.LBB1_505:
	s_or_saveexec_b64 s[6:7], s[6:7]
	v_mov_b32_e32 v12, s10
	s_xor_b64 exec, exec, s[6:7]
	s_cbranch_execz .LBB1_506
; %bb.10499:
	s_getpc_b64 s[14:15]
.Lpost_getpc1153:
	s_add_u32 s14, s14, (.LBB1_4604-.Lpost_getpc1153)&4294967295
	s_addc_u32 s15, s15, (.LBB1_4604-.Lpost_getpc1153)>>32
	s_setpc_b64 s[14:15]
.LBB1_506:
	s_or_b64 exec, exec, s[6:7]
	s_and_saveexec_b64 s[6:7], s[4:5]
	s_cbranch_execz .LBB1_508
.LBB1_507:
	v_bfe_u32 v12, v19, 24, 3
	v_ffbh_u32_e32 v17, v12
	v_min_u32_e32 v17, 32, v17
	v_lshrrev_b32_e32 v14, 27, v19
	v_subrev_u32_e32 v18, 28, v17
	v_and_b32_e32 v14, 15, v14
	v_lshlrev_b32_sdwa v18, v18, v19 dst_sel:DWORD dst_unused:UNUSED_PAD src0_sel:DWORD src1_sel:BYTE_3
	v_bfe_u32 v16, v19, 27, 4
	v_sub_u32_e32 v17, 29, v17
	v_and_b32_e32 v18, 7, v18
	v_cmp_eq_u16_e32 vcc, 0, v14
	v_cndmask_b32_e32 v12, v12, v18, vcc
	v_cndmask_b32_e32 v14, v16, v17, vcc
	v_mov_b32_e32 v16, 0x3b800000
	v_and_b32_e32 v13, 0x80000000, v19
	v_lshlrev_b32_e32 v12, 20, v12
	v_lshl_add_u32 v14, v14, 23, v16
	v_or3_b32 v12, v13, v14, v12
.LBB1_508:
	s_or_b64 exec, exec, s[6:7]
	s_movk_i32 s4, 0x7f
	v_cmp_gt_i16_sdwa s[6:7], v15, s4 src0_sel:BYTE_3 src1_sel:DWORD
	s_mov_b64 s[4:5], 0
                                        ; implicit-def: $sgpr10
	s_and_saveexec_b64 s[8:9], s[6:7]
	s_xor_b64 s[6:7], exec, s[8:9]
	s_cbranch_execz .LBB1_509
; %bb.10501:
	s_getpc_b64 s[14:15]
.Lpost_getpc1154:
	s_add_u32 s14, s14, (.LBB1_4605-.Lpost_getpc1154)&4294967295
	s_addc_u32 s15, s15, (.LBB1_4605-.Lpost_getpc1154)>>32
	s_setpc_b64 s[14:15]
.LBB1_509:
	s_or_saveexec_b64 s[6:7], s[6:7]
	v_mov_b32_e32 v13, s10
	s_xor_b64 exec, exec, s[6:7]
	s_cbranch_execz .LBB1_510
; %bb.10503:
	s_getpc_b64 s[14:15]
.Lpost_getpc1155:
	s_add_u32 s14, s14, (.LBB1_4608-.Lpost_getpc1155)&4294967295
	s_addc_u32 s15, s15, (.LBB1_4608-.Lpost_getpc1155)>>32
	s_setpc_b64 s[14:15]
.LBB1_510:
	s_or_b64 exec, exec, s[6:7]
	s_and_saveexec_b64 s[6:7], s[4:5]
	s_cbranch_execz .LBB1_512
.LBB1_511:
	v_bfe_u32 v13, v15, 24, 2
	v_ffbh_u32_e32 v18, v13
	v_min_u32_e32 v18, 32, v18
	v_lshrrev_b32_e32 v16, 26, v15
	v_subrev_u32_e32 v19, 29, v18
	v_and_b32_e32 v14, 0x80000000, v15
	v_and_b32_e32 v16, 31, v16
	v_bfe_u32 v17, v15, 26, 5
	v_lshlrev_b32_sdwa v15, v19, v15 dst_sel:DWORD dst_unused:UNUSED_PAD src0_sel:DWORD src1_sel:BYTE_3
	v_sub_u32_e32 v18, 30, v18
	v_and_b32_e32 v15, 3, v15
	v_cmp_eq_u16_e32 vcc, 0, v16
	v_cndmask_b32_e32 v13, v13, v15, vcc
	v_cndmask_b32_e32 v15, v17, v18, vcc
	v_mov_b32_e32 v16, 0x37800000
	v_lshlrev_b32_e32 v13, 21, v13
	v_lshl_add_u32 v15, v15, 23, v16
	v_or3_b32 v13, v14, v15, v13
.LBB1_512:
	s_or_b64 exec, exec, s[6:7]
	s_nop 0
	v_mfma_f32_16x16x4f32 a[0:3], v12, v13, a[0:3]
	v_mov_b32_e32 v16, 8
	s_movk_i32 s4, 0x7f
                                        ; implicit-def: $sgpr10
	s_nop 7
	s_nop 0
	flat_store_dwordx4 v[10:11], a[0:3] offset:48
	flat_load_dword v14, v[0:1] offset:512
	flat_load_dwordx2 v[12:13], v[2:3]
	s_waitcnt vmcnt(0) lgkmcnt(0)
	v_ashrrev_i32_e32 v15, 31, v14
	v_add_co_u32_e32 v12, vcc, v12, v14
	v_addc_co_u32_e32 v13, vcc, v13, v15, vcc
	flat_load_dwordx4 v[12:15], v[12:13] offset:512
	s_waitcnt vmcnt(0) lgkmcnt(0)
	flat_store_dwordx4 v[4:5], v[12:15]
	flat_load_dword v14, v[0:1] offset:544
	s_nop 0
	flat_load_dwordx2 v[12:13], v[6:7]
	s_waitcnt vmcnt(0) lgkmcnt(0)
	v_ashrrev_i32_e32 v15, 31, v14
	v_add_co_u32_e32 v12, vcc, v12, v14
	v_addc_co_u32_e32 v13, vcc, v13, v15, vcc
	flat_load_dwordx4 v[12:15], v[12:13]
	s_waitcnt vmcnt(0) lgkmcnt(0)
	v_lshrrev_b32_sdwa v20, v16, v14 dst_sel:BYTE_1 dst_unused:UNUSED_PAD src0_sel:DWORD src1_sel:DWORD
	flat_store_dwordx4 v[8:9], v[12:15]
	flat_load_dwordx4 v[16:19], v[4:5]
	s_waitcnt vmcnt(0) lgkmcnt(0)
	v_cmp_gt_i16_sdwa s[6:7], v16, s4 src0_sel:BYTE_0 src1_sel:DWORD
	s_mov_b64 s[4:5], 0
	s_and_saveexec_b64 s[8:9], s[6:7]
	s_xor_b64 s[6:7], exec, s[8:9]
	s_cbranch_execz .LBB1_513
; %bb.10505:
	s_getpc_b64 s[14:15]
.Lpost_getpc1156:
	s_add_u32 s14, s14, (.LBB1_4609-.Lpost_getpc1156)&4294967295
	s_addc_u32 s15, s15, (.LBB1_4609-.Lpost_getpc1156)>>32
	s_setpc_b64 s[14:15]
.LBB1_513:
	s_or_saveexec_b64 s[6:7], s[6:7]
	v_mov_b32_e32 v21, s10
	s_xor_b64 exec, exec, s[6:7]
	s_cbranch_execz .LBB1_514
; %bb.10507:
	s_getpc_b64 s[14:15]
.Lpost_getpc1157:
	s_add_u32 s14, s14, (.LBB1_4612-.Lpost_getpc1157)&4294967295
	s_addc_u32 s15, s15, (.LBB1_4612-.Lpost_getpc1157)>>32
	s_setpc_b64 s[14:15]
.LBB1_514:
	s_or_b64 exec, exec, s[6:7]
	s_and_saveexec_b64 s[6:7], s[4:5]
	s_cbranch_execz .LBB1_516
.LBB1_515:
	v_and_b32_e32 v21, 7, v16
	v_ffbh_u32_e32 v23, v21
	v_min_u32_e32 v23, 32, v23
	v_lshrrev_b16_e32 v22, 3, v16
	v_subrev_u32_e32 v24, 28, v23
	v_and_b32_e32 v22, 15, v22
	v_lshlrev_b32_e32 v24, v24, v16
	v_sub_u32_e32 v23, 29, v23
	v_and_b32_e32 v24, 7, v24
	v_cmp_eq_u16_e32 vcc, 0, v22
	v_cndmask_b32_e32 v21, v21, v24, vcc
	v_cndmask_b32_e32 v22, v22, v23, vcc
	v_lshlrev_b32_e32 v23, 24, v16
	v_mov_b32_e32 v24, 0x3b800000
	v_lshlrev_b32_e32 v21, 20, v21
	v_and_b32_e32 v23, 0x80000000, v23
	v_lshl_add_u32 v22, v22, 23, v24
	v_or3_b32 v21, v23, v22, v21
.LBB1_516:
	s_or_b64 exec, exec, s[6:7]
	s_movk_i32 s4, 0x7f
	v_cmp_gt_i16_sdwa s[6:7], v12, s4 src0_sel:BYTE_0 src1_sel:DWORD
	s_mov_b64 s[4:5], 0
                                        ; implicit-def: $sgpr10
	s_and_saveexec_b64 s[8:9], s[6:7]
	s_xor_b64 s[6:7], exec, s[8:9]
	s_cbranch_execz .LBB1_517
; %bb.10509:
	s_getpc_b64 s[14:15]
.Lpost_getpc1158:
	s_add_u32 s14, s14, (.LBB1_4613-.Lpost_getpc1158)&4294967295
	s_addc_u32 s15, s15, (.LBB1_4613-.Lpost_getpc1158)>>32
	s_setpc_b64 s[14:15]
.LBB1_517:
	s_or_saveexec_b64 s[6:7], s[6:7]
	v_mov_b32_e32 v22, s10
	s_xor_b64 exec, exec, s[6:7]
	s_cbranch_execz .LBB1_518
; %bb.10511:
	s_getpc_b64 s[14:15]
.Lpost_getpc1159:
	s_add_u32 s14, s14, (.LBB1_4616-.Lpost_getpc1159)&4294967295
	s_addc_u32 s15, s15, (.LBB1_4616-.Lpost_getpc1159)>>32
	s_setpc_b64 s[14:15]
.LBB1_518:
	s_or_b64 exec, exec, s[6:7]
	s_and_saveexec_b64 s[6:7], s[4:5]
	s_cbranch_execz .LBB1_520
.LBB1_519:
	v_and_b32_e32 v22, 3, v12
	v_ffbh_u32_e32 v24, v22
	v_min_u32_e32 v24, 32, v24
	v_lshrrev_b16_e32 v23, 2, v12
	v_subrev_u32_e32 v25, 29, v24
	v_and_b32_e32 v23, 31, v23
	v_lshlrev_b32_e32 v25, v25, v12
	v_sub_u32_e32 v24, 30, v24
	v_and_b32_e32 v25, 3, v25
	v_cmp_eq_u16_e32 vcc, 0, v23
	v_cndmask_b32_e32 v22, v22, v25, vcc
	v_cndmask_b32_e32 v23, v23, v24, vcc
	v_lshlrev_b32_e32 v24, 24, v12
	v_mov_b32_e32 v25, 0x37800000
	v_lshlrev_b32_e32 v22, 21, v22
	v_and_b32_e32 v24, 0x80000000, v24
	v_lshl_add_u32 v23, v23, 23, v25
	v_or3_b32 v22, v24, v23, v22
.LBB1_520:
	s_or_b64 exec, exec, s[6:7]
	flat_load_dwordx4 a[0:3], v[10:11] offset:64
	s_movk_i32 s4, 0x7f
                                        ; implicit-def: $sgpr10
	s_waitcnt vmcnt(0) lgkmcnt(0)
	v_mfma_f32_16x16x4f32 a[0:3], v21, v22, a[0:3]
	v_lshrrev_b32_e32 v22, 8, v16
	v_cmp_gt_i16_sdwa s[6:7], v22, s4 src0_sel:BYTE_0 src1_sel:DWORD
	s_mov_b64 s[4:5], 0
	s_and_saveexec_b64 s[8:9], s[6:7]
	s_xor_b64 s[6:7], exec, s[8:9]
	s_cbranch_execz .LBB1_521
; %bb.10513:
	s_getpc_b64 s[14:15]
.Lpost_getpc1160:
	s_add_u32 s14, s14, (.LBB1_4617-.Lpost_getpc1160)&4294967295
	s_addc_u32 s15, s15, (.LBB1_4617-.Lpost_getpc1160)>>32
	s_setpc_b64 s[14:15]
.LBB1_521:
	s_or_saveexec_b64 s[6:7], s[6:7]
	v_mov_b32_e32 v21, s10
	s_xor_b64 exec, exec, s[6:7]
	s_cbranch_execz .LBB1_522
; %bb.10515:
	s_getpc_b64 s[14:15]
.Lpost_getpc1161:
	s_add_u32 s14, s14, (.LBB1_4620-.Lpost_getpc1161)&4294967295
	s_addc_u32 s15, s15, (.LBB1_4620-.Lpost_getpc1161)>>32
	s_setpc_b64 s[14:15]
.LBB1_522:
	s_or_b64 exec, exec, s[6:7]
	s_and_saveexec_b64 s[6:7], s[4:5]
	s_cbranch_execz .LBB1_524
.LBB1_523:
	v_bfe_u32 v21, v16, 8, 3
	v_ffbh_u32_e32 v24, v21
	v_min_u32_e32 v24, 32, v24
	v_lshrrev_b16_e32 v23, 3, v22
	v_subrev_u32_e32 v25, 28, v24
	v_and_b32_e32 v23, 15, v23
	v_lshlrev_b32_e32 v22, v25, v22
	v_sub_u32_e32 v24, 29, v24
	v_and_b32_e32 v22, 7, v22
	v_cmp_eq_u16_e32 vcc, 0, v23
	v_cndmask_b32_e32 v21, v21, v22, vcc
	v_cndmask_b32_e32 v22, v23, v24, vcc
	v_lshlrev_b32_e32 v23, 16, v16
	v_mov_b32_e32 v24, 0x3b800000
	v_lshlrev_b32_e32 v21, 20, v21
	v_and_b32_e32 v23, 0x80000000, v23
	v_lshl_add_u32 v22, v22, 23, v24
	v_or3_b32 v21, v23, v22, v21
.LBB1_524:
	s_or_b64 exec, exec, s[6:7]
	v_lshrrev_b32_e32 v22, 8, v12
	s_movk_i32 s4, 0x7f
	v_cmp_gt_i16_sdwa s[6:7], v22, s4 src0_sel:BYTE_0 src1_sel:DWORD
	s_mov_b64 s[4:5], 0
                                        ; implicit-def: $sgpr10
	s_and_saveexec_b64 s[8:9], s[6:7]
	s_xor_b64 s[6:7], exec, s[8:9]
	s_cbranch_execz .LBB1_525
; %bb.10517:
	s_getpc_b64 s[14:15]
.Lpost_getpc1162:
	s_add_u32 s14, s14, (.LBB1_4621-.Lpost_getpc1162)&4294967295
	s_addc_u32 s15, s15, (.LBB1_4621-.Lpost_getpc1162)>>32
	s_setpc_b64 s[14:15]
.LBB1_525:
	s_or_saveexec_b64 s[6:7], s[6:7]
	v_mov_b32_e32 v23, s10
	s_xor_b64 exec, exec, s[6:7]
	s_cbranch_execz .LBB1_526
; %bb.10519:
	s_getpc_b64 s[14:15]
.Lpost_getpc1163:
	s_add_u32 s14, s14, (.LBB1_4624-.Lpost_getpc1163)&4294967295
	s_addc_u32 s15, s15, (.LBB1_4624-.Lpost_getpc1163)>>32
	s_setpc_b64 s[14:15]
.LBB1_526:
	s_or_b64 exec, exec, s[6:7]
	s_and_saveexec_b64 s[6:7], s[4:5]
	s_cbranch_execz .LBB1_528
.LBB1_527:
	v_bfe_u32 v23, v12, 8, 2
	v_ffbh_u32_e32 v25, v23
	v_min_u32_e32 v25, 32, v25
	v_lshrrev_b16_e32 v24, 2, v22
	v_subrev_u32_e32 v26, 29, v25
	v_and_b32_e32 v24, 31, v24
	v_lshlrev_b32_e32 v22, v26, v22
	v_sub_u32_e32 v25, 30, v25
	v_and_b32_e32 v22, 3, v22
	v_cmp_eq_u16_e32 vcc, 0, v24
	v_cndmask_b32_e32 v22, v23, v22, vcc
	v_cndmask_b32_e32 v23, v24, v25, vcc
	v_lshlrev_b32_e32 v24, 16, v12
	v_mov_b32_e32 v25, 0x37800000
	v_lshlrev_b32_e32 v22, 21, v22
	v_and_b32_e32 v24, 0x80000000, v24
	v_lshl_add_u32 v23, v23, 23, v25
	v_or3_b32 v23, v24, v23, v22
.LBB1_528:
	s_or_b64 exec, exec, s[6:7]
	s_nop 0
	v_mfma_f32_16x16x4f32 a[0:3], v21, v23, a[0:3]
	s_movk_i32 s4, 0xff
	v_and_b32_sdwa v22, v16, s4 dst_sel:DWORD dst_unused:UNUSED_PAD src0_sel:WORD_1 src1_sel:DWORD
	s_movk_i32 s4, 0x7f
	v_cmp_lt_i16_e32 vcc, s4, v22
	s_mov_b64 s[4:5], 0
                                        ; implicit-def: $sgpr10
	s_and_saveexec_b64 s[6:7], vcc
	s_xor_b64 s[6:7], exec, s[6:7]
	s_cbranch_execz .LBB1_529
; %bb.10521:
	s_getpc_b64 s[14:15]
.Lpost_getpc1164:
	s_add_u32 s14, s14, (.LBB1_4625-.Lpost_getpc1164)&4294967295
	s_addc_u32 s15, s15, (.LBB1_4625-.Lpost_getpc1164)>>32
	s_setpc_b64 s[14:15]
.LBB1_529:
	s_or_saveexec_b64 s[6:7], s[6:7]
	v_mov_b32_e32 v21, s10
	s_xor_b64 exec, exec, s[6:7]
	s_cbranch_execz .LBB1_530
; %bb.10523:
	s_getpc_b64 s[14:15]
.Lpost_getpc1165:
	s_add_u32 s14, s14, (.LBB1_4628-.Lpost_getpc1165)&4294967295
	s_addc_u32 s15, s15, (.LBB1_4628-.Lpost_getpc1165)>>32
	s_setpc_b64 s[14:15]
.LBB1_530:
	s_or_b64 exec, exec, s[6:7]
	s_and_saveexec_b64 s[6:7], s[4:5]
	s_cbranch_execz .LBB1_532
.LBB1_531:
	v_bfe_u32 v21, v16, 16, 3
	v_ffbh_u32_e32 v24, v21
	v_min_u32_e32 v24, 32, v24
	v_lshrrev_b32_e32 v22, 19, v16
	v_subrev_u32_e32 v25, 28, v24
	v_and_b32_e32 v22, 15, v22
	v_lshlrev_b32_sdwa v25, v25, v16 dst_sel:DWORD dst_unused:UNUSED_PAD src0_sel:DWORD src1_sel:WORD_1
	v_bfe_u32 v23, v16, 19, 4
	v_sub_u32_e32 v24, 29, v24
	v_and_b32_e32 v25, 7, v25
	v_cmp_eq_u16_e32 vcc, 0, v22
	v_cndmask_b32_e32 v21, v21, v25, vcc
	v_cndmask_b32_e32 v22, v23, v24, vcc
	v_lshlrev_b32_e32 v23, 8, v16
	v_mov_b32_e32 v24, 0x3b800000
	v_lshlrev_b32_e32 v21, 20, v21
	v_and_b32_e32 v23, 0x80000000, v23
	v_lshl_add_u32 v22, v22, 23, v24
	v_or3_b32 v21, v23, v22, v21
.LBB1_532:
	s_or_b64 exec, exec, s[6:7]
	s_movk_i32 s4, 0xff
	v_and_b32_sdwa v22, v12, s4 dst_sel:DWORD dst_unused:UNUSED_PAD src0_sel:WORD_1 src1_sel:DWORD
	s_movk_i32 s4, 0x7f
	v_cmp_lt_i16_e32 vcc, s4, v22
	s_mov_b64 s[4:5], 0
                                        ; implicit-def: $sgpr10
	s_and_saveexec_b64 s[6:7], vcc
	s_xor_b64 s[6:7], exec, s[6:7]
	s_cbranch_execz .LBB1_533
; %bb.10525:
	s_getpc_b64 s[14:15]
.Lpost_getpc1166:
	s_add_u32 s14, s14, (.LBB1_4629-.Lpost_getpc1166)&4294967295
	s_addc_u32 s15, s15, (.LBB1_4629-.Lpost_getpc1166)>>32
	s_setpc_b64 s[14:15]
.LBB1_533:
	s_or_saveexec_b64 s[6:7], s[6:7]
	v_mov_b32_e32 v23, s10
	s_xor_b64 exec, exec, s[6:7]
	s_cbranch_execz .LBB1_534
; %bb.10527:
	s_getpc_b64 s[14:15]
.Lpost_getpc1167:
	s_add_u32 s14, s14, (.LBB1_4632-.Lpost_getpc1167)&4294967295
	s_addc_u32 s15, s15, (.LBB1_4632-.Lpost_getpc1167)>>32
	s_setpc_b64 s[14:15]
.LBB1_534:
	s_or_b64 exec, exec, s[6:7]
	s_and_saveexec_b64 s[6:7], s[4:5]
	s_cbranch_execz .LBB1_536
.LBB1_535:
	v_bfe_u32 v22, v12, 16, 2
	v_ffbh_u32_e32 v25, v22
	v_min_u32_e32 v25, 32, v25
	v_lshrrev_b32_e32 v23, 18, v12
	v_subrev_u32_e32 v26, 29, v25
	v_and_b32_e32 v23, 31, v23
	v_lshlrev_b32_sdwa v26, v26, v12 dst_sel:DWORD dst_unused:UNUSED_PAD src0_sel:DWORD src1_sel:WORD_1
	v_bfe_u32 v24, v12, 18, 5
	v_sub_u32_e32 v25, 30, v25
	v_and_b32_e32 v26, 3, v26
	v_cmp_eq_u16_e32 vcc, 0, v23
	v_cndmask_b32_e32 v22, v22, v26, vcc
	v_cndmask_b32_e32 v23, v24, v25, vcc
	v_lshlrev_b32_e32 v24, 8, v12
	v_mov_b32_e32 v25, 0x37800000
	v_lshlrev_b32_e32 v22, 21, v22
	v_and_b32_e32 v24, 0x80000000, v24
	v_lshl_add_u32 v23, v23, 23, v25
	v_or3_b32 v23, v24, v23, v22
.LBB1_536:
	s_or_b64 exec, exec, s[6:7]
	s_nop 0
	v_mfma_f32_16x16x4f32 a[0:3], v21, v23, a[0:3]
	s_movk_i32 s4, 0x7f
	v_cmp_gt_i16_sdwa s[6:7], v16, s4 src0_sel:BYTE_3 src1_sel:DWORD
	s_mov_b64 s[4:5], 0
                                        ; implicit-def: $sgpr10
	s_and_saveexec_b64 s[8:9], s[6:7]
	s_xor_b64 s[6:7], exec, s[8:9]
	s_cbranch_execz .LBB1_537
; %bb.10529:
	s_getpc_b64 s[14:15]
.Lpost_getpc1168:
	s_add_u32 s14, s14, (.LBB1_4633-.Lpost_getpc1168)&4294967295
	s_addc_u32 s15, s15, (.LBB1_4633-.Lpost_getpc1168)>>32
	s_setpc_b64 s[14:15]
.LBB1_537:
	s_or_saveexec_b64 s[6:7], s[6:7]
	v_mov_b32_e32 v21, s10
	s_xor_b64 exec, exec, s[6:7]
	s_cbranch_execz .LBB1_538
; %bb.10531:
	s_getpc_b64 s[14:15]
.Lpost_getpc1169:
	s_add_u32 s14, s14, (.LBB1_4636-.Lpost_getpc1169)&4294967295
	s_addc_u32 s15, s15, (.LBB1_4636-.Lpost_getpc1169)>>32
	s_setpc_b64 s[14:15]
.LBB1_538:
	s_or_b64 exec, exec, s[6:7]
	s_and_saveexec_b64 s[6:7], s[4:5]
	s_cbranch_execz .LBB1_540
.LBB1_539:
	v_bfe_u32 v21, v16, 24, 3
	v_ffbh_u32_e32 v25, v21
	v_min_u32_e32 v25, 32, v25
	v_lshrrev_b32_e32 v23, 27, v16
	v_subrev_u32_e32 v26, 28, v25
	v_and_b32_e32 v22, 0x80000000, v16
	v_and_b32_e32 v23, 15, v23
	v_bfe_u32 v24, v16, 27, 4
	v_lshlrev_b32_sdwa v16, v26, v16 dst_sel:DWORD dst_unused:UNUSED_PAD src0_sel:DWORD src1_sel:BYTE_3
	v_sub_u32_e32 v25, 29, v25
	v_and_b32_e32 v16, 7, v16
	v_cmp_eq_u16_e32 vcc, 0, v23
	v_cndmask_b32_e32 v16, v21, v16, vcc
	v_cndmask_b32_e32 v21, v24, v25, vcc
	v_mov_b32_e32 v23, 0x3b800000
	v_lshlrev_b32_e32 v16, 20, v16
	v_lshl_add_u32 v21, v21, 23, v23
	v_or3_b32 v21, v22, v21, v16
.LBB1_540:
	s_or_b64 exec, exec, s[6:7]
	s_movk_i32 s4, 0x7f
	v_cmp_gt_i16_sdwa s[6:7], v12, s4 src0_sel:BYTE_3 src1_sel:DWORD
	s_mov_b64 s[4:5], 0
                                        ; implicit-def: $sgpr10
	s_and_saveexec_b64 s[8:9], s[6:7]
	s_xor_b64 s[6:7], exec, s[8:9]
	s_cbranch_execz .LBB1_541
; %bb.10533:
	s_getpc_b64 s[14:15]
.Lpost_getpc1170:
	s_add_u32 s14, s14, (.LBB1_4637-.Lpost_getpc1170)&4294967295
	s_addc_u32 s15, s15, (.LBB1_4637-.Lpost_getpc1170)>>32
	s_setpc_b64 s[14:15]
.LBB1_541:
	s_or_saveexec_b64 s[6:7], s[6:7]
	v_mov_b32_e32 v16, s10
	s_xor_b64 exec, exec, s[6:7]
	s_cbranch_execz .LBB1_542
; %bb.10535:
	s_getpc_b64 s[14:15]
.Lpost_getpc1171:
	s_add_u32 s14, s14, (.LBB1_4640-.Lpost_getpc1171)&4294967295
	s_addc_u32 s15, s15, (.LBB1_4640-.Lpost_getpc1171)>>32
	s_setpc_b64 s[14:15]
.LBB1_542:
	s_or_b64 exec, exec, s[6:7]
	s_and_saveexec_b64 s[6:7], s[4:5]
	s_cbranch_execz .LBB1_544
.LBB1_543:
	v_bfe_u32 v16, v12, 24, 2
	v_ffbh_u32_e32 v25, v16
	v_min_u32_e32 v25, 32, v25
	v_lshrrev_b32_e32 v23, 26, v12
	v_subrev_u32_e32 v26, 29, v25
	v_and_b32_e32 v22, 0x80000000, v12
	v_and_b32_e32 v23, 31, v23
	v_bfe_u32 v24, v12, 26, 5
	v_lshlrev_b32_sdwa v12, v26, v12 dst_sel:DWORD dst_unused:UNUSED_PAD src0_sel:DWORD src1_sel:BYTE_3
	v_sub_u32_e32 v25, 30, v25
	v_and_b32_e32 v12, 3, v12
	v_cmp_eq_u16_e32 vcc, 0, v23
	v_cndmask_b32_e32 v12, v16, v12, vcc
	v_cndmask_b32_e32 v16, v24, v25, vcc
	v_mov_b32_e32 v23, 0x37800000
	v_lshlrev_b32_e32 v12, 21, v12
	v_lshl_add_u32 v16, v16, 23, v23
	v_or3_b32 v16, v22, v16, v12
.LBB1_544:
	s_or_b64 exec, exec, s[6:7]
	s_nop 0
	v_mfma_f32_16x16x4f32 a[0:3], v21, v16, a[0:3]
	s_movk_i32 s4, 0x7f
	v_cmp_gt_i16_sdwa s[6:7], v17, s4 src0_sel:BYTE_0 src1_sel:DWORD
	s_mov_b64 s[4:5], 0
                                        ; implicit-def: $sgpr10
	s_and_saveexec_b64 s[8:9], s[6:7]
	s_xor_b64 s[6:7], exec, s[8:9]
	s_cbranch_execz .LBB1_545
; %bb.10537:
	s_getpc_b64 s[14:15]
.Lpost_getpc1172:
	s_add_u32 s14, s14, (.LBB1_4641-.Lpost_getpc1172)&4294967295
	s_addc_u32 s15, s15, (.LBB1_4641-.Lpost_getpc1172)>>32
	s_setpc_b64 s[14:15]
.LBB1_545:
	s_or_saveexec_b64 s[6:7], s[6:7]
	v_mov_b32_e32 v12, s10
	s_xor_b64 exec, exec, s[6:7]
	s_cbranch_execz .LBB1_546
; %bb.10539:
	s_getpc_b64 s[14:15]
.Lpost_getpc1173:
	s_add_u32 s14, s14, (.LBB1_4644-.Lpost_getpc1173)&4294967295
	s_addc_u32 s15, s15, (.LBB1_4644-.Lpost_getpc1173)>>32
	s_setpc_b64 s[14:15]
.LBB1_546:
	s_or_b64 exec, exec, s[6:7]
	s_and_saveexec_b64 s[6:7], s[4:5]
	s_cbranch_execz .LBB1_548
.LBB1_547:
	v_and_b32_e32 v12, 7, v17
	v_ffbh_u32_e32 v21, v12
	v_min_u32_e32 v21, 32, v21
	v_lshrrev_b16_e32 v16, 3, v17
	v_subrev_u32_e32 v22, 28, v21
	v_and_b32_e32 v16, 15, v16
	v_lshlrev_b32_e32 v22, v22, v17
	v_sub_u32_e32 v21, 29, v21
	v_and_b32_e32 v22, 7, v22
	v_cmp_eq_u16_e32 vcc, 0, v16
	v_cndmask_b32_e32 v12, v12, v22, vcc
	v_cndmask_b32_e32 v16, v16, v21, vcc
	v_lshlrev_b32_e32 v21, 24, v17
	v_mov_b32_e32 v22, 0x3b800000
	v_lshlrev_b32_e32 v12, 20, v12
	v_and_b32_e32 v21, 0x80000000, v21
	v_lshl_add_u32 v16, v16, 23, v22
	v_or3_b32 v12, v21, v16, v12
.LBB1_548:
	s_or_b64 exec, exec, s[6:7]
	s_movk_i32 s4, 0x7f
	v_cmp_gt_i16_sdwa s[6:7], v13, s4 src0_sel:BYTE_0 src1_sel:DWORD
	s_mov_b64 s[4:5], 0
                                        ; implicit-def: $sgpr10
	s_and_saveexec_b64 s[8:9], s[6:7]
	s_xor_b64 s[6:7], exec, s[8:9]
	s_cbranch_execz .LBB1_549
; %bb.10541:
	s_getpc_b64 s[14:15]
.Lpost_getpc1174:
	s_add_u32 s14, s14, (.LBB1_4645-.Lpost_getpc1174)&4294967295
	s_addc_u32 s15, s15, (.LBB1_4645-.Lpost_getpc1174)>>32
	s_setpc_b64 s[14:15]
.LBB1_549:
	s_or_saveexec_b64 s[6:7], s[6:7]
	v_mov_b32_e32 v16, s10
	s_xor_b64 exec, exec, s[6:7]
	s_cbranch_execz .LBB1_550
; %bb.10543:
	s_getpc_b64 s[14:15]
.Lpost_getpc1175:
	s_add_u32 s14, s14, (.LBB1_4648-.Lpost_getpc1175)&4294967295
	s_addc_u32 s15, s15, (.LBB1_4648-.Lpost_getpc1175)>>32
	s_setpc_b64 s[14:15]
.LBB1_550:
	s_or_b64 exec, exec, s[6:7]
	s_and_saveexec_b64 s[6:7], s[4:5]
	s_cbranch_execz .LBB1_552
.LBB1_551:
	v_and_b32_e32 v16, 3, v13
	v_ffbh_u32_e32 v22, v16
	v_min_u32_e32 v22, 32, v22
	v_lshrrev_b16_e32 v21, 2, v13
	v_subrev_u32_e32 v23, 29, v22
	v_and_b32_e32 v21, 31, v21
	v_lshlrev_b32_e32 v23, v23, v13
	v_sub_u32_e32 v22, 30, v22
	v_and_b32_e32 v23, 3, v23
	v_cmp_eq_u16_e32 vcc, 0, v21
	v_cndmask_b32_e32 v16, v16, v23, vcc
	v_cndmask_b32_e32 v21, v21, v22, vcc
	v_lshlrev_b32_e32 v22, 24, v13
	v_mov_b32_e32 v23, 0x37800000
	v_lshlrev_b32_e32 v16, 21, v16
	v_and_b32_e32 v22, 0x80000000, v22
	v_lshl_add_u32 v21, v21, 23, v23
	v_or3_b32 v16, v22, v21, v16
.LBB1_552:
	s_or_b64 exec, exec, s[6:7]
	s_nop 0
	v_mfma_f32_16x16x4f32 a[0:3], v12, v16, a[0:3]
	v_lshrrev_b32_e32 v16, 8, v17
	s_movk_i32 s4, 0x7f
	v_cmp_gt_i16_sdwa s[6:7], v16, s4 src0_sel:BYTE_0 src1_sel:DWORD
	s_mov_b64 s[4:5], 0
                                        ; implicit-def: $sgpr10
	s_and_saveexec_b64 s[8:9], s[6:7]
	s_xor_b64 s[6:7], exec, s[8:9]
	s_cbranch_execz .LBB1_553
; %bb.10545:
	s_getpc_b64 s[14:15]
.Lpost_getpc1176:
	s_add_u32 s14, s14, (.LBB1_4649-.Lpost_getpc1176)&4294967295
	s_addc_u32 s15, s15, (.LBB1_4649-.Lpost_getpc1176)>>32
	s_setpc_b64 s[14:15]
.LBB1_553:
	s_or_saveexec_b64 s[6:7], s[6:7]
	v_mov_b32_e32 v12, s10
	s_xor_b64 exec, exec, s[6:7]
	s_cbranch_execz .LBB1_554
; %bb.10547:
	s_getpc_b64 s[14:15]
.Lpost_getpc1177:
	s_add_u32 s14, s14, (.LBB1_4652-.Lpost_getpc1177)&4294967295
	s_addc_u32 s15, s15, (.LBB1_4652-.Lpost_getpc1177)>>32
	s_setpc_b64 s[14:15]
.LBB1_554:
	s_or_b64 exec, exec, s[6:7]
	s_and_saveexec_b64 s[6:7], s[4:5]
	s_cbranch_execz .LBB1_556
.LBB1_555:
	v_bfe_u32 v12, v17, 8, 3
	v_ffbh_u32_e32 v22, v12
	v_min_u32_e32 v22, 32, v22
	v_lshrrev_b16_e32 v21, 3, v16
	v_subrev_u32_e32 v23, 28, v22
	v_and_b32_e32 v21, 15, v21
	v_lshlrev_b32_e32 v16, v23, v16
	v_sub_u32_e32 v22, 29, v22
	v_and_b32_e32 v16, 7, v16
	v_cmp_eq_u16_e32 vcc, 0, v21
	v_cndmask_b32_e32 v12, v12, v16, vcc
	v_cndmask_b32_e32 v16, v21, v22, vcc
	v_lshlrev_b32_e32 v21, 16, v17
	v_mov_b32_e32 v22, 0x3b800000
	v_lshlrev_b32_e32 v12, 20, v12
	v_and_b32_e32 v21, 0x80000000, v21
	v_lshl_add_u32 v16, v16, 23, v22
	v_or3_b32 v12, v21, v16, v12
.LBB1_556:
	s_or_b64 exec, exec, s[6:7]
	v_lshrrev_b32_e32 v16, 8, v13
	s_movk_i32 s4, 0x7f
	v_cmp_gt_i16_sdwa s[6:7], v16, s4 src0_sel:BYTE_0 src1_sel:DWORD
	s_mov_b64 s[4:5], 0
                                        ; implicit-def: $sgpr10
	s_and_saveexec_b64 s[8:9], s[6:7]
	s_xor_b64 s[6:7], exec, s[8:9]
	s_cbranch_execz .LBB1_557
; %bb.10549:
	s_getpc_b64 s[14:15]
.Lpost_getpc1178:
	s_add_u32 s14, s14, (.LBB1_4653-.Lpost_getpc1178)&4294967295
	s_addc_u32 s15, s15, (.LBB1_4653-.Lpost_getpc1178)>>32
	s_setpc_b64 s[14:15]
.LBB1_557:
	s_or_saveexec_b64 s[6:7], s[6:7]
	v_mov_b32_e32 v21, s10
	s_xor_b64 exec, exec, s[6:7]
	s_cbranch_execz .LBB1_558
; %bb.10551:
	s_getpc_b64 s[14:15]
.Lpost_getpc1179:
	s_add_u32 s14, s14, (.LBB1_4656-.Lpost_getpc1179)&4294967295
	s_addc_u32 s15, s15, (.LBB1_4656-.Lpost_getpc1179)>>32
	s_setpc_b64 s[14:15]
.LBB1_558:
	s_or_b64 exec, exec, s[6:7]
	s_and_saveexec_b64 s[6:7], s[4:5]
	s_cbranch_execz .LBB1_560
.LBB1_559:
	v_bfe_u32 v21, v13, 8, 2
	v_ffbh_u32_e32 v23, v21
	v_min_u32_e32 v23, 32, v23
	v_lshrrev_b16_e32 v22, 2, v16
	v_subrev_u32_e32 v24, 29, v23
	v_and_b32_e32 v22, 31, v22
	v_lshlrev_b32_e32 v16, v24, v16
	v_sub_u32_e32 v23, 30, v23
	v_and_b32_e32 v16, 3, v16
	v_cmp_eq_u16_e32 vcc, 0, v22
	v_cndmask_b32_e32 v16, v21, v16, vcc
	v_cndmask_b32_e32 v21, v22, v23, vcc
	v_lshlrev_b32_e32 v22, 16, v13
	v_mov_b32_e32 v23, 0x37800000
	v_lshlrev_b32_e32 v16, 21, v16
	v_and_b32_e32 v22, 0x80000000, v22
	v_lshl_add_u32 v21, v21, 23, v23
	v_or3_b32 v21, v22, v21, v16
.LBB1_560:
	s_or_b64 exec, exec, s[6:7]
	s_nop 0
	v_mfma_f32_16x16x4f32 a[0:3], v12, v21, a[0:3]
	s_movk_i32 s4, 0xff
	v_and_b32_sdwa v16, v17, s4 dst_sel:DWORD dst_unused:UNUSED_PAD src0_sel:WORD_1 src1_sel:DWORD
	s_movk_i32 s4, 0x7f
	v_cmp_lt_i16_e32 vcc, s4, v16
	s_mov_b64 s[4:5], 0
                                        ; implicit-def: $sgpr10
	s_and_saveexec_b64 s[6:7], vcc
	s_xor_b64 s[6:7], exec, s[6:7]
	s_cbranch_execz .LBB1_561
; %bb.10553:
	s_getpc_b64 s[14:15]
.Lpost_getpc1180:
	s_add_u32 s14, s14, (.LBB1_4657-.Lpost_getpc1180)&4294967295
	s_addc_u32 s15, s15, (.LBB1_4657-.Lpost_getpc1180)>>32
	s_setpc_b64 s[14:15]
.LBB1_561:
	s_or_saveexec_b64 s[6:7], s[6:7]
	v_mov_b32_e32 v12, s10
	s_xor_b64 exec, exec, s[6:7]
	s_cbranch_execz .LBB1_562
; %bb.10555:
	s_getpc_b64 s[14:15]
.Lpost_getpc1181:
	s_add_u32 s14, s14, (.LBB1_4660-.Lpost_getpc1181)&4294967295
	s_addc_u32 s15, s15, (.LBB1_4660-.Lpost_getpc1181)>>32
	s_setpc_b64 s[14:15]
.LBB1_562:
	s_or_b64 exec, exec, s[6:7]
	s_and_saveexec_b64 s[6:7], s[4:5]
	s_cbranch_execz .LBB1_564
.LBB1_563:
	v_bfe_u32 v12, v17, 16, 3
	v_ffbh_u32_e32 v22, v12
	v_min_u32_e32 v22, 32, v22
	v_lshrrev_b32_e32 v16, 19, v17
	v_subrev_u32_e32 v23, 28, v22
	v_and_b32_e32 v16, 15, v16
	v_lshlrev_b32_sdwa v23, v23, v17 dst_sel:DWORD dst_unused:UNUSED_PAD src0_sel:DWORD src1_sel:WORD_1
	v_bfe_u32 v21, v17, 19, 4
	v_sub_u32_e32 v22, 29, v22
	v_and_b32_e32 v23, 7, v23
	v_cmp_eq_u16_e32 vcc, 0, v16
	v_cndmask_b32_e32 v12, v12, v23, vcc
	v_cndmask_b32_e32 v16, v21, v22, vcc
	v_lshlrev_b32_e32 v21, 8, v17
	v_mov_b32_e32 v22, 0x3b800000
	v_lshlrev_b32_e32 v12, 20, v12
	v_and_b32_e32 v21, 0x80000000, v21
	v_lshl_add_u32 v16, v16, 23, v22
	v_or3_b32 v12, v21, v16, v12
.LBB1_564:
	s_or_b64 exec, exec, s[6:7]
	s_movk_i32 s4, 0xff
	v_and_b32_sdwa v16, v13, s4 dst_sel:DWORD dst_unused:UNUSED_PAD src0_sel:WORD_1 src1_sel:DWORD
	s_movk_i32 s4, 0x7f
	v_cmp_lt_i16_e32 vcc, s4, v16
	s_mov_b64 s[4:5], 0
                                        ; implicit-def: $sgpr10
	s_and_saveexec_b64 s[6:7], vcc
	s_xor_b64 s[6:7], exec, s[6:7]
	s_cbranch_execz .LBB1_565
; %bb.10557:
	s_getpc_b64 s[14:15]
.Lpost_getpc1182:
	s_add_u32 s14, s14, (.LBB1_4661-.Lpost_getpc1182)&4294967295
	s_addc_u32 s15, s15, (.LBB1_4661-.Lpost_getpc1182)>>32
	s_setpc_b64 s[14:15]
.LBB1_565:
	s_or_saveexec_b64 s[6:7], s[6:7]
	v_mov_b32_e32 v21, s10
	s_xor_b64 exec, exec, s[6:7]
	s_cbranch_execz .LBB1_566
; %bb.10559:
	s_getpc_b64 s[14:15]
.Lpost_getpc1183:
	s_add_u32 s14, s14, (.LBB1_4664-.Lpost_getpc1183)&4294967295
	s_addc_u32 s15, s15, (.LBB1_4664-.Lpost_getpc1183)>>32
	s_setpc_b64 s[14:15]
.LBB1_566:
	s_or_b64 exec, exec, s[6:7]
	s_and_saveexec_b64 s[6:7], s[4:5]
	s_cbranch_execz .LBB1_568
.LBB1_567:
	v_bfe_u32 v16, v13, 16, 2
	v_ffbh_u32_e32 v23, v16
	v_min_u32_e32 v23, 32, v23
	v_lshrrev_b32_e32 v21, 18, v13
	v_subrev_u32_e32 v24, 29, v23
	v_and_b32_e32 v21, 31, v21
	v_lshlrev_b32_sdwa v24, v24, v13 dst_sel:DWORD dst_unused:UNUSED_PAD src0_sel:DWORD src1_sel:WORD_1
	v_bfe_u32 v22, v13, 18, 5
	v_sub_u32_e32 v23, 30, v23
	v_and_b32_e32 v24, 3, v24
	v_cmp_eq_u16_e32 vcc, 0, v21
	v_cndmask_b32_e32 v16, v16, v24, vcc
	v_cndmask_b32_e32 v21, v22, v23, vcc
	v_lshlrev_b32_e32 v22, 8, v13
	v_mov_b32_e32 v23, 0x37800000
	v_lshlrev_b32_e32 v16, 21, v16
	v_and_b32_e32 v22, 0x80000000, v22
	v_lshl_add_u32 v21, v21, 23, v23
	v_or3_b32 v21, v22, v21, v16
.LBB1_568:
	s_or_b64 exec, exec, s[6:7]
	s_nop 0
	v_mfma_f32_16x16x4f32 a[0:3], v12, v21, a[0:3]
	s_movk_i32 s4, 0x7f
	v_cmp_gt_i16_sdwa s[6:7], v17, s4 src0_sel:BYTE_3 src1_sel:DWORD
	s_mov_b64 s[4:5], 0
                                        ; implicit-def: $sgpr10
	s_and_saveexec_b64 s[8:9], s[6:7]
	s_xor_b64 s[6:7], exec, s[8:9]
	s_cbranch_execz .LBB1_569
; %bb.10561:
	s_getpc_b64 s[14:15]
.Lpost_getpc1184:
	s_add_u32 s14, s14, (.LBB1_4665-.Lpost_getpc1184)&4294967295
	s_addc_u32 s15, s15, (.LBB1_4665-.Lpost_getpc1184)>>32
	s_setpc_b64 s[14:15]
.LBB1_569:
	s_or_saveexec_b64 s[6:7], s[6:7]
	v_mov_b32_e32 v12, s10
	s_xor_b64 exec, exec, s[6:7]
	s_cbranch_execz .LBB1_570
; %bb.10563:
	s_getpc_b64 s[14:15]
.Lpost_getpc1185:
	s_add_u32 s14, s14, (.LBB1_4668-.Lpost_getpc1185)&4294967295
	s_addc_u32 s15, s15, (.LBB1_4668-.Lpost_getpc1185)>>32
	s_setpc_b64 s[14:15]
.LBB1_570:
	s_or_b64 exec, exec, s[6:7]
	s_and_saveexec_b64 s[6:7], s[4:5]
	s_cbranch_execz .LBB1_572
.LBB1_571:
	v_bfe_u32 v12, v17, 24, 3
	v_ffbh_u32_e32 v23, v12
	v_min_u32_e32 v23, 32, v23
	v_lshrrev_b32_e32 v21, 27, v17
	v_subrev_u32_e32 v24, 28, v23
	v_and_b32_e32 v16, 0x80000000, v17
	v_and_b32_e32 v21, 15, v21
	v_bfe_u32 v22, v17, 27, 4
	v_lshlrev_b32_sdwa v17, v24, v17 dst_sel:DWORD dst_unused:UNUSED_PAD src0_sel:DWORD src1_sel:BYTE_3
	v_sub_u32_e32 v23, 29, v23
	v_and_b32_e32 v17, 7, v17
	v_cmp_eq_u16_e32 vcc, 0, v21
	v_cndmask_b32_e32 v12, v12, v17, vcc
	v_cndmask_b32_e32 v17, v22, v23, vcc
	v_mov_b32_e32 v21, 0x3b800000
	v_lshlrev_b32_e32 v12, 20, v12
	v_lshl_add_u32 v17, v17, 23, v21
	v_or3_b32 v12, v16, v17, v12
.LBB1_572:
	s_or_b64 exec, exec, s[6:7]
	s_movk_i32 s4, 0x7f
	v_cmp_gt_i16_sdwa s[6:7], v13, s4 src0_sel:BYTE_3 src1_sel:DWORD
	s_mov_b64 s[4:5], 0
                                        ; implicit-def: $sgpr10
	s_and_saveexec_b64 s[8:9], s[6:7]
	s_xor_b64 s[6:7], exec, s[8:9]
	s_cbranch_execz .LBB1_573
; %bb.10565:
	s_getpc_b64 s[14:15]
.Lpost_getpc1186:
	s_add_u32 s14, s14, (.LBB1_4669-.Lpost_getpc1186)&4294967295
	s_addc_u32 s15, s15, (.LBB1_4669-.Lpost_getpc1186)>>32
	s_setpc_b64 s[14:15]
.LBB1_573:
	s_or_saveexec_b64 s[6:7], s[6:7]
	v_mov_b32_e32 v16, s10
	s_xor_b64 exec, exec, s[6:7]
	s_cbranch_execz .LBB1_574
; %bb.10567:
	s_getpc_b64 s[14:15]
.Lpost_getpc1187:
	s_add_u32 s14, s14, (.LBB1_4672-.Lpost_getpc1187)&4294967295
	s_addc_u32 s15, s15, (.LBB1_4672-.Lpost_getpc1187)>>32
	s_setpc_b64 s[14:15]
.LBB1_574:
	s_or_b64 exec, exec, s[6:7]
	s_and_saveexec_b64 s[6:7], s[4:5]
	s_cbranch_execz .LBB1_576
.LBB1_575:
	v_bfe_u32 v16, v13, 24, 2
	v_ffbh_u32_e32 v23, v16
	v_min_u32_e32 v23, 32, v23
	v_lshrrev_b32_e32 v21, 26, v13
	v_subrev_u32_e32 v24, 29, v23
	v_and_b32_e32 v17, 0x80000000, v13
	v_and_b32_e32 v21, 31, v21
	v_bfe_u32 v22, v13, 26, 5
	v_lshlrev_b32_sdwa v13, v24, v13 dst_sel:DWORD dst_unused:UNUSED_PAD src0_sel:DWORD src1_sel:BYTE_3
	v_sub_u32_e32 v23, 30, v23
	v_and_b32_e32 v13, 3, v13
	v_cmp_eq_u16_e32 vcc, 0, v21
	v_cndmask_b32_e32 v13, v16, v13, vcc
	v_cndmask_b32_e32 v16, v22, v23, vcc
	v_mov_b32_e32 v21, 0x37800000
	v_lshlrev_b32_e32 v13, 21, v13
	v_lshl_add_u32 v16, v16, 23, v21
	v_or3_b32 v16, v17, v16, v13
.LBB1_576:
	s_or_b64 exec, exec, s[6:7]
	s_nop 0
	v_mfma_f32_16x16x4f32 a[0:3], v12, v16, a[0:3]
	s_movk_i32 s4, 0x7f
	v_cmp_gt_i16_sdwa s[6:7], v18, s4 src0_sel:BYTE_0 src1_sel:DWORD
	s_mov_b64 s[4:5], 0
                                        ; implicit-def: $sgpr10
	s_and_saveexec_b64 s[8:9], s[6:7]
	s_xor_b64 s[6:7], exec, s[8:9]
	s_cbranch_execz .LBB1_577
; %bb.10569:
	s_getpc_b64 s[14:15]
.Lpost_getpc1188:
	s_add_u32 s14, s14, (.LBB1_4673-.Lpost_getpc1188)&4294967295
	s_addc_u32 s15, s15, (.LBB1_4673-.Lpost_getpc1188)>>32
	s_setpc_b64 s[14:15]
.LBB1_577:
	s_or_saveexec_b64 s[6:7], s[6:7]
	v_mov_b32_e32 v13, s10
	s_xor_b64 exec, exec, s[6:7]
	s_cbranch_execz .LBB1_578
; %bb.10571:
	s_getpc_b64 s[14:15]
.Lpost_getpc1189:
	s_add_u32 s14, s14, (.LBB1_4676-.Lpost_getpc1189)&4294967295
	s_addc_u32 s15, s15, (.LBB1_4676-.Lpost_getpc1189)>>32
	s_setpc_b64 s[14:15]
.LBB1_578:
	s_or_b64 exec, exec, s[6:7]
	s_and_saveexec_b64 s[6:7], s[4:5]
	s_cbranch_execz .LBB1_580
.LBB1_579:
	v_and_b32_e32 v12, 7, v18
	v_ffbh_u32_e32 v16, v12
	v_min_u32_e32 v16, 32, v16
	v_lshrrev_b16_e32 v13, 3, v18
	v_subrev_u32_e32 v17, 28, v16
	v_and_b32_e32 v13, 15, v13
	v_lshlrev_b32_e32 v17, v17, v18
	v_sub_u32_e32 v16, 29, v16
	v_and_b32_e32 v17, 7, v17
	v_cmp_eq_u16_e32 vcc, 0, v13
	v_cndmask_b32_e32 v12, v12, v17, vcc
	v_cndmask_b32_e32 v13, v13, v16, vcc
	v_lshlrev_b32_e32 v16, 24, v18
	v_mov_b32_e32 v17, 0x3b800000
	v_lshlrev_b32_e32 v12, 20, v12
	v_and_b32_e32 v16, 0x80000000, v16
	v_lshl_add_u32 v13, v13, 23, v17
	v_or3_b32 v13, v16, v13, v12
.LBB1_580:
	s_or_b64 exec, exec, s[6:7]
	s_movk_i32 s4, 0xff
	v_mov_b32_e32 v12, 8
	v_or_b32_sdwa v16, v14, v20 dst_sel:DWORD dst_unused:UNUSED_PAD src0_sel:BYTE_0 src1_sel:DWORD
	v_lshlrev_b16_sdwa v12, v12, v14 dst_sel:DWORD dst_unused:UNUSED_PAD src0_sel:DWORD src1_sel:BYTE_3
	v_and_b32_sdwa v14, v14, s4 dst_sel:DWORD dst_unused:UNUSED_PAD src0_sel:WORD_1 src1_sel:DWORD
	s_movk_i32 s4, 0x7f
	v_or_b32_sdwa v12, v14, v12 dst_sel:WORD_1 dst_unused:UNUSED_PAD src0_sel:DWORD src1_sel:DWORD
	v_cmp_gt_i16_sdwa s[6:7], v16, s4 src0_sel:BYTE_0 src1_sel:DWORD
	s_mov_b64 s[4:5], 0
                                        ; implicit-def: $sgpr10
	s_and_saveexec_b64 s[8:9], s[6:7]
	s_xor_b64 s[6:7], exec, s[8:9]
	s_cbranch_execz .LBB1_581
; %bb.10573:
	s_getpc_b64 s[14:15]
.Lpost_getpc1190:
	s_add_u32 s14, s14, (.LBB1_4677-.Lpost_getpc1190)&4294967295
	s_addc_u32 s15, s15, (.LBB1_4677-.Lpost_getpc1190)>>32
	s_setpc_b64 s[14:15]
.LBB1_581:
	s_or_saveexec_b64 s[6:7], s[6:7]
	v_mov_b32_e32 v14, s10
	s_xor_b64 exec, exec, s[6:7]
	s_cbranch_execz .LBB1_582
; %bb.10575:
	s_getpc_b64 s[14:15]
.Lpost_getpc1191:
	s_add_u32 s14, s14, (.LBB1_4680-.Lpost_getpc1191)&4294967295
	s_addc_u32 s15, s15, (.LBB1_4680-.Lpost_getpc1191)>>32
	s_setpc_b64 s[14:15]
.LBB1_582:
	s_or_b64 exec, exec, s[6:7]
	v_or_b32_sdwa v12, v16, v12 dst_sel:DWORD dst_unused:UNUSED_PAD src0_sel:WORD_0 src1_sel:DWORD
	s_and_saveexec_b64 s[6:7], s[4:5]
	s_cbranch_execz .LBB1_584
.LBB1_583:
	v_and_b32_e32 v14, 3, v12
	v_ffbh_u32_e32 v17, v14
	v_min_u32_e32 v17, 32, v17
	v_lshrrev_b16_e32 v16, 2, v16
	v_subrev_u32_e32 v20, 29, v17
	v_and_b32_e32 v16, 31, v16
	v_lshlrev_b32_e32 v20, v20, v12
	v_sub_u32_e32 v17, 30, v17
	v_and_b32_e32 v20, 3, v20
	v_cmp_eq_u16_e32 vcc, 0, v16
	v_cndmask_b32_e32 v14, v14, v20, vcc
	v_cndmask_b32_e32 v16, v16, v17, vcc
	v_lshlrev_b32_e32 v17, 24, v12
	v_mov_b32_e32 v20, 0x37800000
	v_lshlrev_b32_e32 v14, 21, v14
	v_and_b32_e32 v17, 0x80000000, v17
	v_lshl_add_u32 v16, v16, 23, v20
	v_or3_b32 v14, v17, v16, v14
.LBB1_584:
	s_or_b64 exec, exec, s[6:7]
	s_nop 0
	v_mfma_f32_16x16x4f32 a[0:3], v13, v14, a[0:3]
	v_lshrrev_b32_e32 v14, 8, v18
	s_movk_i32 s4, 0x7f
	v_cmp_gt_i16_sdwa s[6:7], v14, s4 src0_sel:BYTE_0 src1_sel:DWORD
	s_mov_b64 s[4:5], 0
                                        ; implicit-def: $sgpr10
	s_and_saveexec_b64 s[8:9], s[6:7]
	s_xor_b64 s[6:7], exec, s[8:9]
	s_cbranch_execz .LBB1_585
; %bb.10577:
	s_getpc_b64 s[14:15]
.Lpost_getpc1192:
	s_add_u32 s14, s14, (.LBB1_4681-.Lpost_getpc1192)&4294967295
	s_addc_u32 s15, s15, (.LBB1_4681-.Lpost_getpc1192)>>32
	s_setpc_b64 s[14:15]
.LBB1_585:
	s_or_saveexec_b64 s[6:7], s[6:7]
	v_mov_b32_e32 v13, s10
	s_xor_b64 exec, exec, s[6:7]
	s_cbranch_execz .LBB1_586
; %bb.10579:
	s_getpc_b64 s[14:15]
.Lpost_getpc1193:
	s_add_u32 s14, s14, (.LBB1_4684-.Lpost_getpc1193)&4294967295
	s_addc_u32 s15, s15, (.LBB1_4684-.Lpost_getpc1193)>>32
	s_setpc_b64 s[14:15]
.LBB1_586:
	s_or_b64 exec, exec, s[6:7]
	s_and_saveexec_b64 s[6:7], s[4:5]
	s_cbranch_execz .LBB1_588
.LBB1_587:
	v_bfe_u32 v13, v18, 8, 3
	v_ffbh_u32_e32 v17, v13
	v_min_u32_e32 v17, 32, v17
	v_lshrrev_b16_e32 v16, 3, v14
	v_subrev_u32_e32 v20, 28, v17
	v_and_b32_e32 v16, 15, v16
	v_lshlrev_b32_e32 v14, v20, v14
	v_sub_u32_e32 v17, 29, v17
	v_and_b32_e32 v14, 7, v14
	v_cmp_eq_u16_e32 vcc, 0, v16
	v_cndmask_b32_e32 v13, v13, v14, vcc
	v_cndmask_b32_e32 v14, v16, v17, vcc
	v_lshlrev_b32_e32 v16, 16, v18
	v_mov_b32_e32 v17, 0x3b800000
	v_lshlrev_b32_e32 v13, 20, v13
	v_and_b32_e32 v16, 0x80000000, v16
	v_lshl_add_u32 v14, v14, 23, v17
	v_or3_b32 v13, v16, v14, v13
.LBB1_588:
	s_or_b64 exec, exec, s[6:7]
	v_lshrrev_b32_e32 v14, 8, v12
	s_movk_i32 s4, 0x7f
	v_cmp_gt_i16_sdwa s[6:7], v14, s4 src0_sel:BYTE_0 src1_sel:DWORD
	s_mov_b64 s[4:5], 0
                                        ; implicit-def: $sgpr10
	s_and_saveexec_b64 s[8:9], s[6:7]
	s_xor_b64 s[6:7], exec, s[8:9]
	s_cbranch_execz .LBB1_589
; %bb.10581:
	s_getpc_b64 s[14:15]
.Lpost_getpc1194:
	s_add_u32 s14, s14, (.LBB1_4685-.Lpost_getpc1194)&4294967295
	s_addc_u32 s15, s15, (.LBB1_4685-.Lpost_getpc1194)>>32
	s_setpc_b64 s[14:15]
.LBB1_589:
	s_or_saveexec_b64 s[6:7], s[6:7]
	v_mov_b32_e32 v16, s10
	s_xor_b64 exec, exec, s[6:7]
	s_cbranch_execz .LBB1_590
; %bb.10583:
	s_getpc_b64 s[14:15]
.Lpost_getpc1195:
	s_add_u32 s14, s14, (.LBB1_4688-.Lpost_getpc1195)&4294967295
	s_addc_u32 s15, s15, (.LBB1_4688-.Lpost_getpc1195)>>32
	s_setpc_b64 s[14:15]
.LBB1_590:
	s_or_b64 exec, exec, s[6:7]
	s_and_saveexec_b64 s[6:7], s[4:5]
	s_cbranch_execz .LBB1_592
.LBB1_591:
	v_bfe_u32 v16, v12, 8, 2
	v_ffbh_u32_e32 v20, v16
	v_min_u32_e32 v20, 32, v20
	v_lshrrev_b16_e32 v17, 2, v14
	v_subrev_u32_e32 v21, 29, v20
	v_and_b32_e32 v17, 31, v17
	v_lshlrev_b32_e32 v14, v21, v14
	v_sub_u32_e32 v20, 30, v20
	v_and_b32_e32 v14, 3, v14
	v_cmp_eq_u16_e32 vcc, 0, v17
	v_cndmask_b32_e32 v14, v16, v14, vcc
	v_cndmask_b32_e32 v16, v17, v20, vcc
	v_lshlrev_b32_e32 v17, 16, v12
	v_mov_b32_e32 v20, 0x37800000
	v_lshlrev_b32_e32 v14, 21, v14
	v_and_b32_e32 v17, 0x80000000, v17
	v_lshl_add_u32 v16, v16, 23, v20
	v_or3_b32 v16, v17, v16, v14
.LBB1_592:
	s_or_b64 exec, exec, s[6:7]
	s_nop 0
	v_mfma_f32_16x16x4f32 a[0:3], v13, v16, a[0:3]
	s_movk_i32 s4, 0xff
	v_and_b32_sdwa v14, v18, s4 dst_sel:DWORD dst_unused:UNUSED_PAD src0_sel:WORD_1 src1_sel:DWORD
	s_movk_i32 s4, 0x7f
	v_cmp_lt_i16_e32 vcc, s4, v14
	s_mov_b64 s[4:5], 0
                                        ; implicit-def: $sgpr10
	s_and_saveexec_b64 s[6:7], vcc
	s_xor_b64 s[6:7], exec, s[6:7]
	s_cbranch_execz .LBB1_593
; %bb.10585:
	s_getpc_b64 s[14:15]
.Lpost_getpc1196:
	s_add_u32 s14, s14, (.LBB1_4689-.Lpost_getpc1196)&4294967295
	s_addc_u32 s15, s15, (.LBB1_4689-.Lpost_getpc1196)>>32
	s_setpc_b64 s[14:15]
.LBB1_593:
	s_or_saveexec_b64 s[6:7], s[6:7]
	v_mov_b32_e32 v13, s10
	s_xor_b64 exec, exec, s[6:7]
	s_cbranch_execz .LBB1_594
; %bb.10587:
	s_getpc_b64 s[14:15]
.Lpost_getpc1197:
	s_add_u32 s14, s14, (.LBB1_4692-.Lpost_getpc1197)&4294967295
	s_addc_u32 s15, s15, (.LBB1_4692-.Lpost_getpc1197)>>32
	s_setpc_b64 s[14:15]
.LBB1_594:
	s_or_b64 exec, exec, s[6:7]
	s_and_saveexec_b64 s[6:7], s[4:5]
	s_cbranch_execz .LBB1_596
.LBB1_595:
	v_bfe_u32 v13, v18, 16, 3
	v_ffbh_u32_e32 v17, v13
	v_min_u32_e32 v17, 32, v17
	v_lshrrev_b32_e32 v14, 19, v18
	v_subrev_u32_e32 v20, 28, v17
	v_and_b32_e32 v14, 15, v14
	v_lshlrev_b32_sdwa v20, v20, v18 dst_sel:DWORD dst_unused:UNUSED_PAD src0_sel:DWORD src1_sel:WORD_1
	v_bfe_u32 v16, v18, 19, 4
	v_sub_u32_e32 v17, 29, v17
	v_and_b32_e32 v20, 7, v20
	v_cmp_eq_u16_e32 vcc, 0, v14
	v_cndmask_b32_e32 v13, v13, v20, vcc
	v_cndmask_b32_e32 v14, v16, v17, vcc
	v_lshlrev_b32_e32 v16, 8, v18
	v_mov_b32_e32 v17, 0x3b800000
	v_lshlrev_b32_e32 v13, 20, v13
	v_and_b32_e32 v16, 0x80000000, v16
	v_lshl_add_u32 v14, v14, 23, v17
	v_or3_b32 v13, v16, v14, v13
.LBB1_596:
	s_or_b64 exec, exec, s[6:7]
	s_movk_i32 s4, 0xff
	v_and_b32_sdwa v14, v12, s4 dst_sel:DWORD dst_unused:UNUSED_PAD src0_sel:WORD_1 src1_sel:DWORD
	s_movk_i32 s4, 0x7f
	v_cmp_lt_i16_e32 vcc, s4, v14
	s_mov_b64 s[4:5], 0
                                        ; implicit-def: $sgpr10
	s_and_saveexec_b64 s[6:7], vcc
	s_xor_b64 s[6:7], exec, s[6:7]
	s_cbranch_execz .LBB1_597
; %bb.10589:
	s_getpc_b64 s[14:15]
.Lpost_getpc1198:
	s_add_u32 s14, s14, (.LBB1_4693-.Lpost_getpc1198)&4294967295
	s_addc_u32 s15, s15, (.LBB1_4693-.Lpost_getpc1198)>>32
	s_setpc_b64 s[14:15]
.LBB1_597:
	s_or_saveexec_b64 s[6:7], s[6:7]
	v_mov_b32_e32 v16, s10
	s_xor_b64 exec, exec, s[6:7]
	s_cbranch_execz .LBB1_598
; %bb.10591:
	s_getpc_b64 s[14:15]
.Lpost_getpc1199:
	s_add_u32 s14, s14, (.LBB1_4696-.Lpost_getpc1199)&4294967295
	s_addc_u32 s15, s15, (.LBB1_4696-.Lpost_getpc1199)>>32
	s_setpc_b64 s[14:15]
.LBB1_598:
	s_or_b64 exec, exec, s[6:7]
	s_and_saveexec_b64 s[6:7], s[4:5]
	s_cbranch_execz .LBB1_600
.LBB1_599:
	v_bfe_u32 v14, v12, 16, 2
	v_ffbh_u32_e32 v20, v14
	v_min_u32_e32 v20, 32, v20
	v_lshrrev_b32_e32 v16, 18, v12
	v_subrev_u32_e32 v21, 29, v20
	v_and_b32_e32 v16, 31, v16
	v_lshlrev_b32_sdwa v21, v21, v12 dst_sel:DWORD dst_unused:UNUSED_PAD src0_sel:DWORD src1_sel:WORD_1
	v_bfe_u32 v17, v12, 18, 5
	v_sub_u32_e32 v20, 30, v20
	v_and_b32_e32 v21, 3, v21
	v_cmp_eq_u16_e32 vcc, 0, v16
	v_cndmask_b32_e32 v14, v14, v21, vcc
	v_cndmask_b32_e32 v16, v17, v20, vcc
	v_lshlrev_b32_e32 v17, 8, v12
	v_mov_b32_e32 v20, 0x37800000
	v_lshlrev_b32_e32 v14, 21, v14
	v_and_b32_e32 v17, 0x80000000, v17
	v_lshl_add_u32 v16, v16, 23, v20
	v_or3_b32 v16, v17, v16, v14
.LBB1_600:
	s_or_b64 exec, exec, s[6:7]
	s_nop 0
	v_mfma_f32_16x16x4f32 a[0:3], v13, v16, a[0:3]
	s_movk_i32 s4, 0x7f
	v_cmp_gt_i16_sdwa s[6:7], v18, s4 src0_sel:BYTE_3 src1_sel:DWORD
	s_mov_b64 s[4:5], 0
                                        ; implicit-def: $sgpr10
	s_and_saveexec_b64 s[8:9], s[6:7]
	s_xor_b64 s[6:7], exec, s[8:9]
	s_cbranch_execz .LBB1_601
; %bb.10593:
	s_getpc_b64 s[14:15]
.Lpost_getpc1200:
	s_add_u32 s14, s14, (.LBB1_4697-.Lpost_getpc1200)&4294967295
	s_addc_u32 s15, s15, (.LBB1_4697-.Lpost_getpc1200)>>32
	s_setpc_b64 s[14:15]
.LBB1_601:
	s_or_saveexec_b64 s[6:7], s[6:7]
	v_mov_b32_e32 v13, s10
	s_xor_b64 exec, exec, s[6:7]
	s_cbranch_execz .LBB1_602
; %bb.10595:
	s_getpc_b64 s[14:15]
.Lpost_getpc1201:
	s_add_u32 s14, s14, (.LBB1_4700-.Lpost_getpc1201)&4294967295
	s_addc_u32 s15, s15, (.LBB1_4700-.Lpost_getpc1201)>>32
	s_setpc_b64 s[14:15]
.LBB1_602:
	s_or_b64 exec, exec, s[6:7]
	s_and_saveexec_b64 s[6:7], s[4:5]
	s_cbranch_execz .LBB1_604
.LBB1_603:
	v_bfe_u32 v13, v18, 24, 3
	v_ffbh_u32_e32 v20, v13
	v_min_u32_e32 v20, 32, v20
	v_lshrrev_b32_e32 v16, 27, v18
	v_subrev_u32_e32 v21, 28, v20
	v_and_b32_e32 v14, 0x80000000, v18
	v_and_b32_e32 v16, 15, v16
	v_bfe_u32 v17, v18, 27, 4
	v_lshlrev_b32_sdwa v18, v21, v18 dst_sel:DWORD dst_unused:UNUSED_PAD src0_sel:DWORD src1_sel:BYTE_3
	v_sub_u32_e32 v20, 29, v20
	v_and_b32_e32 v18, 7, v18
	v_cmp_eq_u16_e32 vcc, 0, v16
	v_cndmask_b32_e32 v13, v13, v18, vcc
	v_cndmask_b32_e32 v16, v17, v20, vcc
	v_mov_b32_e32 v17, 0x3b800000
	v_lshlrev_b32_e32 v13, 20, v13
	v_lshl_add_u32 v16, v16, 23, v17
	v_or3_b32 v13, v14, v16, v13
.LBB1_604:
	s_or_b64 exec, exec, s[6:7]
	s_movk_i32 s4, 0x7f
	v_cmp_gt_i16_sdwa s[6:7], v12, s4 src0_sel:BYTE_3 src1_sel:DWORD
	s_mov_b64 s[4:5], 0
                                        ; implicit-def: $sgpr10
	s_and_saveexec_b64 s[8:9], s[6:7]
	s_xor_b64 s[6:7], exec, s[8:9]
	s_cbranch_execz .LBB1_605
; %bb.10597:
	s_getpc_b64 s[14:15]
.Lpost_getpc1202:
	s_add_u32 s14, s14, (.LBB1_4701-.Lpost_getpc1202)&4294967295
	s_addc_u32 s15, s15, (.LBB1_4701-.Lpost_getpc1202)>>32
	s_setpc_b64 s[14:15]
.LBB1_605:
	s_or_saveexec_b64 s[6:7], s[6:7]
	v_mov_b32_e32 v14, s10
	s_xor_b64 exec, exec, s[6:7]
	s_cbranch_execz .LBB1_606
; %bb.10599:
	s_getpc_b64 s[14:15]
.Lpost_getpc1203:
	s_add_u32 s14, s14, (.LBB1_4704-.Lpost_getpc1203)&4294967295
	s_addc_u32 s15, s15, (.LBB1_4704-.Lpost_getpc1203)>>32
	s_setpc_b64 s[14:15]
.LBB1_606:
	s_or_b64 exec, exec, s[6:7]
	s_and_saveexec_b64 s[6:7], s[4:5]
	s_cbranch_execz .LBB1_608
.LBB1_607:
	v_bfe_u32 v14, v12, 24, 2
	v_ffbh_u32_e32 v20, v14
	v_min_u32_e32 v20, 32, v20
	v_lshrrev_b32_e32 v17, 26, v12
	v_subrev_u32_e32 v21, 29, v20
	v_and_b32_e32 v16, 0x80000000, v12
	v_and_b32_e32 v17, 31, v17
	v_bfe_u32 v18, v12, 26, 5
	v_lshlrev_b32_sdwa v12, v21, v12 dst_sel:DWORD dst_unused:UNUSED_PAD src0_sel:DWORD src1_sel:BYTE_3
	v_sub_u32_e32 v20, 30, v20
	v_and_b32_e32 v12, 3, v12
	v_cmp_eq_u16_e32 vcc, 0, v17
	v_cndmask_b32_e32 v12, v14, v12, vcc
	v_cndmask_b32_e32 v14, v18, v20, vcc
	v_mov_b32_e32 v17, 0x37800000
	v_lshlrev_b32_e32 v12, 21, v12
	v_lshl_add_u32 v14, v14, 23, v17
	v_or3_b32 v14, v16, v14, v12
.LBB1_608:
	s_or_b64 exec, exec, s[6:7]
	s_nop 0
	v_mfma_f32_16x16x4f32 a[0:3], v13, v14, a[0:3]
	s_movk_i32 s4, 0x7f
	v_cmp_gt_i16_sdwa s[6:7], v19, s4 src0_sel:BYTE_0 src1_sel:DWORD
	s_mov_b64 s[4:5], 0
                                        ; implicit-def: $sgpr10
	s_and_saveexec_b64 s[8:9], s[6:7]
	s_xor_b64 s[6:7], exec, s[8:9]
	s_cbranch_execz .LBB1_609
; %bb.10601:
	s_getpc_b64 s[14:15]
.Lpost_getpc1204:
	s_add_u32 s14, s14, (.LBB1_4705-.Lpost_getpc1204)&4294967295
	s_addc_u32 s15, s15, (.LBB1_4705-.Lpost_getpc1204)>>32
	s_setpc_b64 s[14:15]
.LBB1_609:
	s_or_saveexec_b64 s[6:7], s[6:7]
	v_mov_b32_e32 v12, s10
	s_xor_b64 exec, exec, s[6:7]
	s_cbranch_execz .LBB1_610
; %bb.10603:
	s_getpc_b64 s[14:15]
.Lpost_getpc1205:
	s_add_u32 s14, s14, (.LBB1_4708-.Lpost_getpc1205)&4294967295
	s_addc_u32 s15, s15, (.LBB1_4708-.Lpost_getpc1205)>>32
	s_setpc_b64 s[14:15]
.LBB1_610:
	s_or_b64 exec, exec, s[6:7]
	s_and_saveexec_b64 s[6:7], s[4:5]
	s_cbranch_execz .LBB1_612
.LBB1_611:
	v_mov_b32_e32 v12, 8
	v_and_b32_e32 v13, 7, v19
	v_lshrrev_b32_sdwa v12, v12, v19 dst_sel:BYTE_1 dst_unused:UNUSED_PAD src0_sel:DWORD src1_sel:DWORD
	v_ffbh_u32_e32 v14, v13
	v_or_b32_sdwa v12, v19, v12 dst_sel:DWORD dst_unused:UNUSED_PAD src0_sel:BYTE_0 src1_sel:DWORD
	v_min_u32_e32 v14, 32, v14
	v_lshrrev_b16_e32 v12, 3, v12
	v_subrev_u32_e32 v16, 28, v14
	v_and_b32_e32 v12, 15, v12
	v_lshlrev_b32_e32 v16, v16, v19
	v_sub_u32_e32 v14, 29, v14
	v_and_b32_e32 v16, 7, v16
	v_cmp_eq_u16_e32 vcc, 0, v12
	v_cndmask_b32_e32 v13, v13, v16, vcc
	v_cndmask_b32_e32 v12, v12, v14, vcc
	v_lshlrev_b32_e32 v14, 24, v19
	v_mov_b32_e32 v16, 0x3b800000
	v_lshlrev_b32_e32 v13, 20, v13
	v_and_b32_e32 v14, 0x80000000, v14
	v_lshl_add_u32 v12, v12, 23, v16
	v_or3_b32 v12, v14, v12, v13
.LBB1_612:
	s_or_b64 exec, exec, s[6:7]
	s_movk_i32 s4, 0x7f
	v_cmp_gt_i16_sdwa s[6:7], v15, s4 src0_sel:BYTE_0 src1_sel:DWORD
	s_mov_b64 s[4:5], 0
                                        ; implicit-def: $sgpr10
	s_and_saveexec_b64 s[8:9], s[6:7]
	s_xor_b64 s[6:7], exec, s[8:9]
	s_cbranch_execz .LBB1_613
; %bb.10605:
	s_getpc_b64 s[14:15]
.Lpost_getpc1206:
	s_add_u32 s14, s14, (.LBB1_4709-.Lpost_getpc1206)&4294967295
	s_addc_u32 s15, s15, (.LBB1_4709-.Lpost_getpc1206)>>32
	s_setpc_b64 s[14:15]
.LBB1_613:
	s_or_saveexec_b64 s[6:7], s[6:7]
	v_mov_b32_e32 v13, s10
	s_xor_b64 exec, exec, s[6:7]
	s_cbranch_execz .LBB1_614
; %bb.10607:
	s_getpc_b64 s[14:15]
.Lpost_getpc1207:
	s_add_u32 s14, s14, (.LBB1_4712-.Lpost_getpc1207)&4294967295
	s_addc_u32 s15, s15, (.LBB1_4712-.Lpost_getpc1207)>>32
	s_setpc_b64 s[14:15]
.LBB1_614:
	s_or_b64 exec, exec, s[6:7]
	s_and_saveexec_b64 s[6:7], s[4:5]
	s_cbranch_execz .LBB1_616
.LBB1_615:
	v_and_b32_e32 v13, 3, v15
	v_ffbh_u32_e32 v16, v13
	v_min_u32_e32 v16, 32, v16
	v_lshrrev_b16_e32 v14, 2, v15
	v_subrev_u32_e32 v17, 29, v16
	v_and_b32_e32 v14, 31, v14
	v_lshlrev_b32_e32 v17, v17, v15
	v_sub_u32_e32 v16, 30, v16
	v_and_b32_e32 v17, 3, v17
	v_cmp_eq_u16_e32 vcc, 0, v14
	v_cndmask_b32_e32 v13, v13, v17, vcc
	v_cndmask_b32_e32 v14, v14, v16, vcc
	v_lshlrev_b32_e32 v16, 24, v15
	v_mov_b32_e32 v17, 0x37800000
	v_lshlrev_b32_e32 v13, 21, v13
	v_and_b32_e32 v16, 0x80000000, v16
	v_lshl_add_u32 v14, v14, 23, v17
	v_or3_b32 v13, v16, v14, v13
.LBB1_616:
	s_or_b64 exec, exec, s[6:7]
	s_nop 0
	v_mfma_f32_16x16x4f32 a[0:3], v12, v13, a[0:3]
	v_lshrrev_b32_e32 v13, 8, v19
	s_movk_i32 s4, 0x7f
	v_cmp_gt_i16_sdwa s[6:7], v13, s4 src0_sel:BYTE_0 src1_sel:DWORD
	s_mov_b64 s[4:5], 0
                                        ; implicit-def: $sgpr10
	s_and_saveexec_b64 s[8:9], s[6:7]
	s_xor_b64 s[6:7], exec, s[8:9]
	s_cbranch_execz .LBB1_617
; %bb.10609:
	s_getpc_b64 s[14:15]
.Lpost_getpc1208:
	s_add_u32 s14, s14, (.LBB1_4713-.Lpost_getpc1208)&4294967295
	s_addc_u32 s15, s15, (.LBB1_4713-.Lpost_getpc1208)>>32
	s_setpc_b64 s[14:15]
.LBB1_617:
	s_or_saveexec_b64 s[6:7], s[6:7]
	v_mov_b32_e32 v12, s10
	s_xor_b64 exec, exec, s[6:7]
	s_cbranch_execz .LBB1_618
; %bb.10611:
	s_getpc_b64 s[14:15]
.Lpost_getpc1209:
	s_add_u32 s14, s14, (.LBB1_4716-.Lpost_getpc1209)&4294967295
	s_addc_u32 s15, s15, (.LBB1_4716-.Lpost_getpc1209)>>32
	s_setpc_b64 s[14:15]
.LBB1_618:
	s_or_b64 exec, exec, s[6:7]
	s_and_saveexec_b64 s[6:7], s[4:5]
	s_cbranch_execz .LBB1_620
.LBB1_619:
	v_bfe_u32 v12, v19, 8, 3
	v_ffbh_u32_e32 v16, v12
	v_min_u32_e32 v16, 32, v16
	v_lshrrev_b16_e32 v14, 3, v13
	v_subrev_u32_e32 v17, 28, v16
	v_and_b32_e32 v14, 15, v14
	v_lshlrev_b32_e32 v13, v17, v13
	v_sub_u32_e32 v16, 29, v16
	v_and_b32_e32 v13, 7, v13
	v_cmp_eq_u16_e32 vcc, 0, v14
	v_cndmask_b32_e32 v12, v12, v13, vcc
	v_cndmask_b32_e32 v13, v14, v16, vcc
	v_lshlrev_b32_e32 v14, 16, v19
	v_mov_b32_e32 v16, 0x3b800000
	v_lshlrev_b32_e32 v12, 20, v12
	v_and_b32_e32 v14, 0x80000000, v14
	v_lshl_add_u32 v13, v13, 23, v16
	v_or3_b32 v12, v14, v13, v12
.LBB1_620:
	s_or_b64 exec, exec, s[6:7]
	v_lshrrev_b32_e32 v13, 8, v15
	s_movk_i32 s4, 0x7f
	v_cmp_gt_i16_sdwa s[6:7], v13, s4 src0_sel:BYTE_0 src1_sel:DWORD
	s_mov_b64 s[4:5], 0
                                        ; implicit-def: $sgpr10
	s_and_saveexec_b64 s[8:9], s[6:7]
	s_xor_b64 s[6:7], exec, s[8:9]
	s_cbranch_execz .LBB1_621
; %bb.10613:
	s_getpc_b64 s[14:15]
.Lpost_getpc1210:
	s_add_u32 s14, s14, (.LBB1_4717-.Lpost_getpc1210)&4294967295
	s_addc_u32 s15, s15, (.LBB1_4717-.Lpost_getpc1210)>>32
	s_setpc_b64 s[14:15]
.LBB1_621:
	s_or_saveexec_b64 s[6:7], s[6:7]
	v_mov_b32_e32 v14, s10
	s_xor_b64 exec, exec, s[6:7]
	s_cbranch_execz .LBB1_622
; %bb.10615:
	s_getpc_b64 s[14:15]
.Lpost_getpc1211:
	s_add_u32 s14, s14, (.LBB1_4720-.Lpost_getpc1211)&4294967295
	s_addc_u32 s15, s15, (.LBB1_4720-.Lpost_getpc1211)>>32
	s_setpc_b64 s[14:15]
.LBB1_622:
	s_or_b64 exec, exec, s[6:7]
	s_and_saveexec_b64 s[6:7], s[4:5]
	s_cbranch_execz .LBB1_624
.LBB1_623:
	v_bfe_u32 v14, v15, 8, 2
	v_ffbh_u32_e32 v17, v14
	v_min_u32_e32 v17, 32, v17
	v_lshrrev_b16_e32 v16, 2, v13
	v_subrev_u32_e32 v18, 29, v17
	v_and_b32_e32 v16, 31, v16
	v_lshlrev_b32_e32 v13, v18, v13
	v_sub_u32_e32 v17, 30, v17
	v_and_b32_e32 v13, 3, v13
	v_cmp_eq_u16_e32 vcc, 0, v16
	v_cndmask_b32_e32 v13, v14, v13, vcc
	v_cndmask_b32_e32 v14, v16, v17, vcc
	v_lshlrev_b32_e32 v16, 16, v15
	v_mov_b32_e32 v17, 0x37800000
	v_lshlrev_b32_e32 v13, 21, v13
	v_and_b32_e32 v16, 0x80000000, v16
	v_lshl_add_u32 v14, v14, 23, v17
	v_or3_b32 v14, v16, v14, v13
.LBB1_624:
	s_or_b64 exec, exec, s[6:7]
	s_nop 0
	v_mfma_f32_16x16x4f32 a[0:3], v12, v14, a[0:3]
	s_movk_i32 s4, 0xff
	v_and_b32_sdwa v13, v19, s4 dst_sel:DWORD dst_unused:UNUSED_PAD src0_sel:WORD_1 src1_sel:DWORD
	s_movk_i32 s4, 0x7f
	v_cmp_lt_i16_e32 vcc, s4, v13
	s_mov_b64 s[4:5], 0
                                        ; implicit-def: $sgpr10
	s_and_saveexec_b64 s[6:7], vcc
	s_xor_b64 s[6:7], exec, s[6:7]
	s_cbranch_execz .LBB1_625
; %bb.10617:
	s_getpc_b64 s[14:15]
.Lpost_getpc1212:
	s_add_u32 s14, s14, (.LBB1_4721-.Lpost_getpc1212)&4294967295
	s_addc_u32 s15, s15, (.LBB1_4721-.Lpost_getpc1212)>>32
	s_setpc_b64 s[14:15]
.LBB1_625:
	s_or_saveexec_b64 s[6:7], s[6:7]
	v_mov_b32_e32 v12, s10
	s_xor_b64 exec, exec, s[6:7]
	s_cbranch_execz .LBB1_626
; %bb.10619:
	s_getpc_b64 s[14:15]
.Lpost_getpc1213:
	s_add_u32 s14, s14, (.LBB1_4724-.Lpost_getpc1213)&4294967295
	s_addc_u32 s15, s15, (.LBB1_4724-.Lpost_getpc1213)>>32
	s_setpc_b64 s[14:15]
.LBB1_626:
	s_or_b64 exec, exec, s[6:7]
	s_and_saveexec_b64 s[6:7], s[4:5]
	s_cbranch_execz .LBB1_628
.LBB1_627:
	v_bfe_u32 v12, v19, 16, 3
	v_ffbh_u32_e32 v16, v12
	v_min_u32_e32 v16, 32, v16
	v_lshrrev_b32_e32 v13, 19, v19
	v_subrev_u32_e32 v17, 28, v16
	v_and_b32_e32 v13, 15, v13
	v_lshlrev_b32_sdwa v17, v17, v19 dst_sel:DWORD dst_unused:UNUSED_PAD src0_sel:DWORD src1_sel:WORD_1
	v_bfe_u32 v14, v19, 19, 4
	v_sub_u32_e32 v16, 29, v16
	v_and_b32_e32 v17, 7, v17
	v_cmp_eq_u16_e32 vcc, 0, v13
	v_cndmask_b32_e32 v12, v12, v17, vcc
	v_cndmask_b32_e32 v13, v14, v16, vcc
	v_lshlrev_b32_e32 v14, 8, v19
	v_mov_b32_e32 v16, 0x3b800000
	v_lshlrev_b32_e32 v12, 20, v12
	v_and_b32_e32 v14, 0x80000000, v14
	v_lshl_add_u32 v13, v13, 23, v16
	v_or3_b32 v12, v14, v13, v12
.LBB1_628:
	s_or_b64 exec, exec, s[6:7]
	s_movk_i32 s4, 0xff
	v_and_b32_sdwa v13, v15, s4 dst_sel:DWORD dst_unused:UNUSED_PAD src0_sel:WORD_1 src1_sel:DWORD
	s_movk_i32 s4, 0x7f
	v_cmp_lt_i16_e32 vcc, s4, v13
	s_mov_b64 s[4:5], 0
                                        ; implicit-def: $sgpr10
	s_and_saveexec_b64 s[6:7], vcc
	s_xor_b64 s[6:7], exec, s[6:7]
	s_cbranch_execz .LBB1_629
; %bb.10621:
	s_getpc_b64 s[14:15]
.Lpost_getpc1214:
	s_add_u32 s14, s14, (.LBB1_4725-.Lpost_getpc1214)&4294967295
	s_addc_u32 s15, s15, (.LBB1_4725-.Lpost_getpc1214)>>32
	s_setpc_b64 s[14:15]
.LBB1_629:
	s_or_saveexec_b64 s[6:7], s[6:7]
	v_mov_b32_e32 v14, s10
	s_xor_b64 exec, exec, s[6:7]
	s_cbranch_execz .LBB1_630
; %bb.10623:
	s_getpc_b64 s[14:15]
.Lpost_getpc1215:
	s_add_u32 s14, s14, (.LBB1_4728-.Lpost_getpc1215)&4294967295
	s_addc_u32 s15, s15, (.LBB1_4728-.Lpost_getpc1215)>>32
	s_setpc_b64 s[14:15]
.LBB1_630:
	s_or_b64 exec, exec, s[6:7]
	s_and_saveexec_b64 s[6:7], s[4:5]
	s_cbranch_execz .LBB1_632
.LBB1_631:
	v_bfe_u32 v13, v15, 16, 2
	v_ffbh_u32_e32 v17, v13
	v_min_u32_e32 v17, 32, v17
	v_lshrrev_b32_e32 v14, 18, v15
	v_subrev_u32_e32 v18, 29, v17
	v_and_b32_e32 v14, 31, v14
	v_lshlrev_b32_sdwa v18, v18, v15 dst_sel:DWORD dst_unused:UNUSED_PAD src0_sel:DWORD src1_sel:WORD_1
	v_bfe_u32 v16, v15, 18, 5
	v_sub_u32_e32 v17, 30, v17
	v_and_b32_e32 v18, 3, v18
	v_cmp_eq_u16_e32 vcc, 0, v14
	v_cndmask_b32_e32 v13, v13, v18, vcc
	v_cndmask_b32_e32 v14, v16, v17, vcc
	v_lshlrev_b32_e32 v16, 8, v15
	v_mov_b32_e32 v17, 0x37800000
	v_lshlrev_b32_e32 v13, 21, v13
	v_and_b32_e32 v16, 0x80000000, v16
	v_lshl_add_u32 v14, v14, 23, v17
	v_or3_b32 v14, v16, v14, v13
.LBB1_632:
	s_or_b64 exec, exec, s[6:7]
	s_nop 0
	v_mfma_f32_16x16x4f32 a[0:3], v12, v14, a[0:3]
	s_movk_i32 s4, 0x7f
	v_cmp_gt_i16_sdwa s[6:7], v19, s4 src0_sel:BYTE_3 src1_sel:DWORD
	s_mov_b64 s[4:5], 0
                                        ; implicit-def: $sgpr10
	s_and_saveexec_b64 s[8:9], s[6:7]
	s_xor_b64 s[6:7], exec, s[8:9]
	s_cbranch_execz .LBB1_633
; %bb.10625:
	s_getpc_b64 s[14:15]
.Lpost_getpc1216:
	s_add_u32 s14, s14, (.LBB1_4729-.Lpost_getpc1216)&4294967295
	s_addc_u32 s15, s15, (.LBB1_4729-.Lpost_getpc1216)>>32
	s_setpc_b64 s[14:15]
.LBB1_633:
	s_or_saveexec_b64 s[6:7], s[6:7]
	v_mov_b32_e32 v12, s10
	s_xor_b64 exec, exec, s[6:7]
	s_cbranch_execz .LBB1_634
; %bb.10627:
	s_getpc_b64 s[14:15]
.Lpost_getpc1217:
	s_add_u32 s14, s14, (.LBB1_4732-.Lpost_getpc1217)&4294967295
	s_addc_u32 s15, s15, (.LBB1_4732-.Lpost_getpc1217)>>32
	s_setpc_b64 s[14:15]
.LBB1_634:
	s_or_b64 exec, exec, s[6:7]
	s_and_saveexec_b64 s[6:7], s[4:5]
	s_cbranch_execz .LBB1_636
.LBB1_635:
	v_bfe_u32 v12, v19, 24, 3
	v_ffbh_u32_e32 v17, v12
	v_min_u32_e32 v17, 32, v17
	v_lshrrev_b32_e32 v14, 27, v19
	v_subrev_u32_e32 v18, 28, v17
	v_and_b32_e32 v14, 15, v14
	v_lshlrev_b32_sdwa v18, v18, v19 dst_sel:DWORD dst_unused:UNUSED_PAD src0_sel:DWORD src1_sel:BYTE_3
	v_bfe_u32 v16, v19, 27, 4
	v_sub_u32_e32 v17, 29, v17
	v_and_b32_e32 v18, 7, v18
	v_cmp_eq_u16_e32 vcc, 0, v14
	v_cndmask_b32_e32 v12, v12, v18, vcc
	v_cndmask_b32_e32 v14, v16, v17, vcc
	v_mov_b32_e32 v16, 0x3b800000
	v_and_b32_e32 v13, 0x80000000, v19
	v_lshlrev_b32_e32 v12, 20, v12
	v_lshl_add_u32 v14, v14, 23, v16
	v_or3_b32 v12, v13, v14, v12
.LBB1_636:
	s_or_b64 exec, exec, s[6:7]
	s_movk_i32 s4, 0x7f
	v_cmp_gt_i16_sdwa s[6:7], v15, s4 src0_sel:BYTE_3 src1_sel:DWORD
	s_mov_b64 s[4:5], 0
                                        ; implicit-def: $sgpr10
	s_and_saveexec_b64 s[8:9], s[6:7]
	s_xor_b64 s[6:7], exec, s[8:9]
	s_cbranch_execz .LBB1_637
; %bb.10629:
	s_getpc_b64 s[14:15]
.Lpost_getpc1218:
	s_add_u32 s14, s14, (.LBB1_4733-.Lpost_getpc1218)&4294967295
	s_addc_u32 s15, s15, (.LBB1_4733-.Lpost_getpc1218)>>32
	s_setpc_b64 s[14:15]
.LBB1_637:
	s_or_saveexec_b64 s[6:7], s[6:7]
	v_mov_b32_e32 v13, s10
	s_xor_b64 exec, exec, s[6:7]
	s_cbranch_execz .LBB1_638
; %bb.10631:
	s_getpc_b64 s[14:15]
.Lpost_getpc1219:
	s_add_u32 s14, s14, (.LBB1_4736-.Lpost_getpc1219)&4294967295
	s_addc_u32 s15, s15, (.LBB1_4736-.Lpost_getpc1219)>>32
	s_setpc_b64 s[14:15]
.LBB1_638:
	s_or_b64 exec, exec, s[6:7]
	s_and_saveexec_b64 s[6:7], s[4:5]
	s_cbranch_execz .LBB1_640
.LBB1_639:
	v_bfe_u32 v13, v15, 24, 2
	v_ffbh_u32_e32 v18, v13
	v_min_u32_e32 v18, 32, v18
	v_lshrrev_b32_e32 v16, 26, v15
	v_subrev_u32_e32 v19, 29, v18
	v_and_b32_e32 v14, 0x80000000, v15
	v_and_b32_e32 v16, 31, v16
	v_bfe_u32 v17, v15, 26, 5
	v_lshlrev_b32_sdwa v15, v19, v15 dst_sel:DWORD dst_unused:UNUSED_PAD src0_sel:DWORD src1_sel:BYTE_3
	v_sub_u32_e32 v18, 30, v18
	v_and_b32_e32 v15, 3, v15
	v_cmp_eq_u16_e32 vcc, 0, v16
	v_cndmask_b32_e32 v13, v13, v15, vcc
	v_cndmask_b32_e32 v15, v17, v18, vcc
	v_mov_b32_e32 v16, 0x37800000
	v_lshlrev_b32_e32 v13, 21, v13
	v_lshl_add_u32 v15, v15, 23, v16
	v_or3_b32 v13, v14, v15, v13
.LBB1_640:
	s_or_b64 exec, exec, s[6:7]
	s_nop 0
	v_mfma_f32_16x16x4f32 a[0:3], v12, v13, a[0:3]
	v_mov_b32_e32 v16, 8
	s_movk_i32 s4, 0x7f
                                        ; implicit-def: $sgpr10
	s_nop 7
	s_nop 0
	flat_store_dwordx4 v[10:11], a[0:3] offset:64
	flat_load_dword v14, v[0:1] offset:544
	flat_load_dwordx2 v[12:13], v[6:7]
	s_waitcnt vmcnt(0) lgkmcnt(0)
	v_ashrrev_i32_e32 v15, 31, v14
	v_add_co_u32_e32 v12, vcc, v12, v14
	v_addc_co_u32_e32 v13, vcc, v13, v15, vcc
	flat_load_dwordx4 v[12:15], v[12:13] offset:512
	s_waitcnt vmcnt(0) lgkmcnt(0)
	v_lshrrev_b32_sdwa v20, v16, v14 dst_sel:BYTE_1 dst_unused:UNUSED_PAD src0_sel:DWORD src1_sel:DWORD
	flat_store_dwordx4 v[8:9], v[12:15]
	flat_load_dwordx4 v[16:19], v[4:5]
	s_waitcnt vmcnt(0) lgkmcnt(0)
	v_cmp_gt_i16_sdwa s[6:7], v16, s4 src0_sel:BYTE_0 src1_sel:DWORD
	s_mov_b64 s[4:5], 0
	s_and_saveexec_b64 s[8:9], s[6:7]
	s_xor_b64 s[6:7], exec, s[8:9]
	s_cbranch_execz .LBB1_641
; %bb.10633:
	s_getpc_b64 s[14:15]
.Lpost_getpc1220:
	s_add_u32 s14, s14, (.LBB1_4737-.Lpost_getpc1220)&4294967295
	s_addc_u32 s15, s15, (.LBB1_4737-.Lpost_getpc1220)>>32
	s_setpc_b64 s[14:15]
.LBB1_641:
	s_or_saveexec_b64 s[6:7], s[6:7]
	v_mov_b32_e32 v21, s10
	s_xor_b64 exec, exec, s[6:7]
	s_cbranch_execz .LBB1_642
; %bb.10635:
	s_getpc_b64 s[14:15]
.Lpost_getpc1221:
	s_add_u32 s14, s14, (.LBB1_4740-.Lpost_getpc1221)&4294967295
	s_addc_u32 s15, s15, (.LBB1_4740-.Lpost_getpc1221)>>32
	s_setpc_b64 s[14:15]
.LBB1_642:
	s_or_b64 exec, exec, s[6:7]
	s_and_saveexec_b64 s[6:7], s[4:5]
	s_cbranch_execz .LBB1_644
.LBB1_643:
	v_and_b32_e32 v21, 7, v16
	v_ffbh_u32_e32 v23, v21
	v_min_u32_e32 v23, 32, v23
	v_lshrrev_b16_e32 v22, 3, v16
	v_subrev_u32_e32 v24, 28, v23
	v_and_b32_e32 v22, 15, v22
	v_lshlrev_b32_e32 v24, v24, v16
	v_sub_u32_e32 v23, 29, v23
	v_and_b32_e32 v24, 7, v24
	v_cmp_eq_u16_e32 vcc, 0, v22
	v_cndmask_b32_e32 v21, v21, v24, vcc
	v_cndmask_b32_e32 v22, v22, v23, vcc
	v_lshlrev_b32_e32 v23, 24, v16
	v_mov_b32_e32 v24, 0x3b800000
	v_lshlrev_b32_e32 v21, 20, v21
	v_and_b32_e32 v23, 0x80000000, v23
	v_lshl_add_u32 v22, v22, 23, v24
	v_or3_b32 v21, v23, v22, v21
.LBB1_644:
	s_or_b64 exec, exec, s[6:7]
	s_movk_i32 s4, 0x7f
	v_cmp_gt_i16_sdwa s[6:7], v12, s4 src0_sel:BYTE_0 src1_sel:DWORD
	s_mov_b64 s[4:5], 0
                                        ; implicit-def: $sgpr10
	s_and_saveexec_b64 s[8:9], s[6:7]
	s_xor_b64 s[6:7], exec, s[8:9]
	s_cbranch_execz .LBB1_645
; %bb.10637:
	s_getpc_b64 s[14:15]
.Lpost_getpc1222:
	s_add_u32 s14, s14, (.LBB1_4741-.Lpost_getpc1222)&4294967295
	s_addc_u32 s15, s15, (.LBB1_4741-.Lpost_getpc1222)>>32
	s_setpc_b64 s[14:15]
.LBB1_645:
	s_or_saveexec_b64 s[6:7], s[6:7]
	v_mov_b32_e32 v22, s10
	s_xor_b64 exec, exec, s[6:7]
	s_cbranch_execz .LBB1_646
; %bb.10639:
	s_getpc_b64 s[14:15]
.Lpost_getpc1223:
	s_add_u32 s14, s14, (.LBB1_4744-.Lpost_getpc1223)&4294967295
	s_addc_u32 s15, s15, (.LBB1_4744-.Lpost_getpc1223)>>32
	s_setpc_b64 s[14:15]
.LBB1_646:
	s_or_b64 exec, exec, s[6:7]
	s_and_saveexec_b64 s[6:7], s[4:5]
	s_cbranch_execz .LBB1_648
.LBB1_647:
	v_and_b32_e32 v22, 3, v12
	v_ffbh_u32_e32 v24, v22
	v_min_u32_e32 v24, 32, v24
	v_lshrrev_b16_e32 v23, 2, v12
	v_subrev_u32_e32 v25, 29, v24
	v_and_b32_e32 v23, 31, v23
	v_lshlrev_b32_e32 v25, v25, v12
	v_sub_u32_e32 v24, 30, v24
	v_and_b32_e32 v25, 3, v25
	v_cmp_eq_u16_e32 vcc, 0, v23
	v_cndmask_b32_e32 v22, v22, v25, vcc
	v_cndmask_b32_e32 v23, v23, v24, vcc
	v_lshlrev_b32_e32 v24, 24, v12
	v_mov_b32_e32 v25, 0x37800000
	v_lshlrev_b32_e32 v22, 21, v22
	v_and_b32_e32 v24, 0x80000000, v24
	v_lshl_add_u32 v23, v23, 23, v25
	v_or3_b32 v22, v24, v23, v22
.LBB1_648:
	s_or_b64 exec, exec, s[6:7]
	flat_load_dwordx4 a[0:3], v[10:11] offset:80
	s_movk_i32 s4, 0x7f
                                        ; implicit-def: $sgpr10
	s_waitcnt vmcnt(0) lgkmcnt(0)
	v_mfma_f32_16x16x4f32 a[0:3], v21, v22, a[0:3]
	v_lshrrev_b32_e32 v22, 8, v16
	v_cmp_gt_i16_sdwa s[6:7], v22, s4 src0_sel:BYTE_0 src1_sel:DWORD
	s_mov_b64 s[4:5], 0
	s_and_saveexec_b64 s[8:9], s[6:7]
	s_xor_b64 s[6:7], exec, s[8:9]
	s_cbranch_execz .LBB1_649
; %bb.10641:
	s_getpc_b64 s[14:15]
.Lpost_getpc1224:
	s_add_u32 s14, s14, (.LBB1_4745-.Lpost_getpc1224)&4294967295
	s_addc_u32 s15, s15, (.LBB1_4745-.Lpost_getpc1224)>>32
	s_setpc_b64 s[14:15]
.LBB1_649:
	s_or_saveexec_b64 s[6:7], s[6:7]
	v_mov_b32_e32 v21, s10
	s_xor_b64 exec, exec, s[6:7]
	s_cbranch_execz .LBB1_650
; %bb.10643:
	s_getpc_b64 s[14:15]
.Lpost_getpc1225:
	s_add_u32 s14, s14, (.LBB1_4748-.Lpost_getpc1225)&4294967295
	s_addc_u32 s15, s15, (.LBB1_4748-.Lpost_getpc1225)>>32
	s_setpc_b64 s[14:15]
.LBB1_650:
	s_or_b64 exec, exec, s[6:7]
	s_and_saveexec_b64 s[6:7], s[4:5]
	s_cbranch_execz .LBB1_652
.LBB1_651:
	v_bfe_u32 v21, v16, 8, 3
	v_ffbh_u32_e32 v24, v21
	v_min_u32_e32 v24, 32, v24
	v_lshrrev_b16_e32 v23, 3, v22
	v_subrev_u32_e32 v25, 28, v24
	v_and_b32_e32 v23, 15, v23
	v_lshlrev_b32_e32 v22, v25, v22
	v_sub_u32_e32 v24, 29, v24
	v_and_b32_e32 v22, 7, v22
	v_cmp_eq_u16_e32 vcc, 0, v23
	v_cndmask_b32_e32 v21, v21, v22, vcc
	v_cndmask_b32_e32 v22, v23, v24, vcc
	v_lshlrev_b32_e32 v23, 16, v16
	v_mov_b32_e32 v24, 0x3b800000
	v_lshlrev_b32_e32 v21, 20, v21
	v_and_b32_e32 v23, 0x80000000, v23
	v_lshl_add_u32 v22, v22, 23, v24
	v_or3_b32 v21, v23, v22, v21
.LBB1_652:
	s_or_b64 exec, exec, s[6:7]
	v_lshrrev_b32_e32 v22, 8, v12
	s_movk_i32 s4, 0x7f
	v_cmp_gt_i16_sdwa s[6:7], v22, s4 src0_sel:BYTE_0 src1_sel:DWORD
	s_mov_b64 s[4:5], 0
                                        ; implicit-def: $sgpr10
	s_and_saveexec_b64 s[8:9], s[6:7]
	s_xor_b64 s[6:7], exec, s[8:9]
	s_cbranch_execz .LBB1_653
; %bb.10645:
	s_getpc_b64 s[14:15]
.Lpost_getpc1226:
	s_add_u32 s14, s14, (.LBB1_4749-.Lpost_getpc1226)&4294967295
	s_addc_u32 s15, s15, (.LBB1_4749-.Lpost_getpc1226)>>32
	s_setpc_b64 s[14:15]
.LBB1_653:
	s_or_saveexec_b64 s[6:7], s[6:7]
	v_mov_b32_e32 v23, s10
	s_xor_b64 exec, exec, s[6:7]
	s_cbranch_execz .LBB1_654
; %bb.10647:
	s_getpc_b64 s[14:15]
.Lpost_getpc1227:
	s_add_u32 s14, s14, (.LBB1_4752-.Lpost_getpc1227)&4294967295
	s_addc_u32 s15, s15, (.LBB1_4752-.Lpost_getpc1227)>>32
	s_setpc_b64 s[14:15]
.LBB1_654:
	s_or_b64 exec, exec, s[6:7]
	s_and_saveexec_b64 s[6:7], s[4:5]
	s_cbranch_execz .LBB1_656
.LBB1_655:
	v_bfe_u32 v23, v12, 8, 2
	v_ffbh_u32_e32 v25, v23
	v_min_u32_e32 v25, 32, v25
	v_lshrrev_b16_e32 v24, 2, v22
	v_subrev_u32_e32 v26, 29, v25
	v_and_b32_e32 v24, 31, v24
	v_lshlrev_b32_e32 v22, v26, v22
	v_sub_u32_e32 v25, 30, v25
	v_and_b32_e32 v22, 3, v22
	v_cmp_eq_u16_e32 vcc, 0, v24
	v_cndmask_b32_e32 v22, v23, v22, vcc
	v_cndmask_b32_e32 v23, v24, v25, vcc
	v_lshlrev_b32_e32 v24, 16, v12
	v_mov_b32_e32 v25, 0x37800000
	v_lshlrev_b32_e32 v22, 21, v22
	v_and_b32_e32 v24, 0x80000000, v24
	v_lshl_add_u32 v23, v23, 23, v25
	v_or3_b32 v23, v24, v23, v22
.LBB1_656:
	s_or_b64 exec, exec, s[6:7]
	s_nop 0
	v_mfma_f32_16x16x4f32 a[0:3], v21, v23, a[0:3]
	s_movk_i32 s4, 0xff
	v_and_b32_sdwa v22, v16, s4 dst_sel:DWORD dst_unused:UNUSED_PAD src0_sel:WORD_1 src1_sel:DWORD
	s_movk_i32 s4, 0x7f
	v_cmp_lt_i16_e32 vcc, s4, v22
	s_mov_b64 s[4:5], 0
                                        ; implicit-def: $sgpr10
	s_and_saveexec_b64 s[6:7], vcc
	s_xor_b64 s[6:7], exec, s[6:7]
	s_cbranch_execz .LBB1_657
; %bb.10649:
	s_getpc_b64 s[14:15]
.Lpost_getpc1228:
	s_add_u32 s14, s14, (.LBB1_4753-.Lpost_getpc1228)&4294967295
	s_addc_u32 s15, s15, (.LBB1_4753-.Lpost_getpc1228)>>32
	s_setpc_b64 s[14:15]
.LBB1_657:
	s_or_saveexec_b64 s[6:7], s[6:7]
	v_mov_b32_e32 v21, s10
	s_xor_b64 exec, exec, s[6:7]
	s_cbranch_execz .LBB1_658
; %bb.10651:
	s_getpc_b64 s[14:15]
.Lpost_getpc1229:
	s_add_u32 s14, s14, (.LBB1_4756-.Lpost_getpc1229)&4294967295
	s_addc_u32 s15, s15, (.LBB1_4756-.Lpost_getpc1229)>>32
	s_setpc_b64 s[14:15]
.LBB1_658:
	s_or_b64 exec, exec, s[6:7]
	s_and_saveexec_b64 s[6:7], s[4:5]
	s_cbranch_execz .LBB1_660
.LBB1_659:
	v_bfe_u32 v21, v16, 16, 3
	v_ffbh_u32_e32 v24, v21
	v_min_u32_e32 v24, 32, v24
	v_lshrrev_b32_e32 v22, 19, v16
	v_subrev_u32_e32 v25, 28, v24
	v_and_b32_e32 v22, 15, v22
	v_lshlrev_b32_sdwa v25, v25, v16 dst_sel:DWORD dst_unused:UNUSED_PAD src0_sel:DWORD src1_sel:WORD_1
	v_bfe_u32 v23, v16, 19, 4
	v_sub_u32_e32 v24, 29, v24
	v_and_b32_e32 v25, 7, v25
	v_cmp_eq_u16_e32 vcc, 0, v22
	v_cndmask_b32_e32 v21, v21, v25, vcc
	v_cndmask_b32_e32 v22, v23, v24, vcc
	v_lshlrev_b32_e32 v23, 8, v16
	v_mov_b32_e32 v24, 0x3b800000
	v_lshlrev_b32_e32 v21, 20, v21
	v_and_b32_e32 v23, 0x80000000, v23
	v_lshl_add_u32 v22, v22, 23, v24
	v_or3_b32 v21, v23, v22, v21
.LBB1_660:
	s_or_b64 exec, exec, s[6:7]
	s_movk_i32 s4, 0xff
	v_and_b32_sdwa v22, v12, s4 dst_sel:DWORD dst_unused:UNUSED_PAD src0_sel:WORD_1 src1_sel:DWORD
	s_movk_i32 s4, 0x7f
	v_cmp_lt_i16_e32 vcc, s4, v22
	s_mov_b64 s[4:5], 0
                                        ; implicit-def: $sgpr10
	s_and_saveexec_b64 s[6:7], vcc
	s_xor_b64 s[6:7], exec, s[6:7]
	s_cbranch_execz .LBB1_661
; %bb.10653:
	s_getpc_b64 s[14:15]
.Lpost_getpc1230:
	s_add_u32 s14, s14, (.LBB1_4757-.Lpost_getpc1230)&4294967295
	s_addc_u32 s15, s15, (.LBB1_4757-.Lpost_getpc1230)>>32
	s_setpc_b64 s[14:15]
.LBB1_661:
	s_or_saveexec_b64 s[6:7], s[6:7]
	v_mov_b32_e32 v23, s10
	s_xor_b64 exec, exec, s[6:7]
	s_cbranch_execz .LBB1_662
; %bb.10655:
	s_getpc_b64 s[14:15]
.Lpost_getpc1231:
	s_add_u32 s14, s14, (.LBB1_4760-.Lpost_getpc1231)&4294967295
	s_addc_u32 s15, s15, (.LBB1_4760-.Lpost_getpc1231)>>32
	s_setpc_b64 s[14:15]
.LBB1_662:
	s_or_b64 exec, exec, s[6:7]
	s_and_saveexec_b64 s[6:7], s[4:5]
	s_cbranch_execz .LBB1_664
.LBB1_663:
	v_bfe_u32 v22, v12, 16, 2
	v_ffbh_u32_e32 v25, v22
	v_min_u32_e32 v25, 32, v25
	v_lshrrev_b32_e32 v23, 18, v12
	v_subrev_u32_e32 v26, 29, v25
	v_and_b32_e32 v23, 31, v23
	v_lshlrev_b32_sdwa v26, v26, v12 dst_sel:DWORD dst_unused:UNUSED_PAD src0_sel:DWORD src1_sel:WORD_1
	v_bfe_u32 v24, v12, 18, 5
	v_sub_u32_e32 v25, 30, v25
	v_and_b32_e32 v26, 3, v26
	v_cmp_eq_u16_e32 vcc, 0, v23
	v_cndmask_b32_e32 v22, v22, v26, vcc
	v_cndmask_b32_e32 v23, v24, v25, vcc
	v_lshlrev_b32_e32 v24, 8, v12
	v_mov_b32_e32 v25, 0x37800000
	v_lshlrev_b32_e32 v22, 21, v22
	v_and_b32_e32 v24, 0x80000000, v24
	v_lshl_add_u32 v23, v23, 23, v25
	v_or3_b32 v23, v24, v23, v22
.LBB1_664:
	s_or_b64 exec, exec, s[6:7]
	s_nop 0
	v_mfma_f32_16x16x4f32 a[0:3], v21, v23, a[0:3]
	s_movk_i32 s4, 0x7f
	v_cmp_gt_i16_sdwa s[6:7], v16, s4 src0_sel:BYTE_3 src1_sel:DWORD
	s_mov_b64 s[4:5], 0
                                        ; implicit-def: $sgpr10
	s_and_saveexec_b64 s[8:9], s[6:7]
	s_xor_b64 s[6:7], exec, s[8:9]
	s_cbranch_execz .LBB1_665
; %bb.10657:
	s_getpc_b64 s[14:15]
.Lpost_getpc1232:
	s_add_u32 s14, s14, (.LBB1_4761-.Lpost_getpc1232)&4294967295
	s_addc_u32 s15, s15, (.LBB1_4761-.Lpost_getpc1232)>>32
	s_setpc_b64 s[14:15]
.LBB1_665:
	s_or_saveexec_b64 s[6:7], s[6:7]
	v_mov_b32_e32 v21, s10
	s_xor_b64 exec, exec, s[6:7]
	s_cbranch_execz .LBB1_666
; %bb.10659:
	s_getpc_b64 s[14:15]
.Lpost_getpc1233:
	s_add_u32 s14, s14, (.LBB1_4764-.Lpost_getpc1233)&4294967295
	s_addc_u32 s15, s15, (.LBB1_4764-.Lpost_getpc1233)>>32
	s_setpc_b64 s[14:15]
.LBB1_666:
	s_or_b64 exec, exec, s[6:7]
	s_and_saveexec_b64 s[6:7], s[4:5]
	s_cbranch_execz .LBB1_668
.LBB1_667:
	v_bfe_u32 v21, v16, 24, 3
	v_ffbh_u32_e32 v25, v21
	v_min_u32_e32 v25, 32, v25
	v_lshrrev_b32_e32 v23, 27, v16
	v_subrev_u32_e32 v26, 28, v25
	v_and_b32_e32 v22, 0x80000000, v16
	v_and_b32_e32 v23, 15, v23
	v_bfe_u32 v24, v16, 27, 4
	v_lshlrev_b32_sdwa v16, v26, v16 dst_sel:DWORD dst_unused:UNUSED_PAD src0_sel:DWORD src1_sel:BYTE_3
	v_sub_u32_e32 v25, 29, v25
	v_and_b32_e32 v16, 7, v16
	v_cmp_eq_u16_e32 vcc, 0, v23
	v_cndmask_b32_e32 v16, v21, v16, vcc
	v_cndmask_b32_e32 v21, v24, v25, vcc
	v_mov_b32_e32 v23, 0x3b800000
	v_lshlrev_b32_e32 v16, 20, v16
	v_lshl_add_u32 v21, v21, 23, v23
	v_or3_b32 v21, v22, v21, v16
.LBB1_668:
	s_or_b64 exec, exec, s[6:7]
	s_movk_i32 s4, 0x7f
	v_cmp_gt_i16_sdwa s[6:7], v12, s4 src0_sel:BYTE_3 src1_sel:DWORD
	s_mov_b64 s[4:5], 0
                                        ; implicit-def: $sgpr10
	s_and_saveexec_b64 s[8:9], s[6:7]
	s_xor_b64 s[6:7], exec, s[8:9]
	s_cbranch_execz .LBB1_669
; %bb.10661:
	s_getpc_b64 s[14:15]
.Lpost_getpc1234:
	s_add_u32 s14, s14, (.LBB1_4765-.Lpost_getpc1234)&4294967295
	s_addc_u32 s15, s15, (.LBB1_4765-.Lpost_getpc1234)>>32
	s_setpc_b64 s[14:15]
.LBB1_669:
	s_or_saveexec_b64 s[6:7], s[6:7]
	v_mov_b32_e32 v16, s10
	s_xor_b64 exec, exec, s[6:7]
	s_cbranch_execz .LBB1_670
; %bb.10663:
	s_getpc_b64 s[14:15]
.Lpost_getpc1235:
	s_add_u32 s14, s14, (.LBB1_4768-.Lpost_getpc1235)&4294967295
	s_addc_u32 s15, s15, (.LBB1_4768-.Lpost_getpc1235)>>32
	s_setpc_b64 s[14:15]
.LBB1_670:
	s_or_b64 exec, exec, s[6:7]
	s_and_saveexec_b64 s[6:7], s[4:5]
	s_cbranch_execz .LBB1_672
.LBB1_671:
	v_bfe_u32 v16, v12, 24, 2
	v_ffbh_u32_e32 v25, v16
	v_min_u32_e32 v25, 32, v25
	v_lshrrev_b32_e32 v23, 26, v12
	v_subrev_u32_e32 v26, 29, v25
	v_and_b32_e32 v22, 0x80000000, v12
	v_and_b32_e32 v23, 31, v23
	v_bfe_u32 v24, v12, 26, 5
	v_lshlrev_b32_sdwa v12, v26, v12 dst_sel:DWORD dst_unused:UNUSED_PAD src0_sel:DWORD src1_sel:BYTE_3
	v_sub_u32_e32 v25, 30, v25
	v_and_b32_e32 v12, 3, v12
	v_cmp_eq_u16_e32 vcc, 0, v23
	v_cndmask_b32_e32 v12, v16, v12, vcc
	v_cndmask_b32_e32 v16, v24, v25, vcc
	v_mov_b32_e32 v23, 0x37800000
	v_lshlrev_b32_e32 v12, 21, v12
	v_lshl_add_u32 v16, v16, 23, v23
	v_or3_b32 v16, v22, v16, v12
.LBB1_672:
	s_or_b64 exec, exec, s[6:7]
	s_nop 0
	v_mfma_f32_16x16x4f32 a[0:3], v21, v16, a[0:3]
	s_movk_i32 s4, 0x7f
	v_cmp_gt_i16_sdwa s[6:7], v17, s4 src0_sel:BYTE_0 src1_sel:DWORD
	s_mov_b64 s[4:5], 0
                                        ; implicit-def: $sgpr10
	s_and_saveexec_b64 s[8:9], s[6:7]
	s_xor_b64 s[6:7], exec, s[8:9]
	s_cbranch_execz .LBB1_673
; %bb.10665:
	s_getpc_b64 s[14:15]
.Lpost_getpc1236:
	s_add_u32 s14, s14, (.LBB1_4769-.Lpost_getpc1236)&4294967295
	s_addc_u32 s15, s15, (.LBB1_4769-.Lpost_getpc1236)>>32
	s_setpc_b64 s[14:15]
.LBB1_673:
	s_or_saveexec_b64 s[6:7], s[6:7]
	v_mov_b32_e32 v12, s10
	s_xor_b64 exec, exec, s[6:7]
	s_cbranch_execz .LBB1_674
; %bb.10667:
	s_getpc_b64 s[14:15]
.Lpost_getpc1237:
	s_add_u32 s14, s14, (.LBB1_4772-.Lpost_getpc1237)&4294967295
	s_addc_u32 s15, s15, (.LBB1_4772-.Lpost_getpc1237)>>32
	s_setpc_b64 s[14:15]
.LBB1_674:
	s_or_b64 exec, exec, s[6:7]
	s_and_saveexec_b64 s[6:7], s[4:5]
	s_cbranch_execz .LBB1_676
.LBB1_675:
	v_and_b32_e32 v12, 7, v17
	v_ffbh_u32_e32 v21, v12
	v_min_u32_e32 v21, 32, v21
	v_lshrrev_b16_e32 v16, 3, v17
	v_subrev_u32_e32 v22, 28, v21
	v_and_b32_e32 v16, 15, v16
	v_lshlrev_b32_e32 v22, v22, v17
	v_sub_u32_e32 v21, 29, v21
	v_and_b32_e32 v22, 7, v22
	v_cmp_eq_u16_e32 vcc, 0, v16
	v_cndmask_b32_e32 v12, v12, v22, vcc
	v_cndmask_b32_e32 v16, v16, v21, vcc
	v_lshlrev_b32_e32 v21, 24, v17
	v_mov_b32_e32 v22, 0x3b800000
	v_lshlrev_b32_e32 v12, 20, v12
	v_and_b32_e32 v21, 0x80000000, v21
	v_lshl_add_u32 v16, v16, 23, v22
	v_or3_b32 v12, v21, v16, v12
.LBB1_676:
	s_or_b64 exec, exec, s[6:7]
	s_movk_i32 s4, 0x7f
	v_cmp_gt_i16_sdwa s[6:7], v13, s4 src0_sel:BYTE_0 src1_sel:DWORD
	s_mov_b64 s[4:5], 0
                                        ; implicit-def: $sgpr10
	s_and_saveexec_b64 s[8:9], s[6:7]
	s_xor_b64 s[6:7], exec, s[8:9]
	s_cbranch_execz .LBB1_677
; %bb.10669:
	s_getpc_b64 s[14:15]
.Lpost_getpc1238:
	s_add_u32 s14, s14, (.LBB1_4773-.Lpost_getpc1238)&4294967295
	s_addc_u32 s15, s15, (.LBB1_4773-.Lpost_getpc1238)>>32
	s_setpc_b64 s[14:15]
.LBB1_677:
	s_or_saveexec_b64 s[6:7], s[6:7]
	v_mov_b32_e32 v16, s10
	s_xor_b64 exec, exec, s[6:7]
	s_cbranch_execz .LBB1_678
; %bb.10671:
	s_getpc_b64 s[14:15]
.Lpost_getpc1239:
	s_add_u32 s14, s14, (.LBB1_4776-.Lpost_getpc1239)&4294967295
	s_addc_u32 s15, s15, (.LBB1_4776-.Lpost_getpc1239)>>32
	s_setpc_b64 s[14:15]
.LBB1_678:
	s_or_b64 exec, exec, s[6:7]
	s_and_saveexec_b64 s[6:7], s[4:5]
	s_cbranch_execz .LBB1_680
.LBB1_679:
	v_and_b32_e32 v16, 3, v13
	v_ffbh_u32_e32 v22, v16
	v_min_u32_e32 v22, 32, v22
	v_lshrrev_b16_e32 v21, 2, v13
	v_subrev_u32_e32 v23, 29, v22
	v_and_b32_e32 v21, 31, v21
	v_lshlrev_b32_e32 v23, v23, v13
	v_sub_u32_e32 v22, 30, v22
	v_and_b32_e32 v23, 3, v23
	v_cmp_eq_u16_e32 vcc, 0, v21
	v_cndmask_b32_e32 v16, v16, v23, vcc
	v_cndmask_b32_e32 v21, v21, v22, vcc
	v_lshlrev_b32_e32 v22, 24, v13
	v_mov_b32_e32 v23, 0x37800000
	v_lshlrev_b32_e32 v16, 21, v16
	v_and_b32_e32 v22, 0x80000000, v22
	v_lshl_add_u32 v21, v21, 23, v23
	v_or3_b32 v16, v22, v21, v16
.LBB1_680:
	s_or_b64 exec, exec, s[6:7]
	s_nop 0
	v_mfma_f32_16x16x4f32 a[0:3], v12, v16, a[0:3]
	v_lshrrev_b32_e32 v16, 8, v17
	s_movk_i32 s4, 0x7f
	v_cmp_gt_i16_sdwa s[6:7], v16, s4 src0_sel:BYTE_0 src1_sel:DWORD
	s_mov_b64 s[4:5], 0
                                        ; implicit-def: $sgpr10
	s_and_saveexec_b64 s[8:9], s[6:7]
	s_xor_b64 s[6:7], exec, s[8:9]
	s_cbranch_execz .LBB1_681
; %bb.10673:
	s_getpc_b64 s[14:15]
.Lpost_getpc1240:
	s_add_u32 s14, s14, (.LBB1_4777-.Lpost_getpc1240)&4294967295
	s_addc_u32 s15, s15, (.LBB1_4777-.Lpost_getpc1240)>>32
	s_setpc_b64 s[14:15]
.LBB1_681:
	s_or_saveexec_b64 s[6:7], s[6:7]
	v_mov_b32_e32 v12, s10
	s_xor_b64 exec, exec, s[6:7]
	s_cbranch_execz .LBB1_682
; %bb.10675:
	s_getpc_b64 s[14:15]
.Lpost_getpc1241:
	s_add_u32 s14, s14, (.LBB1_4780-.Lpost_getpc1241)&4294967295
	s_addc_u32 s15, s15, (.LBB1_4780-.Lpost_getpc1241)>>32
	s_setpc_b64 s[14:15]
.LBB1_682:
	s_or_b64 exec, exec, s[6:7]
	s_and_saveexec_b64 s[6:7], s[4:5]
	s_cbranch_execz .LBB1_684
.LBB1_683:
	v_bfe_u32 v12, v17, 8, 3
	v_ffbh_u32_e32 v22, v12
	v_min_u32_e32 v22, 32, v22
	v_lshrrev_b16_e32 v21, 3, v16
	v_subrev_u32_e32 v23, 28, v22
	v_and_b32_e32 v21, 15, v21
	v_lshlrev_b32_e32 v16, v23, v16
	v_sub_u32_e32 v22, 29, v22
	v_and_b32_e32 v16, 7, v16
	v_cmp_eq_u16_e32 vcc, 0, v21
	v_cndmask_b32_e32 v12, v12, v16, vcc
	v_cndmask_b32_e32 v16, v21, v22, vcc
	v_lshlrev_b32_e32 v21, 16, v17
	v_mov_b32_e32 v22, 0x3b800000
	v_lshlrev_b32_e32 v12, 20, v12
	v_and_b32_e32 v21, 0x80000000, v21
	v_lshl_add_u32 v16, v16, 23, v22
	v_or3_b32 v12, v21, v16, v12
.LBB1_684:
	s_or_b64 exec, exec, s[6:7]
	v_lshrrev_b32_e32 v16, 8, v13
	s_movk_i32 s4, 0x7f
	v_cmp_gt_i16_sdwa s[6:7], v16, s4 src0_sel:BYTE_0 src1_sel:DWORD
	s_mov_b64 s[4:5], 0
                                        ; implicit-def: $sgpr10
	s_and_saveexec_b64 s[8:9], s[6:7]
	s_xor_b64 s[6:7], exec, s[8:9]
	s_cbranch_execz .LBB1_685
; %bb.10677:
	s_getpc_b64 s[14:15]
.Lpost_getpc1242:
	s_add_u32 s14, s14, (.LBB1_4781-.Lpost_getpc1242)&4294967295
	s_addc_u32 s15, s15, (.LBB1_4781-.Lpost_getpc1242)>>32
	s_setpc_b64 s[14:15]
.LBB1_685:
	s_or_saveexec_b64 s[6:7], s[6:7]
	v_mov_b32_e32 v21, s10
	s_xor_b64 exec, exec, s[6:7]
	s_cbranch_execz .LBB1_686
; %bb.10679:
	s_getpc_b64 s[14:15]
.Lpost_getpc1243:
	s_add_u32 s14, s14, (.LBB1_4784-.Lpost_getpc1243)&4294967295
	s_addc_u32 s15, s15, (.LBB1_4784-.Lpost_getpc1243)>>32
	s_setpc_b64 s[14:15]
.LBB1_686:
	s_or_b64 exec, exec, s[6:7]
	s_and_saveexec_b64 s[6:7], s[4:5]
	s_cbranch_execz .LBB1_688
.LBB1_687:
	v_bfe_u32 v21, v13, 8, 2
	v_ffbh_u32_e32 v23, v21
	v_min_u32_e32 v23, 32, v23
	v_lshrrev_b16_e32 v22, 2, v16
	v_subrev_u32_e32 v24, 29, v23
	v_and_b32_e32 v22, 31, v22
	v_lshlrev_b32_e32 v16, v24, v16
	v_sub_u32_e32 v23, 30, v23
	v_and_b32_e32 v16, 3, v16
	v_cmp_eq_u16_e32 vcc, 0, v22
	v_cndmask_b32_e32 v16, v21, v16, vcc
	v_cndmask_b32_e32 v21, v22, v23, vcc
	v_lshlrev_b32_e32 v22, 16, v13
	v_mov_b32_e32 v23, 0x37800000
	v_lshlrev_b32_e32 v16, 21, v16
	v_and_b32_e32 v22, 0x80000000, v22
	v_lshl_add_u32 v21, v21, 23, v23
	v_or3_b32 v21, v22, v21, v16
.LBB1_688:
	s_or_b64 exec, exec, s[6:7]
	s_nop 0
	v_mfma_f32_16x16x4f32 a[0:3], v12, v21, a[0:3]
	s_movk_i32 s4, 0xff
	v_and_b32_sdwa v16, v17, s4 dst_sel:DWORD dst_unused:UNUSED_PAD src0_sel:WORD_1 src1_sel:DWORD
	s_movk_i32 s4, 0x7f
	v_cmp_lt_i16_e32 vcc, s4, v16
	s_mov_b64 s[4:5], 0
                                        ; implicit-def: $sgpr10
	s_and_saveexec_b64 s[6:7], vcc
	s_xor_b64 s[6:7], exec, s[6:7]
	s_cbranch_execz .LBB1_689
; %bb.10681:
	s_getpc_b64 s[14:15]
.Lpost_getpc1244:
	s_add_u32 s14, s14, (.LBB1_4785-.Lpost_getpc1244)&4294967295
	s_addc_u32 s15, s15, (.LBB1_4785-.Lpost_getpc1244)>>32
	s_setpc_b64 s[14:15]
.LBB1_689:
	s_or_saveexec_b64 s[6:7], s[6:7]
	v_mov_b32_e32 v12, s10
	s_xor_b64 exec, exec, s[6:7]
	s_cbranch_execz .LBB1_690
; %bb.10683:
	s_getpc_b64 s[14:15]
.Lpost_getpc1245:
	s_add_u32 s14, s14, (.LBB1_4788-.Lpost_getpc1245)&4294967295
	s_addc_u32 s15, s15, (.LBB1_4788-.Lpost_getpc1245)>>32
	s_setpc_b64 s[14:15]
.LBB1_690:
	s_or_b64 exec, exec, s[6:7]
	s_and_saveexec_b64 s[6:7], s[4:5]
	s_cbranch_execz .LBB1_692
.LBB1_691:
	v_bfe_u32 v12, v17, 16, 3
	v_ffbh_u32_e32 v22, v12
	v_min_u32_e32 v22, 32, v22
	v_lshrrev_b32_e32 v16, 19, v17
	v_subrev_u32_e32 v23, 28, v22
	v_and_b32_e32 v16, 15, v16
	v_lshlrev_b32_sdwa v23, v23, v17 dst_sel:DWORD dst_unused:UNUSED_PAD src0_sel:DWORD src1_sel:WORD_1
	v_bfe_u32 v21, v17, 19, 4
	v_sub_u32_e32 v22, 29, v22
	v_and_b32_e32 v23, 7, v23
	v_cmp_eq_u16_e32 vcc, 0, v16
	v_cndmask_b32_e32 v12, v12, v23, vcc
	v_cndmask_b32_e32 v16, v21, v22, vcc
	v_lshlrev_b32_e32 v21, 8, v17
	v_mov_b32_e32 v22, 0x3b800000
	v_lshlrev_b32_e32 v12, 20, v12
	v_and_b32_e32 v21, 0x80000000, v21
	v_lshl_add_u32 v16, v16, 23, v22
	v_or3_b32 v12, v21, v16, v12
.LBB1_692:
	s_or_b64 exec, exec, s[6:7]
	s_movk_i32 s4, 0xff
	v_and_b32_sdwa v16, v13, s4 dst_sel:DWORD dst_unused:UNUSED_PAD src0_sel:WORD_1 src1_sel:DWORD
	s_movk_i32 s4, 0x7f
	v_cmp_lt_i16_e32 vcc, s4, v16
	s_mov_b64 s[4:5], 0
                                        ; implicit-def: $sgpr10
	s_and_saveexec_b64 s[6:7], vcc
	s_xor_b64 s[6:7], exec, s[6:7]
	s_cbranch_execz .LBB1_693
; %bb.10685:
	s_getpc_b64 s[14:15]
.Lpost_getpc1246:
	s_add_u32 s14, s14, (.LBB1_4789-.Lpost_getpc1246)&4294967295
	s_addc_u32 s15, s15, (.LBB1_4789-.Lpost_getpc1246)>>32
	s_setpc_b64 s[14:15]
.LBB1_693:
	s_or_saveexec_b64 s[6:7], s[6:7]
	v_mov_b32_e32 v21, s10
	s_xor_b64 exec, exec, s[6:7]
	s_cbranch_execz .LBB1_694
; %bb.10687:
	s_getpc_b64 s[14:15]
.Lpost_getpc1247:
	s_add_u32 s14, s14, (.LBB1_4792-.Lpost_getpc1247)&4294967295
	s_addc_u32 s15, s15, (.LBB1_4792-.Lpost_getpc1247)>>32
	s_setpc_b64 s[14:15]
.LBB1_694:
	s_or_b64 exec, exec, s[6:7]
	s_and_saveexec_b64 s[6:7], s[4:5]
	s_cbranch_execz .LBB1_696
.LBB1_695:
	v_bfe_u32 v16, v13, 16, 2
	v_ffbh_u32_e32 v23, v16
	v_min_u32_e32 v23, 32, v23
	v_lshrrev_b32_e32 v21, 18, v13
	v_subrev_u32_e32 v24, 29, v23
	v_and_b32_e32 v21, 31, v21
	v_lshlrev_b32_sdwa v24, v24, v13 dst_sel:DWORD dst_unused:UNUSED_PAD src0_sel:DWORD src1_sel:WORD_1
	v_bfe_u32 v22, v13, 18, 5
	v_sub_u32_e32 v23, 30, v23
	v_and_b32_e32 v24, 3, v24
	v_cmp_eq_u16_e32 vcc, 0, v21
	v_cndmask_b32_e32 v16, v16, v24, vcc
	v_cndmask_b32_e32 v21, v22, v23, vcc
	v_lshlrev_b32_e32 v22, 8, v13
	v_mov_b32_e32 v23, 0x37800000
	v_lshlrev_b32_e32 v16, 21, v16
	v_and_b32_e32 v22, 0x80000000, v22
	v_lshl_add_u32 v21, v21, 23, v23
	v_or3_b32 v21, v22, v21, v16
.LBB1_696:
	s_or_b64 exec, exec, s[6:7]
	s_nop 0
	v_mfma_f32_16x16x4f32 a[0:3], v12, v21, a[0:3]
	s_movk_i32 s4, 0x7f
	v_cmp_gt_i16_sdwa s[6:7], v17, s4 src0_sel:BYTE_3 src1_sel:DWORD
	s_mov_b64 s[4:5], 0
                                        ; implicit-def: $sgpr10
	s_and_saveexec_b64 s[8:9], s[6:7]
	s_xor_b64 s[6:7], exec, s[8:9]
	s_cbranch_execz .LBB1_697
; %bb.10689:
	s_getpc_b64 s[14:15]
.Lpost_getpc1248:
	s_add_u32 s14, s14, (.LBB1_4793-.Lpost_getpc1248)&4294967295
	s_addc_u32 s15, s15, (.LBB1_4793-.Lpost_getpc1248)>>32
	s_setpc_b64 s[14:15]
.LBB1_697:
	s_or_saveexec_b64 s[6:7], s[6:7]
	v_mov_b32_e32 v12, s10
	s_xor_b64 exec, exec, s[6:7]
	s_cbranch_execz .LBB1_698
; %bb.10691:
	s_getpc_b64 s[14:15]
.Lpost_getpc1249:
	s_add_u32 s14, s14, (.LBB1_4796-.Lpost_getpc1249)&4294967295
	s_addc_u32 s15, s15, (.LBB1_4796-.Lpost_getpc1249)>>32
	s_setpc_b64 s[14:15]
.LBB1_698:
	s_or_b64 exec, exec, s[6:7]
	s_and_saveexec_b64 s[6:7], s[4:5]
	s_cbranch_execz .LBB1_700
.LBB1_699:
	v_bfe_u32 v12, v17, 24, 3
	v_ffbh_u32_e32 v23, v12
	v_min_u32_e32 v23, 32, v23
	v_lshrrev_b32_e32 v21, 27, v17
	v_subrev_u32_e32 v24, 28, v23
	v_and_b32_e32 v16, 0x80000000, v17
	v_and_b32_e32 v21, 15, v21
	v_bfe_u32 v22, v17, 27, 4
	v_lshlrev_b32_sdwa v17, v24, v17 dst_sel:DWORD dst_unused:UNUSED_PAD src0_sel:DWORD src1_sel:BYTE_3
	v_sub_u32_e32 v23, 29, v23
	v_and_b32_e32 v17, 7, v17
	v_cmp_eq_u16_e32 vcc, 0, v21
	v_cndmask_b32_e32 v12, v12, v17, vcc
	v_cndmask_b32_e32 v17, v22, v23, vcc
	v_mov_b32_e32 v21, 0x3b800000
	v_lshlrev_b32_e32 v12, 20, v12
	v_lshl_add_u32 v17, v17, 23, v21
	v_or3_b32 v12, v16, v17, v12
.LBB1_700:
	s_or_b64 exec, exec, s[6:7]
	s_movk_i32 s4, 0x7f
	v_cmp_gt_i16_sdwa s[6:7], v13, s4 src0_sel:BYTE_3 src1_sel:DWORD
	s_mov_b64 s[4:5], 0
                                        ; implicit-def: $sgpr10
	s_and_saveexec_b64 s[8:9], s[6:7]
	s_xor_b64 s[6:7], exec, s[8:9]
	s_cbranch_execz .LBB1_701
; %bb.10693:
	s_getpc_b64 s[14:15]
.Lpost_getpc1250:
	s_add_u32 s14, s14, (.LBB1_4797-.Lpost_getpc1250)&4294967295
	s_addc_u32 s15, s15, (.LBB1_4797-.Lpost_getpc1250)>>32
	s_setpc_b64 s[14:15]
.LBB1_701:
	s_or_saveexec_b64 s[6:7], s[6:7]
	v_mov_b32_e32 v16, s10
	s_xor_b64 exec, exec, s[6:7]
	s_cbranch_execz .LBB1_702
; %bb.10695:
	s_getpc_b64 s[14:15]
.Lpost_getpc1251:
	s_add_u32 s14, s14, (.LBB1_4800-.Lpost_getpc1251)&4294967295
	s_addc_u32 s15, s15, (.LBB1_4800-.Lpost_getpc1251)>>32
	s_setpc_b64 s[14:15]
.LBB1_702:
	s_or_b64 exec, exec, s[6:7]
	s_and_saveexec_b64 s[6:7], s[4:5]
	s_cbranch_execz .LBB1_704
.LBB1_703:
	v_bfe_u32 v16, v13, 24, 2
	v_ffbh_u32_e32 v23, v16
	v_min_u32_e32 v23, 32, v23
	v_lshrrev_b32_e32 v21, 26, v13
	v_subrev_u32_e32 v24, 29, v23
	v_and_b32_e32 v17, 0x80000000, v13
	v_and_b32_e32 v21, 31, v21
	v_bfe_u32 v22, v13, 26, 5
	v_lshlrev_b32_sdwa v13, v24, v13 dst_sel:DWORD dst_unused:UNUSED_PAD src0_sel:DWORD src1_sel:BYTE_3
	v_sub_u32_e32 v23, 30, v23
	v_and_b32_e32 v13, 3, v13
	v_cmp_eq_u16_e32 vcc, 0, v21
	v_cndmask_b32_e32 v13, v16, v13, vcc
	v_cndmask_b32_e32 v16, v22, v23, vcc
	v_mov_b32_e32 v21, 0x37800000
	v_lshlrev_b32_e32 v13, 21, v13
	v_lshl_add_u32 v16, v16, 23, v21
	v_or3_b32 v16, v17, v16, v13
.LBB1_704:
	s_or_b64 exec, exec, s[6:7]
	s_nop 0
	v_mfma_f32_16x16x4f32 a[0:3], v12, v16, a[0:3]
	s_movk_i32 s4, 0x7f
	v_cmp_gt_i16_sdwa s[6:7], v18, s4 src0_sel:BYTE_0 src1_sel:DWORD
	s_mov_b64 s[4:5], 0
                                        ; implicit-def: $sgpr10
	s_and_saveexec_b64 s[8:9], s[6:7]
	s_xor_b64 s[6:7], exec, s[8:9]
	s_cbranch_execz .LBB1_705
; %bb.10697:
	s_getpc_b64 s[14:15]
.Lpost_getpc1252:
	s_add_u32 s14, s14, (.LBB1_4801-.Lpost_getpc1252)&4294967295
	s_addc_u32 s15, s15, (.LBB1_4801-.Lpost_getpc1252)>>32
	s_setpc_b64 s[14:15]
.LBB1_705:
	s_or_saveexec_b64 s[6:7], s[6:7]
	v_mov_b32_e32 v13, s10
	s_xor_b64 exec, exec, s[6:7]
	s_cbranch_execz .LBB1_706
; %bb.10699:
	s_getpc_b64 s[14:15]
.Lpost_getpc1253:
	s_add_u32 s14, s14, (.LBB1_4804-.Lpost_getpc1253)&4294967295
	s_addc_u32 s15, s15, (.LBB1_4804-.Lpost_getpc1253)>>32
	s_setpc_b64 s[14:15]
.LBB1_706:
	s_or_b64 exec, exec, s[6:7]
	s_and_saveexec_b64 s[6:7], s[4:5]
	s_cbranch_execz .LBB1_708
.LBB1_707:
	v_and_b32_e32 v12, 7, v18
	v_ffbh_u32_e32 v16, v12
	v_min_u32_e32 v16, 32, v16
	v_lshrrev_b16_e32 v13, 3, v18
	v_subrev_u32_e32 v17, 28, v16
	v_and_b32_e32 v13, 15, v13
	v_lshlrev_b32_e32 v17, v17, v18
	v_sub_u32_e32 v16, 29, v16
	v_and_b32_e32 v17, 7, v17
	v_cmp_eq_u16_e32 vcc, 0, v13
	v_cndmask_b32_e32 v12, v12, v17, vcc
	v_cndmask_b32_e32 v13, v13, v16, vcc
	v_lshlrev_b32_e32 v16, 24, v18
	v_mov_b32_e32 v17, 0x3b800000
	v_lshlrev_b32_e32 v12, 20, v12
	v_and_b32_e32 v16, 0x80000000, v16
	v_lshl_add_u32 v13, v13, 23, v17
	v_or3_b32 v13, v16, v13, v12
.LBB1_708:
	s_or_b64 exec, exec, s[6:7]
	s_movk_i32 s4, 0xff
	v_mov_b32_e32 v12, 8
	v_or_b32_sdwa v16, v14, v20 dst_sel:DWORD dst_unused:UNUSED_PAD src0_sel:BYTE_0 src1_sel:DWORD
	v_lshlrev_b16_sdwa v12, v12, v14 dst_sel:DWORD dst_unused:UNUSED_PAD src0_sel:DWORD src1_sel:BYTE_3
	v_and_b32_sdwa v14, v14, s4 dst_sel:DWORD dst_unused:UNUSED_PAD src0_sel:WORD_1 src1_sel:DWORD
	s_movk_i32 s4, 0x7f
	v_or_b32_sdwa v12, v14, v12 dst_sel:WORD_1 dst_unused:UNUSED_PAD src0_sel:DWORD src1_sel:DWORD
	v_cmp_gt_i16_sdwa s[6:7], v16, s4 src0_sel:BYTE_0 src1_sel:DWORD
	s_mov_b64 s[4:5], 0
                                        ; implicit-def: $sgpr10
	s_and_saveexec_b64 s[8:9], s[6:7]
	s_xor_b64 s[6:7], exec, s[8:9]
	s_cbranch_execz .LBB1_709
; %bb.10701:
	s_getpc_b64 s[14:15]
.Lpost_getpc1254:
	s_add_u32 s14, s14, (.LBB1_4805-.Lpost_getpc1254)&4294967295
	s_addc_u32 s15, s15, (.LBB1_4805-.Lpost_getpc1254)>>32
	s_setpc_b64 s[14:15]
.LBB1_709:
	s_or_saveexec_b64 s[6:7], s[6:7]
	v_mov_b32_e32 v14, s10
	s_xor_b64 exec, exec, s[6:7]
	s_cbranch_execz .LBB1_710
; %bb.10703:
	s_getpc_b64 s[14:15]
.Lpost_getpc1255:
	s_add_u32 s14, s14, (.LBB1_4808-.Lpost_getpc1255)&4294967295
	s_addc_u32 s15, s15, (.LBB1_4808-.Lpost_getpc1255)>>32
	s_setpc_b64 s[14:15]
.LBB1_710:
	s_or_b64 exec, exec, s[6:7]
	v_or_b32_sdwa v12, v16, v12 dst_sel:DWORD dst_unused:UNUSED_PAD src0_sel:WORD_0 src1_sel:DWORD
	s_and_saveexec_b64 s[6:7], s[4:5]
	s_cbranch_execz .LBB1_712
.LBB1_711:
	v_and_b32_e32 v14, 3, v12
	v_ffbh_u32_e32 v17, v14
	v_min_u32_e32 v17, 32, v17
	v_lshrrev_b16_e32 v16, 2, v16
	v_subrev_u32_e32 v20, 29, v17
	v_and_b32_e32 v16, 31, v16
	v_lshlrev_b32_e32 v20, v20, v12
	v_sub_u32_e32 v17, 30, v17
	v_and_b32_e32 v20, 3, v20
	v_cmp_eq_u16_e32 vcc, 0, v16
	v_cndmask_b32_e32 v14, v14, v20, vcc
	v_cndmask_b32_e32 v16, v16, v17, vcc
	v_lshlrev_b32_e32 v17, 24, v12
	v_mov_b32_e32 v20, 0x37800000
	v_lshlrev_b32_e32 v14, 21, v14
	v_and_b32_e32 v17, 0x80000000, v17
	v_lshl_add_u32 v16, v16, 23, v20
	v_or3_b32 v14, v17, v16, v14
.LBB1_712:
	s_or_b64 exec, exec, s[6:7]
	s_nop 0
	v_mfma_f32_16x16x4f32 a[0:3], v13, v14, a[0:3]
	v_lshrrev_b32_e32 v14, 8, v18
	s_movk_i32 s4, 0x7f
	v_cmp_gt_i16_sdwa s[6:7], v14, s4 src0_sel:BYTE_0 src1_sel:DWORD
	s_mov_b64 s[4:5], 0
                                        ; implicit-def: $sgpr10
	s_and_saveexec_b64 s[8:9], s[6:7]
	s_xor_b64 s[6:7], exec, s[8:9]
	s_cbranch_execz .LBB1_713
; %bb.10705:
	s_getpc_b64 s[14:15]
.Lpost_getpc1256:
	s_add_u32 s14, s14, (.LBB1_4809-.Lpost_getpc1256)&4294967295
	s_addc_u32 s15, s15, (.LBB1_4809-.Lpost_getpc1256)>>32
	s_setpc_b64 s[14:15]
.LBB1_713:
	s_or_saveexec_b64 s[6:7], s[6:7]
	v_mov_b32_e32 v13, s10
	s_xor_b64 exec, exec, s[6:7]
	s_cbranch_execz .LBB1_714
; %bb.10707:
	s_getpc_b64 s[14:15]
.Lpost_getpc1257:
	s_add_u32 s14, s14, (.LBB1_4812-.Lpost_getpc1257)&4294967295
	s_addc_u32 s15, s15, (.LBB1_4812-.Lpost_getpc1257)>>32
	s_setpc_b64 s[14:15]
.LBB1_714:
	s_or_b64 exec, exec, s[6:7]
	s_and_saveexec_b64 s[6:7], s[4:5]
	s_cbranch_execz .LBB1_716
.LBB1_715:
	v_bfe_u32 v13, v18, 8, 3
	v_ffbh_u32_e32 v17, v13
	v_min_u32_e32 v17, 32, v17
	v_lshrrev_b16_e32 v16, 3, v14
	v_subrev_u32_e32 v20, 28, v17
	v_and_b32_e32 v16, 15, v16
	v_lshlrev_b32_e32 v14, v20, v14
	v_sub_u32_e32 v17, 29, v17
	v_and_b32_e32 v14, 7, v14
	v_cmp_eq_u16_e32 vcc, 0, v16
	v_cndmask_b32_e32 v13, v13, v14, vcc
	v_cndmask_b32_e32 v14, v16, v17, vcc
	v_lshlrev_b32_e32 v16, 16, v18
	v_mov_b32_e32 v17, 0x3b800000
	v_lshlrev_b32_e32 v13, 20, v13
	v_and_b32_e32 v16, 0x80000000, v16
	v_lshl_add_u32 v14, v14, 23, v17
	v_or3_b32 v13, v16, v14, v13
.LBB1_716:
	s_or_b64 exec, exec, s[6:7]
	v_lshrrev_b32_e32 v14, 8, v12
	s_movk_i32 s4, 0x7f
	v_cmp_gt_i16_sdwa s[6:7], v14, s4 src0_sel:BYTE_0 src1_sel:DWORD
	s_mov_b64 s[4:5], 0
                                        ; implicit-def: $sgpr10
	s_and_saveexec_b64 s[8:9], s[6:7]
	s_xor_b64 s[6:7], exec, s[8:9]
	s_cbranch_execz .LBB1_717
; %bb.10709:
	s_getpc_b64 s[14:15]
.Lpost_getpc1258:
	s_add_u32 s14, s14, (.LBB1_4813-.Lpost_getpc1258)&4294967295
	s_addc_u32 s15, s15, (.LBB1_4813-.Lpost_getpc1258)>>32
	s_setpc_b64 s[14:15]
.LBB1_717:
	s_or_saveexec_b64 s[6:7], s[6:7]
	v_mov_b32_e32 v16, s10
	s_xor_b64 exec, exec, s[6:7]
	s_cbranch_execz .LBB1_718
; %bb.10711:
	s_getpc_b64 s[14:15]
.Lpost_getpc1259:
	s_add_u32 s14, s14, (.LBB1_4816-.Lpost_getpc1259)&4294967295
	s_addc_u32 s15, s15, (.LBB1_4816-.Lpost_getpc1259)>>32
	s_setpc_b64 s[14:15]
.LBB1_718:
	s_or_b64 exec, exec, s[6:7]
	s_and_saveexec_b64 s[6:7], s[4:5]
	s_cbranch_execz .LBB1_720
.LBB1_719:
	v_bfe_u32 v16, v12, 8, 2
	v_ffbh_u32_e32 v20, v16
	v_min_u32_e32 v20, 32, v20
	v_lshrrev_b16_e32 v17, 2, v14
	v_subrev_u32_e32 v21, 29, v20
	v_and_b32_e32 v17, 31, v17
	v_lshlrev_b32_e32 v14, v21, v14
	v_sub_u32_e32 v20, 30, v20
	v_and_b32_e32 v14, 3, v14
	v_cmp_eq_u16_e32 vcc, 0, v17
	v_cndmask_b32_e32 v14, v16, v14, vcc
	v_cndmask_b32_e32 v16, v17, v20, vcc
	v_lshlrev_b32_e32 v17, 16, v12
	v_mov_b32_e32 v20, 0x37800000
	v_lshlrev_b32_e32 v14, 21, v14
	v_and_b32_e32 v17, 0x80000000, v17
	v_lshl_add_u32 v16, v16, 23, v20
	v_or3_b32 v16, v17, v16, v14
.LBB1_720:
	s_or_b64 exec, exec, s[6:7]
	s_nop 0
	v_mfma_f32_16x16x4f32 a[0:3], v13, v16, a[0:3]
	s_movk_i32 s4, 0xff
	v_and_b32_sdwa v14, v18, s4 dst_sel:DWORD dst_unused:UNUSED_PAD src0_sel:WORD_1 src1_sel:DWORD
	s_movk_i32 s4, 0x7f
	v_cmp_lt_i16_e32 vcc, s4, v14
	s_mov_b64 s[4:5], 0
                                        ; implicit-def: $sgpr10
	s_and_saveexec_b64 s[6:7], vcc
	s_xor_b64 s[6:7], exec, s[6:7]
	s_cbranch_execz .LBB1_721
; %bb.10713:
	s_getpc_b64 s[14:15]
.Lpost_getpc1260:
	s_add_u32 s14, s14, (.LBB1_4817-.Lpost_getpc1260)&4294967295
	s_addc_u32 s15, s15, (.LBB1_4817-.Lpost_getpc1260)>>32
	s_setpc_b64 s[14:15]
.LBB1_721:
	s_or_saveexec_b64 s[6:7], s[6:7]
	v_mov_b32_e32 v13, s10
	s_xor_b64 exec, exec, s[6:7]
	s_cbranch_execz .LBB1_722
; %bb.10715:
	s_getpc_b64 s[14:15]
.Lpost_getpc1261:
	s_add_u32 s14, s14, (.LBB1_4820-.Lpost_getpc1261)&4294967295
	s_addc_u32 s15, s15, (.LBB1_4820-.Lpost_getpc1261)>>32
	s_setpc_b64 s[14:15]
.LBB1_722:
	s_or_b64 exec, exec, s[6:7]
	s_and_saveexec_b64 s[6:7], s[4:5]
	s_cbranch_execz .LBB1_724
.LBB1_723:
	v_bfe_u32 v13, v18, 16, 3
	v_ffbh_u32_e32 v17, v13
	v_min_u32_e32 v17, 32, v17
	v_lshrrev_b32_e32 v14, 19, v18
	v_subrev_u32_e32 v20, 28, v17
	v_and_b32_e32 v14, 15, v14
	v_lshlrev_b32_sdwa v20, v20, v18 dst_sel:DWORD dst_unused:UNUSED_PAD src0_sel:DWORD src1_sel:WORD_1
	v_bfe_u32 v16, v18, 19, 4
	v_sub_u32_e32 v17, 29, v17
	v_and_b32_e32 v20, 7, v20
	v_cmp_eq_u16_e32 vcc, 0, v14
	v_cndmask_b32_e32 v13, v13, v20, vcc
	v_cndmask_b32_e32 v14, v16, v17, vcc
	v_lshlrev_b32_e32 v16, 8, v18
	v_mov_b32_e32 v17, 0x3b800000
	v_lshlrev_b32_e32 v13, 20, v13
	v_and_b32_e32 v16, 0x80000000, v16
	v_lshl_add_u32 v14, v14, 23, v17
	v_or3_b32 v13, v16, v14, v13
.LBB1_724:
	s_or_b64 exec, exec, s[6:7]
	s_movk_i32 s4, 0xff
	v_and_b32_sdwa v14, v12, s4 dst_sel:DWORD dst_unused:UNUSED_PAD src0_sel:WORD_1 src1_sel:DWORD
	s_movk_i32 s4, 0x7f
	v_cmp_lt_i16_e32 vcc, s4, v14
	s_mov_b64 s[4:5], 0
                                        ; implicit-def: $sgpr10
	s_and_saveexec_b64 s[6:7], vcc
	s_xor_b64 s[6:7], exec, s[6:7]
	s_cbranch_execz .LBB1_725
; %bb.10717:
	s_getpc_b64 s[14:15]
.Lpost_getpc1262:
	s_add_u32 s14, s14, (.LBB1_4821-.Lpost_getpc1262)&4294967295
	s_addc_u32 s15, s15, (.LBB1_4821-.Lpost_getpc1262)>>32
	s_setpc_b64 s[14:15]
.LBB1_725:
	s_or_saveexec_b64 s[6:7], s[6:7]
	v_mov_b32_e32 v16, s10
	s_xor_b64 exec, exec, s[6:7]
	s_cbranch_execz .LBB1_726
; %bb.10719:
	s_getpc_b64 s[14:15]
.Lpost_getpc1263:
	s_add_u32 s14, s14, (.LBB1_4824-.Lpost_getpc1263)&4294967295
	s_addc_u32 s15, s15, (.LBB1_4824-.Lpost_getpc1263)>>32
	s_setpc_b64 s[14:15]
.LBB1_726:
	s_or_b64 exec, exec, s[6:7]
	s_and_saveexec_b64 s[6:7], s[4:5]
	s_cbranch_execz .LBB1_728
.LBB1_727:
	v_bfe_u32 v14, v12, 16, 2
	v_ffbh_u32_e32 v20, v14
	v_min_u32_e32 v20, 32, v20
	v_lshrrev_b32_e32 v16, 18, v12
	v_subrev_u32_e32 v21, 29, v20
	v_and_b32_e32 v16, 31, v16
	v_lshlrev_b32_sdwa v21, v21, v12 dst_sel:DWORD dst_unused:UNUSED_PAD src0_sel:DWORD src1_sel:WORD_1
	v_bfe_u32 v17, v12, 18, 5
	v_sub_u32_e32 v20, 30, v20
	v_and_b32_e32 v21, 3, v21
	v_cmp_eq_u16_e32 vcc, 0, v16
	v_cndmask_b32_e32 v14, v14, v21, vcc
	v_cndmask_b32_e32 v16, v17, v20, vcc
	v_lshlrev_b32_e32 v17, 8, v12
	v_mov_b32_e32 v20, 0x37800000
	v_lshlrev_b32_e32 v14, 21, v14
	v_and_b32_e32 v17, 0x80000000, v17
	v_lshl_add_u32 v16, v16, 23, v20
	v_or3_b32 v16, v17, v16, v14
.LBB1_728:
	s_or_b64 exec, exec, s[6:7]
	s_nop 0
	v_mfma_f32_16x16x4f32 a[0:3], v13, v16, a[0:3]
	s_movk_i32 s4, 0x7f
	v_cmp_gt_i16_sdwa s[6:7], v18, s4 src0_sel:BYTE_3 src1_sel:DWORD
	s_mov_b64 s[4:5], 0
                                        ; implicit-def: $sgpr10
	s_and_saveexec_b64 s[8:9], s[6:7]
	s_xor_b64 s[6:7], exec, s[8:9]
	s_cbranch_execz .LBB1_729
; %bb.10721:
	s_getpc_b64 s[14:15]
.Lpost_getpc1264:
	s_add_u32 s14, s14, (.LBB1_4825-.Lpost_getpc1264)&4294967295
	s_addc_u32 s15, s15, (.LBB1_4825-.Lpost_getpc1264)>>32
	s_setpc_b64 s[14:15]
.LBB1_729:
	s_or_saveexec_b64 s[6:7], s[6:7]
	v_mov_b32_e32 v13, s10
	s_xor_b64 exec, exec, s[6:7]
	s_cbranch_execz .LBB1_730
; %bb.10723:
	s_getpc_b64 s[14:15]
.Lpost_getpc1265:
	s_add_u32 s14, s14, (.LBB1_4828-.Lpost_getpc1265)&4294967295
	s_addc_u32 s15, s15, (.LBB1_4828-.Lpost_getpc1265)>>32
	s_setpc_b64 s[14:15]
.LBB1_730:
	s_or_b64 exec, exec, s[6:7]
	s_and_saveexec_b64 s[6:7], s[4:5]
	s_cbranch_execz .LBB1_732
.LBB1_731:
	v_bfe_u32 v13, v18, 24, 3
	v_ffbh_u32_e32 v20, v13
	v_min_u32_e32 v20, 32, v20
	v_lshrrev_b32_e32 v16, 27, v18
	v_subrev_u32_e32 v21, 28, v20
	v_and_b32_e32 v14, 0x80000000, v18
	v_and_b32_e32 v16, 15, v16
	v_bfe_u32 v17, v18, 27, 4
	v_lshlrev_b32_sdwa v18, v21, v18 dst_sel:DWORD dst_unused:UNUSED_PAD src0_sel:DWORD src1_sel:BYTE_3
	v_sub_u32_e32 v20, 29, v20
	v_and_b32_e32 v18, 7, v18
	v_cmp_eq_u16_e32 vcc, 0, v16
	v_cndmask_b32_e32 v13, v13, v18, vcc
	v_cndmask_b32_e32 v16, v17, v20, vcc
	v_mov_b32_e32 v17, 0x3b800000
	v_lshlrev_b32_e32 v13, 20, v13
	v_lshl_add_u32 v16, v16, 23, v17
	v_or3_b32 v13, v14, v16, v13
.LBB1_732:
	s_or_b64 exec, exec, s[6:7]
	s_movk_i32 s4, 0x7f
	v_cmp_gt_i16_sdwa s[6:7], v12, s4 src0_sel:BYTE_3 src1_sel:DWORD
	s_mov_b64 s[4:5], 0
                                        ; implicit-def: $sgpr10
	s_and_saveexec_b64 s[8:9], s[6:7]
	s_xor_b64 s[6:7], exec, s[8:9]
	s_cbranch_execz .LBB1_733
; %bb.10725:
	s_getpc_b64 s[14:15]
.Lpost_getpc1266:
	s_add_u32 s14, s14, (.LBB1_4829-.Lpost_getpc1266)&4294967295
	s_addc_u32 s15, s15, (.LBB1_4829-.Lpost_getpc1266)>>32
	s_setpc_b64 s[14:15]
.LBB1_733:
	s_or_saveexec_b64 s[6:7], s[6:7]
	v_mov_b32_e32 v14, s10
	s_xor_b64 exec, exec, s[6:7]
	s_cbranch_execz .LBB1_734
; %bb.10727:
	s_getpc_b64 s[14:15]
.Lpost_getpc1267:
	s_add_u32 s14, s14, (.LBB1_4832-.Lpost_getpc1267)&4294967295
	s_addc_u32 s15, s15, (.LBB1_4832-.Lpost_getpc1267)>>32
	s_setpc_b64 s[14:15]
.LBB1_734:
	s_or_b64 exec, exec, s[6:7]
	s_and_saveexec_b64 s[6:7], s[4:5]
	s_cbranch_execz .LBB1_736
.LBB1_735:
	v_bfe_u32 v14, v12, 24, 2
	v_ffbh_u32_e32 v20, v14
	v_min_u32_e32 v20, 32, v20
	v_lshrrev_b32_e32 v17, 26, v12
	v_subrev_u32_e32 v21, 29, v20
	v_and_b32_e32 v16, 0x80000000, v12
	v_and_b32_e32 v17, 31, v17
	v_bfe_u32 v18, v12, 26, 5
	v_lshlrev_b32_sdwa v12, v21, v12 dst_sel:DWORD dst_unused:UNUSED_PAD src0_sel:DWORD src1_sel:BYTE_3
	v_sub_u32_e32 v20, 30, v20
	v_and_b32_e32 v12, 3, v12
	v_cmp_eq_u16_e32 vcc, 0, v17
	v_cndmask_b32_e32 v12, v14, v12, vcc
	v_cndmask_b32_e32 v14, v18, v20, vcc
	v_mov_b32_e32 v17, 0x37800000
	v_lshlrev_b32_e32 v12, 21, v12
	v_lshl_add_u32 v14, v14, 23, v17
	v_or3_b32 v14, v16, v14, v12
.LBB1_736:
	s_or_b64 exec, exec, s[6:7]
	s_nop 0
	v_mfma_f32_16x16x4f32 a[0:3], v13, v14, a[0:3]
	s_movk_i32 s4, 0x7f
	v_cmp_gt_i16_sdwa s[6:7], v19, s4 src0_sel:BYTE_0 src1_sel:DWORD
	s_mov_b64 s[4:5], 0
                                        ; implicit-def: $sgpr10
	s_and_saveexec_b64 s[8:9], s[6:7]
	s_xor_b64 s[6:7], exec, s[8:9]
	s_cbranch_execz .LBB1_737
; %bb.10729:
	s_getpc_b64 s[14:15]
.Lpost_getpc1268:
	s_add_u32 s14, s14, (.LBB1_4833-.Lpost_getpc1268)&4294967295
	s_addc_u32 s15, s15, (.LBB1_4833-.Lpost_getpc1268)>>32
	s_setpc_b64 s[14:15]
.LBB1_737:
	s_or_saveexec_b64 s[6:7], s[6:7]
	v_mov_b32_e32 v12, s10
	s_xor_b64 exec, exec, s[6:7]
	s_cbranch_execz .LBB1_738
; %bb.10731:
	s_getpc_b64 s[14:15]
.Lpost_getpc1269:
	s_add_u32 s14, s14, (.LBB1_4836-.Lpost_getpc1269)&4294967295
	s_addc_u32 s15, s15, (.LBB1_4836-.Lpost_getpc1269)>>32
	s_setpc_b64 s[14:15]
.LBB1_738:
	s_or_b64 exec, exec, s[6:7]
	s_and_saveexec_b64 s[6:7], s[4:5]
	s_cbranch_execz .LBB1_740
.LBB1_739:
	v_mov_b32_e32 v12, 8
	v_and_b32_e32 v13, 7, v19
	v_lshrrev_b32_sdwa v12, v12, v19 dst_sel:BYTE_1 dst_unused:UNUSED_PAD src0_sel:DWORD src1_sel:DWORD
	v_ffbh_u32_e32 v14, v13
	v_or_b32_sdwa v12, v19, v12 dst_sel:DWORD dst_unused:UNUSED_PAD src0_sel:BYTE_0 src1_sel:DWORD
	v_min_u32_e32 v14, 32, v14
	v_lshrrev_b16_e32 v12, 3, v12
	v_subrev_u32_e32 v16, 28, v14
	v_and_b32_e32 v12, 15, v12
	v_lshlrev_b32_e32 v16, v16, v19
	v_sub_u32_e32 v14, 29, v14
	v_and_b32_e32 v16, 7, v16
	v_cmp_eq_u16_e32 vcc, 0, v12
	v_cndmask_b32_e32 v13, v13, v16, vcc
	v_cndmask_b32_e32 v12, v12, v14, vcc
	v_lshlrev_b32_e32 v14, 24, v19
	v_mov_b32_e32 v16, 0x3b800000
	v_lshlrev_b32_e32 v13, 20, v13
	v_and_b32_e32 v14, 0x80000000, v14
	v_lshl_add_u32 v12, v12, 23, v16
	v_or3_b32 v12, v14, v12, v13
.LBB1_740:
	s_or_b64 exec, exec, s[6:7]
	s_movk_i32 s4, 0x7f
	v_cmp_gt_i16_sdwa s[6:7], v15, s4 src0_sel:BYTE_0 src1_sel:DWORD
	s_mov_b64 s[4:5], 0
                                        ; implicit-def: $sgpr10
	s_and_saveexec_b64 s[8:9], s[6:7]
	s_xor_b64 s[6:7], exec, s[8:9]
	s_cbranch_execz .LBB1_741
; %bb.10733:
	s_getpc_b64 s[14:15]
.Lpost_getpc1270:
	s_add_u32 s14, s14, (.LBB1_4837-.Lpost_getpc1270)&4294967295
	s_addc_u32 s15, s15, (.LBB1_4837-.Lpost_getpc1270)>>32
	s_setpc_b64 s[14:15]
.LBB1_741:
	s_or_saveexec_b64 s[6:7], s[6:7]
	v_mov_b32_e32 v13, s10
	s_xor_b64 exec, exec, s[6:7]
	s_cbranch_execz .LBB1_742
; %bb.10735:
	s_getpc_b64 s[14:15]
.Lpost_getpc1271:
	s_add_u32 s14, s14, (.LBB1_4840-.Lpost_getpc1271)&4294967295
	s_addc_u32 s15, s15, (.LBB1_4840-.Lpost_getpc1271)>>32
	s_setpc_b64 s[14:15]
.LBB1_742:
	s_or_b64 exec, exec, s[6:7]
	s_and_saveexec_b64 s[6:7], s[4:5]
	s_cbranch_execz .LBB1_744
.LBB1_743:
	v_and_b32_e32 v13, 3, v15
	v_ffbh_u32_e32 v16, v13
	v_min_u32_e32 v16, 32, v16
	v_lshrrev_b16_e32 v14, 2, v15
	v_subrev_u32_e32 v17, 29, v16
	v_and_b32_e32 v14, 31, v14
	v_lshlrev_b32_e32 v17, v17, v15
	v_sub_u32_e32 v16, 30, v16
	v_and_b32_e32 v17, 3, v17
	v_cmp_eq_u16_e32 vcc, 0, v14
	v_cndmask_b32_e32 v13, v13, v17, vcc
	v_cndmask_b32_e32 v14, v14, v16, vcc
	v_lshlrev_b32_e32 v16, 24, v15
	v_mov_b32_e32 v17, 0x37800000
	v_lshlrev_b32_e32 v13, 21, v13
	v_and_b32_e32 v16, 0x80000000, v16
	v_lshl_add_u32 v14, v14, 23, v17
	v_or3_b32 v13, v16, v14, v13
.LBB1_744:
	s_or_b64 exec, exec, s[6:7]
	s_nop 0
	v_mfma_f32_16x16x4f32 a[0:3], v12, v13, a[0:3]
	v_lshrrev_b32_e32 v13, 8, v19
	s_movk_i32 s4, 0x7f
	v_cmp_gt_i16_sdwa s[6:7], v13, s4 src0_sel:BYTE_0 src1_sel:DWORD
	s_mov_b64 s[4:5], 0
                                        ; implicit-def: $sgpr10
	s_and_saveexec_b64 s[8:9], s[6:7]
	s_xor_b64 s[6:7], exec, s[8:9]
	s_cbranch_execz .LBB1_745
; %bb.10737:
	s_getpc_b64 s[14:15]
.Lpost_getpc1272:
	s_add_u32 s14, s14, (.LBB1_4841-.Lpost_getpc1272)&4294967295
	s_addc_u32 s15, s15, (.LBB1_4841-.Lpost_getpc1272)>>32
	s_setpc_b64 s[14:15]
.LBB1_745:
	s_or_saveexec_b64 s[6:7], s[6:7]
	v_mov_b32_e32 v12, s10
	s_xor_b64 exec, exec, s[6:7]
	s_cbranch_execz .LBB1_746
; %bb.10739:
	s_getpc_b64 s[14:15]
.Lpost_getpc1273:
	s_add_u32 s14, s14, (.LBB1_4844-.Lpost_getpc1273)&4294967295
	s_addc_u32 s15, s15, (.LBB1_4844-.Lpost_getpc1273)>>32
	s_setpc_b64 s[14:15]
.LBB1_746:
	s_or_b64 exec, exec, s[6:7]
	s_and_saveexec_b64 s[6:7], s[4:5]
	s_cbranch_execz .LBB1_748
.LBB1_747:
	v_bfe_u32 v12, v19, 8, 3
	v_ffbh_u32_e32 v16, v12
	v_min_u32_e32 v16, 32, v16
	v_lshrrev_b16_e32 v14, 3, v13
	v_subrev_u32_e32 v17, 28, v16
	v_and_b32_e32 v14, 15, v14
	v_lshlrev_b32_e32 v13, v17, v13
	v_sub_u32_e32 v16, 29, v16
	v_and_b32_e32 v13, 7, v13
	v_cmp_eq_u16_e32 vcc, 0, v14
	v_cndmask_b32_e32 v12, v12, v13, vcc
	v_cndmask_b32_e32 v13, v14, v16, vcc
	v_lshlrev_b32_e32 v14, 16, v19
	v_mov_b32_e32 v16, 0x3b800000
	v_lshlrev_b32_e32 v12, 20, v12
	v_and_b32_e32 v14, 0x80000000, v14
	v_lshl_add_u32 v13, v13, 23, v16
	v_or3_b32 v12, v14, v13, v12
.LBB1_748:
	s_or_b64 exec, exec, s[6:7]
	v_lshrrev_b32_e32 v13, 8, v15
	s_movk_i32 s4, 0x7f
	v_cmp_gt_i16_sdwa s[6:7], v13, s4 src0_sel:BYTE_0 src1_sel:DWORD
	s_mov_b64 s[4:5], 0
                                        ; implicit-def: $sgpr10
	s_and_saveexec_b64 s[8:9], s[6:7]
	s_xor_b64 s[6:7], exec, s[8:9]
	s_cbranch_execz .LBB1_749
; %bb.10741:
	s_getpc_b64 s[14:15]
.Lpost_getpc1274:
	s_add_u32 s14, s14, (.LBB1_4845-.Lpost_getpc1274)&4294967295
	s_addc_u32 s15, s15, (.LBB1_4845-.Lpost_getpc1274)>>32
	s_setpc_b64 s[14:15]
.LBB1_749:
	s_or_saveexec_b64 s[6:7], s[6:7]
	v_mov_b32_e32 v14, s10
	s_xor_b64 exec, exec, s[6:7]
	s_cbranch_execz .LBB1_750
; %bb.10743:
	s_getpc_b64 s[14:15]
.Lpost_getpc1275:
	s_add_u32 s14, s14, (.LBB1_4848-.Lpost_getpc1275)&4294967295
	s_addc_u32 s15, s15, (.LBB1_4848-.Lpost_getpc1275)>>32
	s_setpc_b64 s[14:15]
.LBB1_750:
	s_or_b64 exec, exec, s[6:7]
	s_and_saveexec_b64 s[6:7], s[4:5]
	s_cbranch_execz .LBB1_752
.LBB1_751:
	v_bfe_u32 v14, v15, 8, 2
	v_ffbh_u32_e32 v17, v14
	v_min_u32_e32 v17, 32, v17
	v_lshrrev_b16_e32 v16, 2, v13
	v_subrev_u32_e32 v18, 29, v17
	v_and_b32_e32 v16, 31, v16
	v_lshlrev_b32_e32 v13, v18, v13
	v_sub_u32_e32 v17, 30, v17
	v_and_b32_e32 v13, 3, v13
	v_cmp_eq_u16_e32 vcc, 0, v16
	v_cndmask_b32_e32 v13, v14, v13, vcc
	v_cndmask_b32_e32 v14, v16, v17, vcc
	v_lshlrev_b32_e32 v16, 16, v15
	v_mov_b32_e32 v17, 0x37800000
	v_lshlrev_b32_e32 v13, 21, v13
	v_and_b32_e32 v16, 0x80000000, v16
	v_lshl_add_u32 v14, v14, 23, v17
	v_or3_b32 v14, v16, v14, v13
.LBB1_752:
	s_or_b64 exec, exec, s[6:7]
	s_nop 0
	v_mfma_f32_16x16x4f32 a[0:3], v12, v14, a[0:3]
	s_movk_i32 s4, 0xff
	v_and_b32_sdwa v13, v19, s4 dst_sel:DWORD dst_unused:UNUSED_PAD src0_sel:WORD_1 src1_sel:DWORD
	s_movk_i32 s4, 0x7f
	v_cmp_lt_i16_e32 vcc, s4, v13
	s_mov_b64 s[4:5], 0
                                        ; implicit-def: $sgpr10
	s_and_saveexec_b64 s[6:7], vcc
	s_xor_b64 s[6:7], exec, s[6:7]
	s_cbranch_execz .LBB1_753
; %bb.10745:
	s_getpc_b64 s[14:15]
.Lpost_getpc1276:
	s_add_u32 s14, s14, (.LBB1_4849-.Lpost_getpc1276)&4294967295
	s_addc_u32 s15, s15, (.LBB1_4849-.Lpost_getpc1276)>>32
	s_setpc_b64 s[14:15]
.LBB1_753:
	s_or_saveexec_b64 s[6:7], s[6:7]
	v_mov_b32_e32 v12, s10
	s_xor_b64 exec, exec, s[6:7]
	s_cbranch_execz .LBB1_754
; %bb.10747:
	s_getpc_b64 s[14:15]
.Lpost_getpc1277:
	s_add_u32 s14, s14, (.LBB1_4852-.Lpost_getpc1277)&4294967295
	s_addc_u32 s15, s15, (.LBB1_4852-.Lpost_getpc1277)>>32
	s_setpc_b64 s[14:15]
.LBB1_754:
	s_or_b64 exec, exec, s[6:7]
	s_and_saveexec_b64 s[6:7], s[4:5]
	s_cbranch_execz .LBB1_756
.LBB1_755:
	v_bfe_u32 v12, v19, 16, 3
	v_ffbh_u32_e32 v16, v12
	v_min_u32_e32 v16, 32, v16
	v_lshrrev_b32_e32 v13, 19, v19
	v_subrev_u32_e32 v17, 28, v16
	v_and_b32_e32 v13, 15, v13
	v_lshlrev_b32_sdwa v17, v17, v19 dst_sel:DWORD dst_unused:UNUSED_PAD src0_sel:DWORD src1_sel:WORD_1
	v_bfe_u32 v14, v19, 19, 4
	v_sub_u32_e32 v16, 29, v16
	v_and_b32_e32 v17, 7, v17
	v_cmp_eq_u16_e32 vcc, 0, v13
	v_cndmask_b32_e32 v12, v12, v17, vcc
	v_cndmask_b32_e32 v13, v14, v16, vcc
	v_lshlrev_b32_e32 v14, 8, v19
	v_mov_b32_e32 v16, 0x3b800000
	v_lshlrev_b32_e32 v12, 20, v12
	v_and_b32_e32 v14, 0x80000000, v14
	v_lshl_add_u32 v13, v13, 23, v16
	v_or3_b32 v12, v14, v13, v12
.LBB1_756:
	s_or_b64 exec, exec, s[6:7]
	s_movk_i32 s4, 0xff
	v_and_b32_sdwa v13, v15, s4 dst_sel:DWORD dst_unused:UNUSED_PAD src0_sel:WORD_1 src1_sel:DWORD
	s_movk_i32 s4, 0x7f
	v_cmp_lt_i16_e32 vcc, s4, v13
	s_mov_b64 s[4:5], 0
                                        ; implicit-def: $sgpr10
	s_and_saveexec_b64 s[6:7], vcc
	s_xor_b64 s[6:7], exec, s[6:7]
	s_cbranch_execz .LBB1_757
; %bb.10749:
	s_getpc_b64 s[14:15]
.Lpost_getpc1278:
	s_add_u32 s14, s14, (.LBB1_4853-.Lpost_getpc1278)&4294967295
	s_addc_u32 s15, s15, (.LBB1_4853-.Lpost_getpc1278)>>32
	s_setpc_b64 s[14:15]
.LBB1_757:
	s_or_saveexec_b64 s[6:7], s[6:7]
	v_mov_b32_e32 v14, s10
	s_xor_b64 exec, exec, s[6:7]
	s_cbranch_execz .LBB1_758
; %bb.10751:
	s_getpc_b64 s[14:15]
.Lpost_getpc1279:
	s_add_u32 s14, s14, (.LBB1_4856-.Lpost_getpc1279)&4294967295
	s_addc_u32 s15, s15, (.LBB1_4856-.Lpost_getpc1279)>>32
	s_setpc_b64 s[14:15]
.LBB1_758:
	s_or_b64 exec, exec, s[6:7]
	s_and_saveexec_b64 s[6:7], s[4:5]
	s_cbranch_execz .LBB1_760
.LBB1_759:
	v_bfe_u32 v13, v15, 16, 2
	v_ffbh_u32_e32 v17, v13
	v_min_u32_e32 v17, 32, v17
	v_lshrrev_b32_e32 v14, 18, v15
	v_subrev_u32_e32 v18, 29, v17
	v_and_b32_e32 v14, 31, v14
	v_lshlrev_b32_sdwa v18, v18, v15 dst_sel:DWORD dst_unused:UNUSED_PAD src0_sel:DWORD src1_sel:WORD_1
	v_bfe_u32 v16, v15, 18, 5
	v_sub_u32_e32 v17, 30, v17
	v_and_b32_e32 v18, 3, v18
	v_cmp_eq_u16_e32 vcc, 0, v14
	v_cndmask_b32_e32 v13, v13, v18, vcc
	v_cndmask_b32_e32 v14, v16, v17, vcc
	v_lshlrev_b32_e32 v16, 8, v15
	v_mov_b32_e32 v17, 0x37800000
	v_lshlrev_b32_e32 v13, 21, v13
	v_and_b32_e32 v16, 0x80000000, v16
	v_lshl_add_u32 v14, v14, 23, v17
	v_or3_b32 v14, v16, v14, v13
.LBB1_760:
	s_or_b64 exec, exec, s[6:7]
	s_nop 0
	v_mfma_f32_16x16x4f32 a[0:3], v12, v14, a[0:3]
	s_movk_i32 s4, 0x7f
	v_cmp_gt_i16_sdwa s[6:7], v19, s4 src0_sel:BYTE_3 src1_sel:DWORD
	s_mov_b64 s[4:5], 0
                                        ; implicit-def: $sgpr10
	s_and_saveexec_b64 s[8:9], s[6:7]
	s_xor_b64 s[6:7], exec, s[8:9]
	s_cbranch_execz .LBB1_761
; %bb.10753:
	s_getpc_b64 s[14:15]
.Lpost_getpc1280:
	s_add_u32 s14, s14, (.LBB1_4857-.Lpost_getpc1280)&4294967295
	s_addc_u32 s15, s15, (.LBB1_4857-.Lpost_getpc1280)>>32
	s_setpc_b64 s[14:15]
.LBB1_761:
	s_or_saveexec_b64 s[6:7], s[6:7]
	v_mov_b32_e32 v12, s10
	s_xor_b64 exec, exec, s[6:7]
	s_cbranch_execz .LBB1_762
; %bb.10755:
	s_getpc_b64 s[14:15]
.Lpost_getpc1281:
	s_add_u32 s14, s14, (.LBB1_4860-.Lpost_getpc1281)&4294967295
	s_addc_u32 s15, s15, (.LBB1_4860-.Lpost_getpc1281)>>32
	s_setpc_b64 s[14:15]
.LBB1_762:
	s_or_b64 exec, exec, s[6:7]
	s_and_saveexec_b64 s[6:7], s[4:5]
	s_cbranch_execz .LBB1_764
.LBB1_763:
	v_bfe_u32 v12, v19, 24, 3
	v_ffbh_u32_e32 v17, v12
	v_min_u32_e32 v17, 32, v17
	v_lshrrev_b32_e32 v14, 27, v19
	v_subrev_u32_e32 v18, 28, v17
	v_and_b32_e32 v14, 15, v14
	v_lshlrev_b32_sdwa v18, v18, v19 dst_sel:DWORD dst_unused:UNUSED_PAD src0_sel:DWORD src1_sel:BYTE_3
	v_bfe_u32 v16, v19, 27, 4
	v_sub_u32_e32 v17, 29, v17
	v_and_b32_e32 v18, 7, v18
	v_cmp_eq_u16_e32 vcc, 0, v14
	v_cndmask_b32_e32 v12, v12, v18, vcc
	v_cndmask_b32_e32 v14, v16, v17, vcc
	v_mov_b32_e32 v16, 0x3b800000
	v_and_b32_e32 v13, 0x80000000, v19
	v_lshlrev_b32_e32 v12, 20, v12
	v_lshl_add_u32 v14, v14, 23, v16
	v_or3_b32 v12, v13, v14, v12
.LBB1_764:
	s_or_b64 exec, exec, s[6:7]
	s_movk_i32 s4, 0x7f
	v_cmp_gt_i16_sdwa s[6:7], v15, s4 src0_sel:BYTE_3 src1_sel:DWORD
	s_mov_b64 s[4:5], 0
                                        ; implicit-def: $sgpr10
	s_and_saveexec_b64 s[8:9], s[6:7]
	s_xor_b64 s[6:7], exec, s[8:9]
	s_cbranch_execz .LBB1_765
; %bb.10757:
	s_getpc_b64 s[14:15]
.Lpost_getpc1282:
	s_add_u32 s14, s14, (.LBB1_4861-.Lpost_getpc1282)&4294967295
	s_addc_u32 s15, s15, (.LBB1_4861-.Lpost_getpc1282)>>32
	s_setpc_b64 s[14:15]
.LBB1_765:
	s_or_saveexec_b64 s[6:7], s[6:7]
	v_mov_b32_e32 v13, s10
	s_xor_b64 exec, exec, s[6:7]
	s_cbranch_execz .LBB1_766
; %bb.10759:
	s_getpc_b64 s[14:15]
.Lpost_getpc1283:
	s_add_u32 s14, s14, (.LBB1_4864-.Lpost_getpc1283)&4294967295
	s_addc_u32 s15, s15, (.LBB1_4864-.Lpost_getpc1283)>>32
	s_setpc_b64 s[14:15]
.LBB1_766:
	s_or_b64 exec, exec, s[6:7]
	s_and_saveexec_b64 s[6:7], s[4:5]
	s_cbranch_execz .LBB1_768
.LBB1_767:
	v_bfe_u32 v13, v15, 24, 2
	v_ffbh_u32_e32 v18, v13
	v_min_u32_e32 v18, 32, v18
	v_lshrrev_b32_e32 v16, 26, v15
	v_subrev_u32_e32 v19, 29, v18
	v_and_b32_e32 v14, 0x80000000, v15
	v_and_b32_e32 v16, 31, v16
	v_bfe_u32 v17, v15, 26, 5
	v_lshlrev_b32_sdwa v15, v19, v15 dst_sel:DWORD dst_unused:UNUSED_PAD src0_sel:DWORD src1_sel:BYTE_3
	v_sub_u32_e32 v18, 30, v18
	v_and_b32_e32 v15, 3, v15
	v_cmp_eq_u16_e32 vcc, 0, v16
	v_cndmask_b32_e32 v13, v13, v15, vcc
	v_cndmask_b32_e32 v15, v17, v18, vcc
	v_mov_b32_e32 v16, 0x37800000
	v_lshlrev_b32_e32 v13, 21, v13
	v_lshl_add_u32 v15, v15, 23, v16
	v_or3_b32 v13, v14, v15, v13
.LBB1_768:
	s_or_b64 exec, exec, s[6:7]
	s_nop 0
	v_mfma_f32_16x16x4f32 a[0:3], v12, v13, a[0:3]
	v_mov_b32_e32 v16, 8
	s_movk_i32 s4, 0x7f
                                        ; implicit-def: $sgpr10
	s_nop 7
	s_nop 0
	flat_store_dwordx4 v[10:11], a[0:3] offset:80
	flat_load_dword v14, v[0:1] offset:544
	flat_load_dwordx2 v[12:13], v[6:7]
	s_waitcnt vmcnt(0) lgkmcnt(0)
	v_ashrrev_i32_e32 v15, 31, v14
	v_add_co_u32_e32 v12, vcc, v12, v14
	v_addc_co_u32_e32 v13, vcc, v13, v15, vcc
	flat_load_dwordx4 v[12:15], v[12:13] offset:1024
	s_waitcnt vmcnt(0) lgkmcnt(0)
	v_lshrrev_b32_sdwa v20, v16, v14 dst_sel:BYTE_1 dst_unused:UNUSED_PAD src0_sel:DWORD src1_sel:DWORD
	flat_store_dwordx4 v[8:9], v[12:15]
	flat_load_dwordx4 v[16:19], v[4:5]
	s_waitcnt vmcnt(0) lgkmcnt(0)
	v_cmp_gt_i16_sdwa s[6:7], v16, s4 src0_sel:BYTE_0 src1_sel:DWORD
	s_mov_b64 s[4:5], 0
	s_and_saveexec_b64 s[8:9], s[6:7]
	s_xor_b64 s[6:7], exec, s[8:9]
	s_cbranch_execz .LBB1_769
; %bb.10761:
	s_getpc_b64 s[14:15]
.Lpost_getpc1284:
	s_add_u32 s14, s14, (.LBB1_4865-.Lpost_getpc1284)&4294967295
	s_addc_u32 s15, s15, (.LBB1_4865-.Lpost_getpc1284)>>32
	s_setpc_b64 s[14:15]
.LBB1_769:
	s_or_saveexec_b64 s[6:7], s[6:7]
	v_mov_b32_e32 v21, s10
	s_xor_b64 exec, exec, s[6:7]
	s_cbranch_execz .LBB1_770
; %bb.10763:
	s_getpc_b64 s[14:15]
.Lpost_getpc1285:
	s_add_u32 s14, s14, (.LBB1_4868-.Lpost_getpc1285)&4294967295
	s_addc_u32 s15, s15, (.LBB1_4868-.Lpost_getpc1285)>>32
	s_setpc_b64 s[14:15]
.LBB1_770:
	s_or_b64 exec, exec, s[6:7]
	s_and_saveexec_b64 s[6:7], s[4:5]
	s_cbranch_execz .LBB1_772
.LBB1_771:
	v_and_b32_e32 v21, 7, v16
	v_ffbh_u32_e32 v23, v21
	v_min_u32_e32 v23, 32, v23
	v_lshrrev_b16_e32 v22, 3, v16
	v_subrev_u32_e32 v24, 28, v23
	v_and_b32_e32 v22, 15, v22
	v_lshlrev_b32_e32 v24, v24, v16
	v_sub_u32_e32 v23, 29, v23
	v_and_b32_e32 v24, 7, v24
	v_cmp_eq_u16_e32 vcc, 0, v22
	v_cndmask_b32_e32 v21, v21, v24, vcc
	v_cndmask_b32_e32 v22, v22, v23, vcc
	v_lshlrev_b32_e32 v23, 24, v16
	v_mov_b32_e32 v24, 0x3b800000
	v_lshlrev_b32_e32 v21, 20, v21
	v_and_b32_e32 v23, 0x80000000, v23
	v_lshl_add_u32 v22, v22, 23, v24
	v_or3_b32 v21, v23, v22, v21
.LBB1_772:
	s_or_b64 exec, exec, s[6:7]
	s_movk_i32 s4, 0x7f
	v_cmp_gt_i16_sdwa s[6:7], v12, s4 src0_sel:BYTE_0 src1_sel:DWORD
	s_mov_b64 s[4:5], 0
                                        ; implicit-def: $sgpr10
	s_and_saveexec_b64 s[8:9], s[6:7]
	s_xor_b64 s[6:7], exec, s[8:9]
	s_cbranch_execz .LBB1_773
; %bb.10765:
	s_getpc_b64 s[14:15]
.Lpost_getpc1286:
	s_add_u32 s14, s14, (.LBB1_4869-.Lpost_getpc1286)&4294967295
	s_addc_u32 s15, s15, (.LBB1_4869-.Lpost_getpc1286)>>32
	s_setpc_b64 s[14:15]
.LBB1_773:
	s_or_saveexec_b64 s[6:7], s[6:7]
	v_mov_b32_e32 v22, s10
	s_xor_b64 exec, exec, s[6:7]
	s_cbranch_execz .LBB1_774
; %bb.10767:
	s_getpc_b64 s[14:15]
.Lpost_getpc1287:
	s_add_u32 s14, s14, (.LBB1_4872-.Lpost_getpc1287)&4294967295
	s_addc_u32 s15, s15, (.LBB1_4872-.Lpost_getpc1287)>>32
	s_setpc_b64 s[14:15]
.LBB1_774:
	s_or_b64 exec, exec, s[6:7]
	s_and_saveexec_b64 s[6:7], s[4:5]
	s_cbranch_execz .LBB1_776
.LBB1_775:
	v_and_b32_e32 v22, 3, v12
	v_ffbh_u32_e32 v24, v22
	v_min_u32_e32 v24, 32, v24
	v_lshrrev_b16_e32 v23, 2, v12
	v_subrev_u32_e32 v25, 29, v24
	v_and_b32_e32 v23, 31, v23
	v_lshlrev_b32_e32 v25, v25, v12
	v_sub_u32_e32 v24, 30, v24
	v_and_b32_e32 v25, 3, v25
	v_cmp_eq_u16_e32 vcc, 0, v23
	v_cndmask_b32_e32 v22, v22, v25, vcc
	v_cndmask_b32_e32 v23, v23, v24, vcc
	v_lshlrev_b32_e32 v24, 24, v12
	v_mov_b32_e32 v25, 0x37800000
	v_lshlrev_b32_e32 v22, 21, v22
	v_and_b32_e32 v24, 0x80000000, v24
	v_lshl_add_u32 v23, v23, 23, v25
	v_or3_b32 v22, v24, v23, v22
.LBB1_776:
	s_or_b64 exec, exec, s[6:7]
	flat_load_dwordx4 a[0:3], v[10:11] offset:96
	s_movk_i32 s4, 0x7f
                                        ; implicit-def: $sgpr10
	s_waitcnt vmcnt(0) lgkmcnt(0)
	v_mfma_f32_16x16x4f32 a[0:3], v21, v22, a[0:3]
	v_lshrrev_b32_e32 v22, 8, v16
	v_cmp_gt_i16_sdwa s[6:7], v22, s4 src0_sel:BYTE_0 src1_sel:DWORD
	s_mov_b64 s[4:5], 0
	s_and_saveexec_b64 s[8:9], s[6:7]
	s_xor_b64 s[6:7], exec, s[8:9]
	s_cbranch_execz .LBB1_777
; %bb.10769:
	s_getpc_b64 s[14:15]
.Lpost_getpc1288:
	s_add_u32 s14, s14, (.LBB1_4873-.Lpost_getpc1288)&4294967295
	s_addc_u32 s15, s15, (.LBB1_4873-.Lpost_getpc1288)>>32
	s_setpc_b64 s[14:15]
.LBB1_777:
	s_or_saveexec_b64 s[6:7], s[6:7]
	v_mov_b32_e32 v21, s10
	s_xor_b64 exec, exec, s[6:7]
	s_cbranch_execz .LBB1_778
; %bb.10771:
	s_getpc_b64 s[14:15]
.Lpost_getpc1289:
	s_add_u32 s14, s14, (.LBB1_4876-.Lpost_getpc1289)&4294967295
	s_addc_u32 s15, s15, (.LBB1_4876-.Lpost_getpc1289)>>32
	s_setpc_b64 s[14:15]
.LBB1_778:
	s_or_b64 exec, exec, s[6:7]
	s_and_saveexec_b64 s[6:7], s[4:5]
	s_cbranch_execz .LBB1_780
.LBB1_779:
	v_bfe_u32 v21, v16, 8, 3
	v_ffbh_u32_e32 v24, v21
	v_min_u32_e32 v24, 32, v24
	v_lshrrev_b16_e32 v23, 3, v22
	v_subrev_u32_e32 v25, 28, v24
	v_and_b32_e32 v23, 15, v23
	v_lshlrev_b32_e32 v22, v25, v22
	v_sub_u32_e32 v24, 29, v24
	v_and_b32_e32 v22, 7, v22
	v_cmp_eq_u16_e32 vcc, 0, v23
	v_cndmask_b32_e32 v21, v21, v22, vcc
	v_cndmask_b32_e32 v22, v23, v24, vcc
	v_lshlrev_b32_e32 v23, 16, v16
	v_mov_b32_e32 v24, 0x3b800000
	v_lshlrev_b32_e32 v21, 20, v21
	v_and_b32_e32 v23, 0x80000000, v23
	v_lshl_add_u32 v22, v22, 23, v24
	v_or3_b32 v21, v23, v22, v21
.LBB1_780:
	s_or_b64 exec, exec, s[6:7]
	v_lshrrev_b32_e32 v22, 8, v12
	s_movk_i32 s4, 0x7f
	v_cmp_gt_i16_sdwa s[6:7], v22, s4 src0_sel:BYTE_0 src1_sel:DWORD
	s_mov_b64 s[4:5], 0
                                        ; implicit-def: $sgpr10
	s_and_saveexec_b64 s[8:9], s[6:7]
	s_xor_b64 s[6:7], exec, s[8:9]
	s_cbranch_execz .LBB1_781
; %bb.10773:
	s_getpc_b64 s[14:15]
.Lpost_getpc1290:
	s_add_u32 s14, s14, (.LBB1_4877-.Lpost_getpc1290)&4294967295
	s_addc_u32 s15, s15, (.LBB1_4877-.Lpost_getpc1290)>>32
	s_setpc_b64 s[14:15]
.LBB1_781:
	s_or_saveexec_b64 s[6:7], s[6:7]
	v_mov_b32_e32 v23, s10
	s_xor_b64 exec, exec, s[6:7]
	s_cbranch_execz .LBB1_782
; %bb.10775:
	s_getpc_b64 s[14:15]
.Lpost_getpc1291:
	s_add_u32 s14, s14, (.LBB1_4880-.Lpost_getpc1291)&4294967295
	s_addc_u32 s15, s15, (.LBB1_4880-.Lpost_getpc1291)>>32
	s_setpc_b64 s[14:15]
.LBB1_782:
	s_or_b64 exec, exec, s[6:7]
	s_and_saveexec_b64 s[6:7], s[4:5]
	s_cbranch_execz .LBB1_784
.LBB1_783:
	v_bfe_u32 v23, v12, 8, 2
	v_ffbh_u32_e32 v25, v23
	v_min_u32_e32 v25, 32, v25
	v_lshrrev_b16_e32 v24, 2, v22
	v_subrev_u32_e32 v26, 29, v25
	v_and_b32_e32 v24, 31, v24
	v_lshlrev_b32_e32 v22, v26, v22
	v_sub_u32_e32 v25, 30, v25
	v_and_b32_e32 v22, 3, v22
	v_cmp_eq_u16_e32 vcc, 0, v24
	v_cndmask_b32_e32 v22, v23, v22, vcc
	v_cndmask_b32_e32 v23, v24, v25, vcc
	v_lshlrev_b32_e32 v24, 16, v12
	v_mov_b32_e32 v25, 0x37800000
	v_lshlrev_b32_e32 v22, 21, v22
	v_and_b32_e32 v24, 0x80000000, v24
	v_lshl_add_u32 v23, v23, 23, v25
	v_or3_b32 v23, v24, v23, v22
.LBB1_784:
	s_or_b64 exec, exec, s[6:7]
	s_nop 0
	v_mfma_f32_16x16x4f32 a[0:3], v21, v23, a[0:3]
	s_movk_i32 s4, 0xff
	v_and_b32_sdwa v22, v16, s4 dst_sel:DWORD dst_unused:UNUSED_PAD src0_sel:WORD_1 src1_sel:DWORD
	s_movk_i32 s4, 0x7f
	v_cmp_lt_i16_e32 vcc, s4, v22
	s_mov_b64 s[4:5], 0
                                        ; implicit-def: $sgpr10
	s_and_saveexec_b64 s[6:7], vcc
	s_xor_b64 s[6:7], exec, s[6:7]
	s_cbranch_execz .LBB1_785
; %bb.10777:
	s_getpc_b64 s[14:15]
.Lpost_getpc1292:
	s_add_u32 s14, s14, (.LBB1_4881-.Lpost_getpc1292)&4294967295
	s_addc_u32 s15, s15, (.LBB1_4881-.Lpost_getpc1292)>>32
	s_setpc_b64 s[14:15]
.LBB1_785:
	s_or_saveexec_b64 s[6:7], s[6:7]
	v_mov_b32_e32 v21, s10
	s_xor_b64 exec, exec, s[6:7]
	s_cbranch_execz .LBB1_786
; %bb.10779:
	s_getpc_b64 s[14:15]
.Lpost_getpc1293:
	s_add_u32 s14, s14, (.LBB1_4884-.Lpost_getpc1293)&4294967295
	s_addc_u32 s15, s15, (.LBB1_4884-.Lpost_getpc1293)>>32
	s_setpc_b64 s[14:15]
.LBB1_786:
	s_or_b64 exec, exec, s[6:7]
	s_and_saveexec_b64 s[6:7], s[4:5]
	s_cbranch_execz .LBB1_788
.LBB1_787:
	v_bfe_u32 v21, v16, 16, 3
	v_ffbh_u32_e32 v24, v21
	v_min_u32_e32 v24, 32, v24
	v_lshrrev_b32_e32 v22, 19, v16
	v_subrev_u32_e32 v25, 28, v24
	v_and_b32_e32 v22, 15, v22
	v_lshlrev_b32_sdwa v25, v25, v16 dst_sel:DWORD dst_unused:UNUSED_PAD src0_sel:DWORD src1_sel:WORD_1
	v_bfe_u32 v23, v16, 19, 4
	v_sub_u32_e32 v24, 29, v24
	v_and_b32_e32 v25, 7, v25
	v_cmp_eq_u16_e32 vcc, 0, v22
	v_cndmask_b32_e32 v21, v21, v25, vcc
	v_cndmask_b32_e32 v22, v23, v24, vcc
	v_lshlrev_b32_e32 v23, 8, v16
	v_mov_b32_e32 v24, 0x3b800000
	v_lshlrev_b32_e32 v21, 20, v21
	v_and_b32_e32 v23, 0x80000000, v23
	v_lshl_add_u32 v22, v22, 23, v24
	v_or3_b32 v21, v23, v22, v21
.LBB1_788:
	s_or_b64 exec, exec, s[6:7]
	s_movk_i32 s4, 0xff
	v_and_b32_sdwa v22, v12, s4 dst_sel:DWORD dst_unused:UNUSED_PAD src0_sel:WORD_1 src1_sel:DWORD
	s_movk_i32 s4, 0x7f
	v_cmp_lt_i16_e32 vcc, s4, v22
	s_mov_b64 s[4:5], 0
                                        ; implicit-def: $sgpr10
	s_and_saveexec_b64 s[6:7], vcc
	s_xor_b64 s[6:7], exec, s[6:7]
	s_cbranch_execz .LBB1_789
; %bb.10781:
	s_getpc_b64 s[14:15]
.Lpost_getpc1294:
	s_add_u32 s14, s14, (.LBB1_4885-.Lpost_getpc1294)&4294967295
	s_addc_u32 s15, s15, (.LBB1_4885-.Lpost_getpc1294)>>32
	s_setpc_b64 s[14:15]
.LBB1_789:
	s_or_saveexec_b64 s[6:7], s[6:7]
	v_mov_b32_e32 v23, s10
	s_xor_b64 exec, exec, s[6:7]
	s_cbranch_execz .LBB1_790
; %bb.10783:
	s_getpc_b64 s[14:15]
.Lpost_getpc1295:
	s_add_u32 s14, s14, (.LBB1_4888-.Lpost_getpc1295)&4294967295
	s_addc_u32 s15, s15, (.LBB1_4888-.Lpost_getpc1295)>>32
	s_setpc_b64 s[14:15]
.LBB1_790:
	s_or_b64 exec, exec, s[6:7]
	s_and_saveexec_b64 s[6:7], s[4:5]
	s_cbranch_execz .LBB1_792
.LBB1_791:
	v_bfe_u32 v22, v12, 16, 2
	v_ffbh_u32_e32 v25, v22
	v_min_u32_e32 v25, 32, v25
	v_lshrrev_b32_e32 v23, 18, v12
	v_subrev_u32_e32 v26, 29, v25
	v_and_b32_e32 v23, 31, v23
	v_lshlrev_b32_sdwa v26, v26, v12 dst_sel:DWORD dst_unused:UNUSED_PAD src0_sel:DWORD src1_sel:WORD_1
	v_bfe_u32 v24, v12, 18, 5
	v_sub_u32_e32 v25, 30, v25
	v_and_b32_e32 v26, 3, v26
	v_cmp_eq_u16_e32 vcc, 0, v23
	v_cndmask_b32_e32 v22, v22, v26, vcc
	v_cndmask_b32_e32 v23, v24, v25, vcc
	v_lshlrev_b32_e32 v24, 8, v12
	v_mov_b32_e32 v25, 0x37800000
	v_lshlrev_b32_e32 v22, 21, v22
	v_and_b32_e32 v24, 0x80000000, v24
	v_lshl_add_u32 v23, v23, 23, v25
	v_or3_b32 v23, v24, v23, v22
.LBB1_792:
	s_or_b64 exec, exec, s[6:7]
	s_nop 0
	v_mfma_f32_16x16x4f32 a[0:3], v21, v23, a[0:3]
	s_movk_i32 s4, 0x7f
	v_cmp_gt_i16_sdwa s[6:7], v16, s4 src0_sel:BYTE_3 src1_sel:DWORD
	s_mov_b64 s[4:5], 0
                                        ; implicit-def: $sgpr10
	s_and_saveexec_b64 s[8:9], s[6:7]
	s_xor_b64 s[6:7], exec, s[8:9]
	s_cbranch_execz .LBB1_793
; %bb.10785:
	s_getpc_b64 s[14:15]
.Lpost_getpc1296:
	s_add_u32 s14, s14, (.LBB1_4889-.Lpost_getpc1296)&4294967295
	s_addc_u32 s15, s15, (.LBB1_4889-.Lpost_getpc1296)>>32
	s_setpc_b64 s[14:15]
.LBB1_793:
	s_or_saveexec_b64 s[6:7], s[6:7]
	v_mov_b32_e32 v21, s10
	s_xor_b64 exec, exec, s[6:7]
	s_cbranch_execz .LBB1_794
; %bb.10787:
	s_getpc_b64 s[14:15]
.Lpost_getpc1297:
	s_add_u32 s14, s14, (.LBB1_4892-.Lpost_getpc1297)&4294967295
	s_addc_u32 s15, s15, (.LBB1_4892-.Lpost_getpc1297)>>32
	s_setpc_b64 s[14:15]
.LBB1_794:
	s_or_b64 exec, exec, s[6:7]
	s_and_saveexec_b64 s[6:7], s[4:5]
	s_cbranch_execz .LBB1_796
.LBB1_795:
	v_bfe_u32 v21, v16, 24, 3
	v_ffbh_u32_e32 v25, v21
	v_min_u32_e32 v25, 32, v25
	v_lshrrev_b32_e32 v23, 27, v16
	v_subrev_u32_e32 v26, 28, v25
	v_and_b32_e32 v22, 0x80000000, v16
	v_and_b32_e32 v23, 15, v23
	v_bfe_u32 v24, v16, 27, 4
	v_lshlrev_b32_sdwa v16, v26, v16 dst_sel:DWORD dst_unused:UNUSED_PAD src0_sel:DWORD src1_sel:BYTE_3
	v_sub_u32_e32 v25, 29, v25
	v_and_b32_e32 v16, 7, v16
	v_cmp_eq_u16_e32 vcc, 0, v23
	v_cndmask_b32_e32 v16, v21, v16, vcc
	v_cndmask_b32_e32 v21, v24, v25, vcc
	v_mov_b32_e32 v23, 0x3b800000
	v_lshlrev_b32_e32 v16, 20, v16
	v_lshl_add_u32 v21, v21, 23, v23
	v_or3_b32 v21, v22, v21, v16
.LBB1_796:
	s_or_b64 exec, exec, s[6:7]
	s_movk_i32 s4, 0x7f
	v_cmp_gt_i16_sdwa s[6:7], v12, s4 src0_sel:BYTE_3 src1_sel:DWORD
	s_mov_b64 s[4:5], 0
                                        ; implicit-def: $sgpr10
	s_and_saveexec_b64 s[8:9], s[6:7]
	s_xor_b64 s[6:7], exec, s[8:9]
	s_cbranch_execz .LBB1_797
; %bb.10789:
	s_getpc_b64 s[14:15]
.Lpost_getpc1298:
	s_add_u32 s14, s14, (.LBB1_4893-.Lpost_getpc1298)&4294967295
	s_addc_u32 s15, s15, (.LBB1_4893-.Lpost_getpc1298)>>32
	s_setpc_b64 s[14:15]
.LBB1_797:
	s_or_saveexec_b64 s[6:7], s[6:7]
	v_mov_b32_e32 v16, s10
	s_xor_b64 exec, exec, s[6:7]
	s_cbranch_execz .LBB1_798
; %bb.10791:
	s_getpc_b64 s[14:15]
.Lpost_getpc1299:
	s_add_u32 s14, s14, (.LBB1_4896-.Lpost_getpc1299)&4294967295
	s_addc_u32 s15, s15, (.LBB1_4896-.Lpost_getpc1299)>>32
	s_setpc_b64 s[14:15]
.LBB1_798:
	s_or_b64 exec, exec, s[6:7]
	s_and_saveexec_b64 s[6:7], s[4:5]
	s_cbranch_execz .LBB1_800
.LBB1_799:
	v_bfe_u32 v16, v12, 24, 2
	v_ffbh_u32_e32 v25, v16
	v_min_u32_e32 v25, 32, v25
	v_lshrrev_b32_e32 v23, 26, v12
	v_subrev_u32_e32 v26, 29, v25
	v_and_b32_e32 v22, 0x80000000, v12
	v_and_b32_e32 v23, 31, v23
	v_bfe_u32 v24, v12, 26, 5
	v_lshlrev_b32_sdwa v12, v26, v12 dst_sel:DWORD dst_unused:UNUSED_PAD src0_sel:DWORD src1_sel:BYTE_3
	v_sub_u32_e32 v25, 30, v25
	v_and_b32_e32 v12, 3, v12
	v_cmp_eq_u16_e32 vcc, 0, v23
	v_cndmask_b32_e32 v12, v16, v12, vcc
	v_cndmask_b32_e32 v16, v24, v25, vcc
	v_mov_b32_e32 v23, 0x37800000
	v_lshlrev_b32_e32 v12, 21, v12
	v_lshl_add_u32 v16, v16, 23, v23
	v_or3_b32 v16, v22, v16, v12
.LBB1_800:
	s_or_b64 exec, exec, s[6:7]
	s_nop 0
	v_mfma_f32_16x16x4f32 a[0:3], v21, v16, a[0:3]
	s_movk_i32 s4, 0x7f
	v_cmp_gt_i16_sdwa s[6:7], v17, s4 src0_sel:BYTE_0 src1_sel:DWORD
	s_mov_b64 s[4:5], 0
                                        ; implicit-def: $sgpr10
	s_and_saveexec_b64 s[8:9], s[6:7]
	s_xor_b64 s[6:7], exec, s[8:9]
	s_cbranch_execz .LBB1_801
; %bb.10793:
	s_getpc_b64 s[14:15]
.Lpost_getpc1300:
	s_add_u32 s14, s14, (.LBB1_4897-.Lpost_getpc1300)&4294967295
	s_addc_u32 s15, s15, (.LBB1_4897-.Lpost_getpc1300)>>32
	s_setpc_b64 s[14:15]
.LBB1_801:
	s_or_saveexec_b64 s[6:7], s[6:7]
	v_mov_b32_e32 v12, s10
	s_xor_b64 exec, exec, s[6:7]
	s_cbranch_execz .LBB1_802
; %bb.10795:
	s_getpc_b64 s[14:15]
.Lpost_getpc1301:
	s_add_u32 s14, s14, (.LBB1_4900-.Lpost_getpc1301)&4294967295
	s_addc_u32 s15, s15, (.LBB1_4900-.Lpost_getpc1301)>>32
	s_setpc_b64 s[14:15]
.LBB1_802:
	s_or_b64 exec, exec, s[6:7]
	s_and_saveexec_b64 s[6:7], s[4:5]
	s_cbranch_execz .LBB1_804
.LBB1_803:
	v_and_b32_e32 v12, 7, v17
	v_ffbh_u32_e32 v21, v12
	v_min_u32_e32 v21, 32, v21
	v_lshrrev_b16_e32 v16, 3, v17
	v_subrev_u32_e32 v22, 28, v21
	v_and_b32_e32 v16, 15, v16
	v_lshlrev_b32_e32 v22, v22, v17
	v_sub_u32_e32 v21, 29, v21
	v_and_b32_e32 v22, 7, v22
	v_cmp_eq_u16_e32 vcc, 0, v16
	v_cndmask_b32_e32 v12, v12, v22, vcc
	v_cndmask_b32_e32 v16, v16, v21, vcc
	v_lshlrev_b32_e32 v21, 24, v17
	v_mov_b32_e32 v22, 0x3b800000
	v_lshlrev_b32_e32 v12, 20, v12
	v_and_b32_e32 v21, 0x80000000, v21
	v_lshl_add_u32 v16, v16, 23, v22
	v_or3_b32 v12, v21, v16, v12
.LBB1_804:
	s_or_b64 exec, exec, s[6:7]
	s_movk_i32 s4, 0x7f
	v_cmp_gt_i16_sdwa s[6:7], v13, s4 src0_sel:BYTE_0 src1_sel:DWORD
	s_mov_b64 s[4:5], 0
                                        ; implicit-def: $sgpr10
	s_and_saveexec_b64 s[8:9], s[6:7]
	s_xor_b64 s[6:7], exec, s[8:9]
	s_cbranch_execz .LBB1_805
; %bb.10797:
	s_getpc_b64 s[14:15]
.Lpost_getpc1302:
	s_add_u32 s14, s14, (.LBB1_4901-.Lpost_getpc1302)&4294967295
	s_addc_u32 s15, s15, (.LBB1_4901-.Lpost_getpc1302)>>32
	s_setpc_b64 s[14:15]
.LBB1_805:
	s_or_saveexec_b64 s[6:7], s[6:7]
	v_mov_b32_e32 v16, s10
	s_xor_b64 exec, exec, s[6:7]
	s_cbranch_execz .LBB1_806
; %bb.10799:
	s_getpc_b64 s[14:15]
.Lpost_getpc1303:
	s_add_u32 s14, s14, (.LBB1_4904-.Lpost_getpc1303)&4294967295
	s_addc_u32 s15, s15, (.LBB1_4904-.Lpost_getpc1303)>>32
	s_setpc_b64 s[14:15]
.LBB1_806:
	s_or_b64 exec, exec, s[6:7]
	s_and_saveexec_b64 s[6:7], s[4:5]
	s_cbranch_execz .LBB1_808
.LBB1_807:
	v_and_b32_e32 v16, 3, v13
	v_ffbh_u32_e32 v22, v16
	v_min_u32_e32 v22, 32, v22
	v_lshrrev_b16_e32 v21, 2, v13
	v_subrev_u32_e32 v23, 29, v22
	v_and_b32_e32 v21, 31, v21
	v_lshlrev_b32_e32 v23, v23, v13
	v_sub_u32_e32 v22, 30, v22
	v_and_b32_e32 v23, 3, v23
	v_cmp_eq_u16_e32 vcc, 0, v21
	v_cndmask_b32_e32 v16, v16, v23, vcc
	v_cndmask_b32_e32 v21, v21, v22, vcc
	v_lshlrev_b32_e32 v22, 24, v13
	v_mov_b32_e32 v23, 0x37800000
	v_lshlrev_b32_e32 v16, 21, v16
	v_and_b32_e32 v22, 0x80000000, v22
	v_lshl_add_u32 v21, v21, 23, v23
	v_or3_b32 v16, v22, v21, v16
.LBB1_808:
	s_or_b64 exec, exec, s[6:7]
	s_nop 0
	v_mfma_f32_16x16x4f32 a[0:3], v12, v16, a[0:3]
	v_lshrrev_b32_e32 v16, 8, v17
	s_movk_i32 s4, 0x7f
	v_cmp_gt_i16_sdwa s[6:7], v16, s4 src0_sel:BYTE_0 src1_sel:DWORD
	s_mov_b64 s[4:5], 0
                                        ; implicit-def: $sgpr10
	s_and_saveexec_b64 s[8:9], s[6:7]
	s_xor_b64 s[6:7], exec, s[8:9]
	s_cbranch_execz .LBB1_809
; %bb.10801:
	s_getpc_b64 s[14:15]
.Lpost_getpc1304:
	s_add_u32 s14, s14, (.LBB1_4905-.Lpost_getpc1304)&4294967295
	s_addc_u32 s15, s15, (.LBB1_4905-.Lpost_getpc1304)>>32
	s_setpc_b64 s[14:15]
.LBB1_809:
	s_or_saveexec_b64 s[6:7], s[6:7]
	v_mov_b32_e32 v12, s10
	s_xor_b64 exec, exec, s[6:7]
	s_cbranch_execz .LBB1_810
; %bb.10803:
	s_getpc_b64 s[14:15]
.Lpost_getpc1305:
	s_add_u32 s14, s14, (.LBB1_4908-.Lpost_getpc1305)&4294967295
	s_addc_u32 s15, s15, (.LBB1_4908-.Lpost_getpc1305)>>32
	s_setpc_b64 s[14:15]
.LBB1_810:
	s_or_b64 exec, exec, s[6:7]
	s_and_saveexec_b64 s[6:7], s[4:5]
	s_cbranch_execz .LBB1_812
.LBB1_811:
	v_bfe_u32 v12, v17, 8, 3
	v_ffbh_u32_e32 v22, v12
	v_min_u32_e32 v22, 32, v22
	v_lshrrev_b16_e32 v21, 3, v16
	v_subrev_u32_e32 v23, 28, v22
	v_and_b32_e32 v21, 15, v21
	v_lshlrev_b32_e32 v16, v23, v16
	v_sub_u32_e32 v22, 29, v22
	v_and_b32_e32 v16, 7, v16
	v_cmp_eq_u16_e32 vcc, 0, v21
	v_cndmask_b32_e32 v12, v12, v16, vcc
	v_cndmask_b32_e32 v16, v21, v22, vcc
	v_lshlrev_b32_e32 v21, 16, v17
	v_mov_b32_e32 v22, 0x3b800000
	v_lshlrev_b32_e32 v12, 20, v12
	v_and_b32_e32 v21, 0x80000000, v21
	v_lshl_add_u32 v16, v16, 23, v22
	v_or3_b32 v12, v21, v16, v12
.LBB1_812:
	s_or_b64 exec, exec, s[6:7]
	v_lshrrev_b32_e32 v16, 8, v13
	s_movk_i32 s4, 0x7f
	v_cmp_gt_i16_sdwa s[6:7], v16, s4 src0_sel:BYTE_0 src1_sel:DWORD
	s_mov_b64 s[4:5], 0
                                        ; implicit-def: $sgpr10
	s_and_saveexec_b64 s[8:9], s[6:7]
	s_xor_b64 s[6:7], exec, s[8:9]
	s_cbranch_execz .LBB1_813
; %bb.10805:
	s_getpc_b64 s[14:15]
.Lpost_getpc1306:
	s_add_u32 s14, s14, (.LBB1_4909-.Lpost_getpc1306)&4294967295
	s_addc_u32 s15, s15, (.LBB1_4909-.Lpost_getpc1306)>>32
	s_setpc_b64 s[14:15]
.LBB1_813:
	s_or_saveexec_b64 s[6:7], s[6:7]
	v_mov_b32_e32 v21, s10
	s_xor_b64 exec, exec, s[6:7]
	s_cbranch_execz .LBB1_814
; %bb.10807:
	s_getpc_b64 s[14:15]
.Lpost_getpc1307:
	s_add_u32 s14, s14, (.LBB1_4912-.Lpost_getpc1307)&4294967295
	s_addc_u32 s15, s15, (.LBB1_4912-.Lpost_getpc1307)>>32
	s_setpc_b64 s[14:15]
.LBB1_814:
	s_or_b64 exec, exec, s[6:7]
	s_and_saveexec_b64 s[6:7], s[4:5]
	s_cbranch_execz .LBB1_816
.LBB1_815:
	v_bfe_u32 v21, v13, 8, 2
	v_ffbh_u32_e32 v23, v21
	v_min_u32_e32 v23, 32, v23
	v_lshrrev_b16_e32 v22, 2, v16
	v_subrev_u32_e32 v24, 29, v23
	v_and_b32_e32 v22, 31, v22
	v_lshlrev_b32_e32 v16, v24, v16
	v_sub_u32_e32 v23, 30, v23
	v_and_b32_e32 v16, 3, v16
	v_cmp_eq_u16_e32 vcc, 0, v22
	v_cndmask_b32_e32 v16, v21, v16, vcc
	v_cndmask_b32_e32 v21, v22, v23, vcc
	v_lshlrev_b32_e32 v22, 16, v13
	v_mov_b32_e32 v23, 0x37800000
	v_lshlrev_b32_e32 v16, 21, v16
	v_and_b32_e32 v22, 0x80000000, v22
	v_lshl_add_u32 v21, v21, 23, v23
	v_or3_b32 v21, v22, v21, v16
.LBB1_816:
	s_or_b64 exec, exec, s[6:7]
	s_nop 0
	v_mfma_f32_16x16x4f32 a[0:3], v12, v21, a[0:3]
	s_movk_i32 s4, 0xff
	v_and_b32_sdwa v16, v17, s4 dst_sel:DWORD dst_unused:UNUSED_PAD src0_sel:WORD_1 src1_sel:DWORD
	s_movk_i32 s4, 0x7f
	v_cmp_lt_i16_e32 vcc, s4, v16
	s_mov_b64 s[4:5], 0
                                        ; implicit-def: $sgpr10
	s_and_saveexec_b64 s[6:7], vcc
	s_xor_b64 s[6:7], exec, s[6:7]
	s_cbranch_execz .LBB1_817
; %bb.10809:
	s_getpc_b64 s[14:15]
.Lpost_getpc1308:
	s_add_u32 s14, s14, (.LBB1_4913-.Lpost_getpc1308)&4294967295
	s_addc_u32 s15, s15, (.LBB1_4913-.Lpost_getpc1308)>>32
	s_setpc_b64 s[14:15]
.LBB1_817:
	s_or_saveexec_b64 s[6:7], s[6:7]
	v_mov_b32_e32 v12, s10
	s_xor_b64 exec, exec, s[6:7]
	s_cbranch_execz .LBB1_818
; %bb.10811:
	s_getpc_b64 s[14:15]
.Lpost_getpc1309:
	s_add_u32 s14, s14, (.LBB1_4916-.Lpost_getpc1309)&4294967295
	s_addc_u32 s15, s15, (.LBB1_4916-.Lpost_getpc1309)>>32
	s_setpc_b64 s[14:15]
.LBB1_818:
	s_or_b64 exec, exec, s[6:7]
	s_and_saveexec_b64 s[6:7], s[4:5]
	s_cbranch_execz .LBB1_820
.LBB1_819:
	v_bfe_u32 v12, v17, 16, 3
	v_ffbh_u32_e32 v22, v12
	v_min_u32_e32 v22, 32, v22
	v_lshrrev_b32_e32 v16, 19, v17
	v_subrev_u32_e32 v23, 28, v22
	v_and_b32_e32 v16, 15, v16
	v_lshlrev_b32_sdwa v23, v23, v17 dst_sel:DWORD dst_unused:UNUSED_PAD src0_sel:DWORD src1_sel:WORD_1
	v_bfe_u32 v21, v17, 19, 4
	v_sub_u32_e32 v22, 29, v22
	v_and_b32_e32 v23, 7, v23
	v_cmp_eq_u16_e32 vcc, 0, v16
	v_cndmask_b32_e32 v12, v12, v23, vcc
	v_cndmask_b32_e32 v16, v21, v22, vcc
	v_lshlrev_b32_e32 v21, 8, v17
	v_mov_b32_e32 v22, 0x3b800000
	v_lshlrev_b32_e32 v12, 20, v12
	v_and_b32_e32 v21, 0x80000000, v21
	v_lshl_add_u32 v16, v16, 23, v22
	v_or3_b32 v12, v21, v16, v12
.LBB1_820:
	s_or_b64 exec, exec, s[6:7]
	s_movk_i32 s4, 0xff
	v_and_b32_sdwa v16, v13, s4 dst_sel:DWORD dst_unused:UNUSED_PAD src0_sel:WORD_1 src1_sel:DWORD
	s_movk_i32 s4, 0x7f
	v_cmp_lt_i16_e32 vcc, s4, v16
	s_mov_b64 s[4:5], 0
                                        ; implicit-def: $sgpr10
	s_and_saveexec_b64 s[6:7], vcc
	s_xor_b64 s[6:7], exec, s[6:7]
	s_cbranch_execz .LBB1_821
; %bb.10813:
	s_getpc_b64 s[14:15]
.Lpost_getpc1310:
	s_add_u32 s14, s14, (.LBB1_4917-.Lpost_getpc1310)&4294967295
	s_addc_u32 s15, s15, (.LBB1_4917-.Lpost_getpc1310)>>32
	s_setpc_b64 s[14:15]
.LBB1_821:
	s_or_saveexec_b64 s[6:7], s[6:7]
	v_mov_b32_e32 v21, s10
	s_xor_b64 exec, exec, s[6:7]
	s_cbranch_execz .LBB1_822
; %bb.10815:
	s_getpc_b64 s[14:15]
.Lpost_getpc1311:
	s_add_u32 s14, s14, (.LBB1_4920-.Lpost_getpc1311)&4294967295
	s_addc_u32 s15, s15, (.LBB1_4920-.Lpost_getpc1311)>>32
	s_setpc_b64 s[14:15]
.LBB1_822:
	s_or_b64 exec, exec, s[6:7]
	s_and_saveexec_b64 s[6:7], s[4:5]
	s_cbranch_execz .LBB1_824
.LBB1_823:
	v_bfe_u32 v16, v13, 16, 2
	v_ffbh_u32_e32 v23, v16
	v_min_u32_e32 v23, 32, v23
	v_lshrrev_b32_e32 v21, 18, v13
	v_subrev_u32_e32 v24, 29, v23
	v_and_b32_e32 v21, 31, v21
	v_lshlrev_b32_sdwa v24, v24, v13 dst_sel:DWORD dst_unused:UNUSED_PAD src0_sel:DWORD src1_sel:WORD_1
	v_bfe_u32 v22, v13, 18, 5
	v_sub_u32_e32 v23, 30, v23
	v_and_b32_e32 v24, 3, v24
	v_cmp_eq_u16_e32 vcc, 0, v21
	v_cndmask_b32_e32 v16, v16, v24, vcc
	v_cndmask_b32_e32 v21, v22, v23, vcc
	v_lshlrev_b32_e32 v22, 8, v13
	v_mov_b32_e32 v23, 0x37800000
	v_lshlrev_b32_e32 v16, 21, v16
	v_and_b32_e32 v22, 0x80000000, v22
	v_lshl_add_u32 v21, v21, 23, v23
	v_or3_b32 v21, v22, v21, v16
.LBB1_824:
	s_or_b64 exec, exec, s[6:7]
	s_nop 0
	v_mfma_f32_16x16x4f32 a[0:3], v12, v21, a[0:3]
	s_movk_i32 s4, 0x7f
	v_cmp_gt_i16_sdwa s[6:7], v17, s4 src0_sel:BYTE_3 src1_sel:DWORD
	s_mov_b64 s[4:5], 0
                                        ; implicit-def: $sgpr10
	s_and_saveexec_b64 s[8:9], s[6:7]
	s_xor_b64 s[6:7], exec, s[8:9]
	s_cbranch_execz .LBB1_825
; %bb.10817:
	s_getpc_b64 s[14:15]
.Lpost_getpc1312:
	s_add_u32 s14, s14, (.LBB1_4921-.Lpost_getpc1312)&4294967295
	s_addc_u32 s15, s15, (.LBB1_4921-.Lpost_getpc1312)>>32
	s_setpc_b64 s[14:15]
.LBB1_825:
	s_or_saveexec_b64 s[6:7], s[6:7]
	v_mov_b32_e32 v12, s10
	s_xor_b64 exec, exec, s[6:7]
	s_cbranch_execz .LBB1_826
; %bb.10819:
	s_getpc_b64 s[14:15]
.Lpost_getpc1313:
	s_add_u32 s14, s14, (.LBB1_4924-.Lpost_getpc1313)&4294967295
	s_addc_u32 s15, s15, (.LBB1_4924-.Lpost_getpc1313)>>32
	s_setpc_b64 s[14:15]
.LBB1_826:
	s_or_b64 exec, exec, s[6:7]
	s_and_saveexec_b64 s[6:7], s[4:5]
	s_cbranch_execz .LBB1_828
.LBB1_827:
	v_bfe_u32 v12, v17, 24, 3
	v_ffbh_u32_e32 v23, v12
	v_min_u32_e32 v23, 32, v23
	v_lshrrev_b32_e32 v21, 27, v17
	v_subrev_u32_e32 v24, 28, v23
	v_and_b32_e32 v16, 0x80000000, v17
	v_and_b32_e32 v21, 15, v21
	v_bfe_u32 v22, v17, 27, 4
	v_lshlrev_b32_sdwa v17, v24, v17 dst_sel:DWORD dst_unused:UNUSED_PAD src0_sel:DWORD src1_sel:BYTE_3
	v_sub_u32_e32 v23, 29, v23
	v_and_b32_e32 v17, 7, v17
	v_cmp_eq_u16_e32 vcc, 0, v21
	v_cndmask_b32_e32 v12, v12, v17, vcc
	v_cndmask_b32_e32 v17, v22, v23, vcc
	v_mov_b32_e32 v21, 0x3b800000
	v_lshlrev_b32_e32 v12, 20, v12
	v_lshl_add_u32 v17, v17, 23, v21
	v_or3_b32 v12, v16, v17, v12
.LBB1_828:
	s_or_b64 exec, exec, s[6:7]
	s_movk_i32 s4, 0x7f
	v_cmp_gt_i16_sdwa s[6:7], v13, s4 src0_sel:BYTE_3 src1_sel:DWORD
	s_mov_b64 s[4:5], 0
                                        ; implicit-def: $sgpr10
	s_and_saveexec_b64 s[8:9], s[6:7]
	s_xor_b64 s[6:7], exec, s[8:9]
	s_cbranch_execz .LBB1_829
; %bb.10821:
	s_getpc_b64 s[14:15]
.Lpost_getpc1314:
	s_add_u32 s14, s14, (.LBB1_4925-.Lpost_getpc1314)&4294967295
	s_addc_u32 s15, s15, (.LBB1_4925-.Lpost_getpc1314)>>32
	s_setpc_b64 s[14:15]
.LBB1_829:
	s_or_saveexec_b64 s[6:7], s[6:7]
	v_mov_b32_e32 v16, s10
	s_xor_b64 exec, exec, s[6:7]
	s_cbranch_execz .LBB1_830
; %bb.10823:
	s_getpc_b64 s[14:15]
.Lpost_getpc1315:
	s_add_u32 s14, s14, (.LBB1_4928-.Lpost_getpc1315)&4294967295
	s_addc_u32 s15, s15, (.LBB1_4928-.Lpost_getpc1315)>>32
	s_setpc_b64 s[14:15]
.LBB1_830:
	s_or_b64 exec, exec, s[6:7]
	s_and_saveexec_b64 s[6:7], s[4:5]
	s_cbranch_execz .LBB1_832
.LBB1_831:
	v_bfe_u32 v16, v13, 24, 2
	v_ffbh_u32_e32 v23, v16
	v_min_u32_e32 v23, 32, v23
	v_lshrrev_b32_e32 v21, 26, v13
	v_subrev_u32_e32 v24, 29, v23
	v_and_b32_e32 v17, 0x80000000, v13
	v_and_b32_e32 v21, 31, v21
	v_bfe_u32 v22, v13, 26, 5
	v_lshlrev_b32_sdwa v13, v24, v13 dst_sel:DWORD dst_unused:UNUSED_PAD src0_sel:DWORD src1_sel:BYTE_3
	v_sub_u32_e32 v23, 30, v23
	v_and_b32_e32 v13, 3, v13
	v_cmp_eq_u16_e32 vcc, 0, v21
	v_cndmask_b32_e32 v13, v16, v13, vcc
	v_cndmask_b32_e32 v16, v22, v23, vcc
	v_mov_b32_e32 v21, 0x37800000
	v_lshlrev_b32_e32 v13, 21, v13
	v_lshl_add_u32 v16, v16, 23, v21
	v_or3_b32 v16, v17, v16, v13
.LBB1_832:
	s_or_b64 exec, exec, s[6:7]
	s_nop 0
	v_mfma_f32_16x16x4f32 a[0:3], v12, v16, a[0:3]
	s_movk_i32 s4, 0x7f
	v_cmp_gt_i16_sdwa s[6:7], v18, s4 src0_sel:BYTE_0 src1_sel:DWORD
	s_mov_b64 s[4:5], 0
                                        ; implicit-def: $sgpr10
	s_and_saveexec_b64 s[8:9], s[6:7]
	s_xor_b64 s[6:7], exec, s[8:9]
	s_cbranch_execz .LBB1_833
; %bb.10825:
	s_getpc_b64 s[14:15]
.Lpost_getpc1316:
	s_add_u32 s14, s14, (.LBB1_4929-.Lpost_getpc1316)&4294967295
	s_addc_u32 s15, s15, (.LBB1_4929-.Lpost_getpc1316)>>32
	s_setpc_b64 s[14:15]
.LBB1_833:
	s_or_saveexec_b64 s[6:7], s[6:7]
	v_mov_b32_e32 v13, s10
	s_xor_b64 exec, exec, s[6:7]
	s_cbranch_execz .LBB1_834
; %bb.10827:
	s_getpc_b64 s[14:15]
.Lpost_getpc1317:
	s_add_u32 s14, s14, (.LBB1_4932-.Lpost_getpc1317)&4294967295
	s_addc_u32 s15, s15, (.LBB1_4932-.Lpost_getpc1317)>>32
	s_setpc_b64 s[14:15]
.LBB1_834:
	s_or_b64 exec, exec, s[6:7]
	s_and_saveexec_b64 s[6:7], s[4:5]
	s_cbranch_execz .LBB1_836
.LBB1_835:
	v_and_b32_e32 v12, 7, v18
	v_ffbh_u32_e32 v16, v12
	v_min_u32_e32 v16, 32, v16
	v_lshrrev_b16_e32 v13, 3, v18
	v_subrev_u32_e32 v17, 28, v16
	v_and_b32_e32 v13, 15, v13
	v_lshlrev_b32_e32 v17, v17, v18
	v_sub_u32_e32 v16, 29, v16
	v_and_b32_e32 v17, 7, v17
	v_cmp_eq_u16_e32 vcc, 0, v13
	v_cndmask_b32_e32 v12, v12, v17, vcc
	v_cndmask_b32_e32 v13, v13, v16, vcc
	v_lshlrev_b32_e32 v16, 24, v18
	v_mov_b32_e32 v17, 0x3b800000
	v_lshlrev_b32_e32 v12, 20, v12
	v_and_b32_e32 v16, 0x80000000, v16
	v_lshl_add_u32 v13, v13, 23, v17
	v_or3_b32 v13, v16, v13, v12
.LBB1_836:
	s_or_b64 exec, exec, s[6:7]
	s_movk_i32 s4, 0xff
	v_mov_b32_e32 v12, 8
	v_or_b32_sdwa v16, v14, v20 dst_sel:DWORD dst_unused:UNUSED_PAD src0_sel:BYTE_0 src1_sel:DWORD
	v_lshlrev_b16_sdwa v12, v12, v14 dst_sel:DWORD dst_unused:UNUSED_PAD src0_sel:DWORD src1_sel:BYTE_3
	v_and_b32_sdwa v14, v14, s4 dst_sel:DWORD dst_unused:UNUSED_PAD src0_sel:WORD_1 src1_sel:DWORD
	s_movk_i32 s4, 0x7f
	v_or_b32_sdwa v12, v14, v12 dst_sel:WORD_1 dst_unused:UNUSED_PAD src0_sel:DWORD src1_sel:DWORD
	v_cmp_gt_i16_sdwa s[6:7], v16, s4 src0_sel:BYTE_0 src1_sel:DWORD
	s_mov_b64 s[4:5], 0
                                        ; implicit-def: $sgpr10
	s_and_saveexec_b64 s[8:9], s[6:7]
	s_xor_b64 s[6:7], exec, s[8:9]
	s_cbranch_execz .LBB1_837
; %bb.10829:
	s_getpc_b64 s[14:15]
.Lpost_getpc1318:
	s_add_u32 s14, s14, (.LBB1_4933-.Lpost_getpc1318)&4294967295
	s_addc_u32 s15, s15, (.LBB1_4933-.Lpost_getpc1318)>>32
	s_setpc_b64 s[14:15]
.LBB1_837:
	s_or_saveexec_b64 s[6:7], s[6:7]
	v_mov_b32_e32 v14, s10
	s_xor_b64 exec, exec, s[6:7]
	s_cbranch_execz .LBB1_838
; %bb.10831:
	s_getpc_b64 s[14:15]
.Lpost_getpc1319:
	s_add_u32 s14, s14, (.LBB1_4936-.Lpost_getpc1319)&4294967295
	s_addc_u32 s15, s15, (.LBB1_4936-.Lpost_getpc1319)>>32
	s_setpc_b64 s[14:15]
.LBB1_838:
	s_or_b64 exec, exec, s[6:7]
	v_or_b32_sdwa v12, v16, v12 dst_sel:DWORD dst_unused:UNUSED_PAD src0_sel:WORD_0 src1_sel:DWORD
	s_and_saveexec_b64 s[6:7], s[4:5]
	s_cbranch_execz .LBB1_840
.LBB1_839:
	v_and_b32_e32 v14, 3, v12
	v_ffbh_u32_e32 v17, v14
	v_min_u32_e32 v17, 32, v17
	v_lshrrev_b16_e32 v16, 2, v16
	v_subrev_u32_e32 v20, 29, v17
	v_and_b32_e32 v16, 31, v16
	v_lshlrev_b32_e32 v20, v20, v12
	v_sub_u32_e32 v17, 30, v17
	v_and_b32_e32 v20, 3, v20
	v_cmp_eq_u16_e32 vcc, 0, v16
	v_cndmask_b32_e32 v14, v14, v20, vcc
	v_cndmask_b32_e32 v16, v16, v17, vcc
	v_lshlrev_b32_e32 v17, 24, v12
	v_mov_b32_e32 v20, 0x37800000
	v_lshlrev_b32_e32 v14, 21, v14
	v_and_b32_e32 v17, 0x80000000, v17
	v_lshl_add_u32 v16, v16, 23, v20
	v_or3_b32 v14, v17, v16, v14
.LBB1_840:
	s_or_b64 exec, exec, s[6:7]
	s_nop 0
	v_mfma_f32_16x16x4f32 a[0:3], v13, v14, a[0:3]
	v_lshrrev_b32_e32 v14, 8, v18
	s_movk_i32 s4, 0x7f
	v_cmp_gt_i16_sdwa s[6:7], v14, s4 src0_sel:BYTE_0 src1_sel:DWORD
	s_mov_b64 s[4:5], 0
                                        ; implicit-def: $sgpr10
	s_and_saveexec_b64 s[8:9], s[6:7]
	s_xor_b64 s[6:7], exec, s[8:9]
	s_cbranch_execz .LBB1_841
; %bb.10833:
	s_getpc_b64 s[14:15]
.Lpost_getpc1320:
	s_add_u32 s14, s14, (.LBB1_4937-.Lpost_getpc1320)&4294967295
	s_addc_u32 s15, s15, (.LBB1_4937-.Lpost_getpc1320)>>32
	s_setpc_b64 s[14:15]
.LBB1_841:
	s_or_saveexec_b64 s[6:7], s[6:7]
	v_mov_b32_e32 v13, s10
	s_xor_b64 exec, exec, s[6:7]
	s_cbranch_execz .LBB1_842
; %bb.10835:
	s_getpc_b64 s[14:15]
.Lpost_getpc1321:
	s_add_u32 s14, s14, (.LBB1_4940-.Lpost_getpc1321)&4294967295
	s_addc_u32 s15, s15, (.LBB1_4940-.Lpost_getpc1321)>>32
	s_setpc_b64 s[14:15]
.LBB1_842:
	s_or_b64 exec, exec, s[6:7]
	s_and_saveexec_b64 s[6:7], s[4:5]
	s_cbranch_execz .LBB1_844
.LBB1_843:
	v_bfe_u32 v13, v18, 8, 3
	v_ffbh_u32_e32 v17, v13
	v_min_u32_e32 v17, 32, v17
	v_lshrrev_b16_e32 v16, 3, v14
	v_subrev_u32_e32 v20, 28, v17
	v_and_b32_e32 v16, 15, v16
	v_lshlrev_b32_e32 v14, v20, v14
	v_sub_u32_e32 v17, 29, v17
	v_and_b32_e32 v14, 7, v14
	v_cmp_eq_u16_e32 vcc, 0, v16
	v_cndmask_b32_e32 v13, v13, v14, vcc
	v_cndmask_b32_e32 v14, v16, v17, vcc
	v_lshlrev_b32_e32 v16, 16, v18
	v_mov_b32_e32 v17, 0x3b800000
	v_lshlrev_b32_e32 v13, 20, v13
	v_and_b32_e32 v16, 0x80000000, v16
	v_lshl_add_u32 v14, v14, 23, v17
	v_or3_b32 v13, v16, v14, v13
.LBB1_844:
	s_or_b64 exec, exec, s[6:7]
	v_lshrrev_b32_e32 v14, 8, v12
	s_movk_i32 s4, 0x7f
	v_cmp_gt_i16_sdwa s[6:7], v14, s4 src0_sel:BYTE_0 src1_sel:DWORD
	s_mov_b64 s[4:5], 0
                                        ; implicit-def: $sgpr10
	s_and_saveexec_b64 s[8:9], s[6:7]
	s_xor_b64 s[6:7], exec, s[8:9]
	s_cbranch_execz .LBB1_845
; %bb.10837:
	s_getpc_b64 s[14:15]
.Lpost_getpc1322:
	s_add_u32 s14, s14, (.LBB1_4941-.Lpost_getpc1322)&4294967295
	s_addc_u32 s15, s15, (.LBB1_4941-.Lpost_getpc1322)>>32
	s_setpc_b64 s[14:15]
.LBB1_845:
	s_or_saveexec_b64 s[6:7], s[6:7]
	v_mov_b32_e32 v16, s10
	s_xor_b64 exec, exec, s[6:7]
	s_cbranch_execz .LBB1_846
; %bb.10839:
	s_getpc_b64 s[14:15]
.Lpost_getpc1323:
	s_add_u32 s14, s14, (.LBB1_4944-.Lpost_getpc1323)&4294967295
	s_addc_u32 s15, s15, (.LBB1_4944-.Lpost_getpc1323)>>32
	s_setpc_b64 s[14:15]
.LBB1_846:
	s_or_b64 exec, exec, s[6:7]
	s_and_saveexec_b64 s[6:7], s[4:5]
	s_cbranch_execz .LBB1_848
.LBB1_847:
	v_bfe_u32 v16, v12, 8, 2
	v_ffbh_u32_e32 v20, v16
	v_min_u32_e32 v20, 32, v20
	v_lshrrev_b16_e32 v17, 2, v14
	v_subrev_u32_e32 v21, 29, v20
	v_and_b32_e32 v17, 31, v17
	v_lshlrev_b32_e32 v14, v21, v14
	v_sub_u32_e32 v20, 30, v20
	v_and_b32_e32 v14, 3, v14
	v_cmp_eq_u16_e32 vcc, 0, v17
	v_cndmask_b32_e32 v14, v16, v14, vcc
	v_cndmask_b32_e32 v16, v17, v20, vcc
	v_lshlrev_b32_e32 v17, 16, v12
	v_mov_b32_e32 v20, 0x37800000
	v_lshlrev_b32_e32 v14, 21, v14
	v_and_b32_e32 v17, 0x80000000, v17
	v_lshl_add_u32 v16, v16, 23, v20
	v_or3_b32 v16, v17, v16, v14
.LBB1_848:
	s_or_b64 exec, exec, s[6:7]
	s_nop 0
	v_mfma_f32_16x16x4f32 a[0:3], v13, v16, a[0:3]
	s_movk_i32 s4, 0xff
	v_and_b32_sdwa v14, v18, s4 dst_sel:DWORD dst_unused:UNUSED_PAD src0_sel:WORD_1 src1_sel:DWORD
	s_movk_i32 s4, 0x7f
	v_cmp_lt_i16_e32 vcc, s4, v14
	s_mov_b64 s[4:5], 0
                                        ; implicit-def: $sgpr10
	s_and_saveexec_b64 s[6:7], vcc
	s_xor_b64 s[6:7], exec, s[6:7]
	s_cbranch_execz .LBB1_849
; %bb.10841:
	s_getpc_b64 s[14:15]
.Lpost_getpc1324:
	s_add_u32 s14, s14, (.LBB1_4945-.Lpost_getpc1324)&4294967295
	s_addc_u32 s15, s15, (.LBB1_4945-.Lpost_getpc1324)>>32
	s_setpc_b64 s[14:15]
.LBB1_849:
	s_or_saveexec_b64 s[6:7], s[6:7]
	v_mov_b32_e32 v13, s10
	s_xor_b64 exec, exec, s[6:7]
	s_cbranch_execz .LBB1_850
; %bb.10843:
	s_getpc_b64 s[14:15]
.Lpost_getpc1325:
	s_add_u32 s14, s14, (.LBB1_4948-.Lpost_getpc1325)&4294967295
	s_addc_u32 s15, s15, (.LBB1_4948-.Lpost_getpc1325)>>32
	s_setpc_b64 s[14:15]
.LBB1_850:
	s_or_b64 exec, exec, s[6:7]
	s_and_saveexec_b64 s[6:7], s[4:5]
	s_cbranch_execz .LBB1_852
.LBB1_851:
	v_bfe_u32 v13, v18, 16, 3
	v_ffbh_u32_e32 v17, v13
	v_min_u32_e32 v17, 32, v17
	v_lshrrev_b32_e32 v14, 19, v18
	v_subrev_u32_e32 v20, 28, v17
	v_and_b32_e32 v14, 15, v14
	v_lshlrev_b32_sdwa v20, v20, v18 dst_sel:DWORD dst_unused:UNUSED_PAD src0_sel:DWORD src1_sel:WORD_1
	v_bfe_u32 v16, v18, 19, 4
	v_sub_u32_e32 v17, 29, v17
	v_and_b32_e32 v20, 7, v20
	v_cmp_eq_u16_e32 vcc, 0, v14
	v_cndmask_b32_e32 v13, v13, v20, vcc
	v_cndmask_b32_e32 v14, v16, v17, vcc
	v_lshlrev_b32_e32 v16, 8, v18
	v_mov_b32_e32 v17, 0x3b800000
	v_lshlrev_b32_e32 v13, 20, v13
	v_and_b32_e32 v16, 0x80000000, v16
	v_lshl_add_u32 v14, v14, 23, v17
	v_or3_b32 v13, v16, v14, v13
.LBB1_852:
	s_or_b64 exec, exec, s[6:7]
	s_movk_i32 s4, 0xff
	v_and_b32_sdwa v14, v12, s4 dst_sel:DWORD dst_unused:UNUSED_PAD src0_sel:WORD_1 src1_sel:DWORD
	s_movk_i32 s4, 0x7f
	v_cmp_lt_i16_e32 vcc, s4, v14
	s_mov_b64 s[4:5], 0
                                        ; implicit-def: $sgpr10
	s_and_saveexec_b64 s[6:7], vcc
	s_xor_b64 s[6:7], exec, s[6:7]
	s_cbranch_execz .LBB1_853
; %bb.10845:
	s_getpc_b64 s[14:15]
.Lpost_getpc1326:
	s_add_u32 s14, s14, (.LBB1_4949-.Lpost_getpc1326)&4294967295
	s_addc_u32 s15, s15, (.LBB1_4949-.Lpost_getpc1326)>>32
	s_setpc_b64 s[14:15]
.LBB1_853:
	s_or_saveexec_b64 s[6:7], s[6:7]
	v_mov_b32_e32 v16, s10
	s_xor_b64 exec, exec, s[6:7]
	s_cbranch_execz .LBB1_854
; %bb.10847:
	s_getpc_b64 s[14:15]
.Lpost_getpc1327:
	s_add_u32 s14, s14, (.LBB1_4952-.Lpost_getpc1327)&4294967295
	s_addc_u32 s15, s15, (.LBB1_4952-.Lpost_getpc1327)>>32
	s_setpc_b64 s[14:15]
.LBB1_854:
	s_or_b64 exec, exec, s[6:7]
	s_and_saveexec_b64 s[6:7], s[4:5]
	s_cbranch_execz .LBB1_856
.LBB1_855:
	v_bfe_u32 v14, v12, 16, 2
	v_ffbh_u32_e32 v20, v14
	v_min_u32_e32 v20, 32, v20
	v_lshrrev_b32_e32 v16, 18, v12
	v_subrev_u32_e32 v21, 29, v20
	v_and_b32_e32 v16, 31, v16
	v_lshlrev_b32_sdwa v21, v21, v12 dst_sel:DWORD dst_unused:UNUSED_PAD src0_sel:DWORD src1_sel:WORD_1
	v_bfe_u32 v17, v12, 18, 5
	v_sub_u32_e32 v20, 30, v20
	v_and_b32_e32 v21, 3, v21
	v_cmp_eq_u16_e32 vcc, 0, v16
	v_cndmask_b32_e32 v14, v14, v21, vcc
	v_cndmask_b32_e32 v16, v17, v20, vcc
	v_lshlrev_b32_e32 v17, 8, v12
	v_mov_b32_e32 v20, 0x37800000
	v_lshlrev_b32_e32 v14, 21, v14
	v_and_b32_e32 v17, 0x80000000, v17
	v_lshl_add_u32 v16, v16, 23, v20
	v_or3_b32 v16, v17, v16, v14
.LBB1_856:
	s_or_b64 exec, exec, s[6:7]
	s_nop 0
	v_mfma_f32_16x16x4f32 a[0:3], v13, v16, a[0:3]
	s_movk_i32 s4, 0x7f
	v_cmp_gt_i16_sdwa s[6:7], v18, s4 src0_sel:BYTE_3 src1_sel:DWORD
	s_mov_b64 s[4:5], 0
                                        ; implicit-def: $sgpr10
	s_and_saveexec_b64 s[8:9], s[6:7]
	s_xor_b64 s[6:7], exec, s[8:9]
	s_cbranch_execz .LBB1_857
; %bb.10849:
	s_getpc_b64 s[14:15]
.Lpost_getpc1328:
	s_add_u32 s14, s14, (.LBB1_4953-.Lpost_getpc1328)&4294967295
	s_addc_u32 s15, s15, (.LBB1_4953-.Lpost_getpc1328)>>32
	s_setpc_b64 s[14:15]
.LBB1_857:
	s_or_saveexec_b64 s[6:7], s[6:7]
	v_mov_b32_e32 v13, s10
	s_xor_b64 exec, exec, s[6:7]
	s_cbranch_execz .LBB1_858
; %bb.10851:
	s_getpc_b64 s[14:15]
.Lpost_getpc1329:
	s_add_u32 s14, s14, (.LBB1_4956-.Lpost_getpc1329)&4294967295
	s_addc_u32 s15, s15, (.LBB1_4956-.Lpost_getpc1329)>>32
	s_setpc_b64 s[14:15]
.LBB1_858:
	s_or_b64 exec, exec, s[6:7]
	s_and_saveexec_b64 s[6:7], s[4:5]
	s_cbranch_execz .LBB1_860
.LBB1_859:
	v_bfe_u32 v13, v18, 24, 3
	v_ffbh_u32_e32 v20, v13
	v_min_u32_e32 v20, 32, v20
	v_lshrrev_b32_e32 v16, 27, v18
	v_subrev_u32_e32 v21, 28, v20
	v_and_b32_e32 v14, 0x80000000, v18
	v_and_b32_e32 v16, 15, v16
	v_bfe_u32 v17, v18, 27, 4
	v_lshlrev_b32_sdwa v18, v21, v18 dst_sel:DWORD dst_unused:UNUSED_PAD src0_sel:DWORD src1_sel:BYTE_3
	v_sub_u32_e32 v20, 29, v20
	v_and_b32_e32 v18, 7, v18
	v_cmp_eq_u16_e32 vcc, 0, v16
	v_cndmask_b32_e32 v13, v13, v18, vcc
	v_cndmask_b32_e32 v16, v17, v20, vcc
	v_mov_b32_e32 v17, 0x3b800000
	v_lshlrev_b32_e32 v13, 20, v13
	v_lshl_add_u32 v16, v16, 23, v17
	v_or3_b32 v13, v14, v16, v13
.LBB1_860:
	s_or_b64 exec, exec, s[6:7]
	s_movk_i32 s4, 0x7f
	v_cmp_gt_i16_sdwa s[6:7], v12, s4 src0_sel:BYTE_3 src1_sel:DWORD
	s_mov_b64 s[4:5], 0
                                        ; implicit-def: $sgpr10
	s_and_saveexec_b64 s[8:9], s[6:7]
	s_xor_b64 s[6:7], exec, s[8:9]
	s_cbranch_execz .LBB1_861
; %bb.10853:
	s_getpc_b64 s[14:15]
.Lpost_getpc1330:
	s_add_u32 s14, s14, (.LBB1_4957-.Lpost_getpc1330)&4294967295
	s_addc_u32 s15, s15, (.LBB1_4957-.Lpost_getpc1330)>>32
	s_setpc_b64 s[14:15]
.LBB1_861:
	s_or_saveexec_b64 s[6:7], s[6:7]
	v_mov_b32_e32 v14, s10
	s_xor_b64 exec, exec, s[6:7]
	s_cbranch_execz .LBB1_862
; %bb.10855:
	s_getpc_b64 s[14:15]
.Lpost_getpc1331:
	s_add_u32 s14, s14, (.LBB1_4960-.Lpost_getpc1331)&4294967295
	s_addc_u32 s15, s15, (.LBB1_4960-.Lpost_getpc1331)>>32
	s_setpc_b64 s[14:15]
.LBB1_862:
	s_or_b64 exec, exec, s[6:7]
	s_and_saveexec_b64 s[6:7], s[4:5]
	s_cbranch_execz .LBB1_864
.LBB1_863:
	v_bfe_u32 v14, v12, 24, 2
	v_ffbh_u32_e32 v20, v14
	v_min_u32_e32 v20, 32, v20
	v_lshrrev_b32_e32 v17, 26, v12
	v_subrev_u32_e32 v21, 29, v20
	v_and_b32_e32 v16, 0x80000000, v12
	v_and_b32_e32 v17, 31, v17
	v_bfe_u32 v18, v12, 26, 5
	v_lshlrev_b32_sdwa v12, v21, v12 dst_sel:DWORD dst_unused:UNUSED_PAD src0_sel:DWORD src1_sel:BYTE_3
	v_sub_u32_e32 v20, 30, v20
	v_and_b32_e32 v12, 3, v12
	v_cmp_eq_u16_e32 vcc, 0, v17
	v_cndmask_b32_e32 v12, v14, v12, vcc
	v_cndmask_b32_e32 v14, v18, v20, vcc
	v_mov_b32_e32 v17, 0x37800000
	v_lshlrev_b32_e32 v12, 21, v12
	v_lshl_add_u32 v14, v14, 23, v17
	v_or3_b32 v14, v16, v14, v12
.LBB1_864:
	s_or_b64 exec, exec, s[6:7]
	s_nop 0
	v_mfma_f32_16x16x4f32 a[0:3], v13, v14, a[0:3]
	s_movk_i32 s4, 0x7f
	v_cmp_gt_i16_sdwa s[6:7], v19, s4 src0_sel:BYTE_0 src1_sel:DWORD
	s_mov_b64 s[4:5], 0
                                        ; implicit-def: $sgpr10
	s_and_saveexec_b64 s[8:9], s[6:7]
	s_xor_b64 s[6:7], exec, s[8:9]
	s_cbranch_execz .LBB1_865
; %bb.10857:
	s_getpc_b64 s[14:15]
.Lpost_getpc1332:
	s_add_u32 s14, s14, (.LBB1_4961-.Lpost_getpc1332)&4294967295
	s_addc_u32 s15, s15, (.LBB1_4961-.Lpost_getpc1332)>>32
	s_setpc_b64 s[14:15]
.LBB1_865:
	s_or_saveexec_b64 s[6:7], s[6:7]
	v_mov_b32_e32 v12, s10
	s_xor_b64 exec, exec, s[6:7]
	s_cbranch_execz .LBB1_866
; %bb.10859:
	s_getpc_b64 s[14:15]
.Lpost_getpc1333:
	s_add_u32 s14, s14, (.LBB1_4964-.Lpost_getpc1333)&4294967295
	s_addc_u32 s15, s15, (.LBB1_4964-.Lpost_getpc1333)>>32
	s_setpc_b64 s[14:15]
.LBB1_866:
	s_or_b64 exec, exec, s[6:7]
	s_and_saveexec_b64 s[6:7], s[4:5]
	s_cbranch_execz .LBB1_868
.LBB1_867:
	v_mov_b32_e32 v12, 8
	v_and_b32_e32 v13, 7, v19
	v_lshrrev_b32_sdwa v12, v12, v19 dst_sel:BYTE_1 dst_unused:UNUSED_PAD src0_sel:DWORD src1_sel:DWORD
	v_ffbh_u32_e32 v14, v13
	v_or_b32_sdwa v12, v19, v12 dst_sel:DWORD dst_unused:UNUSED_PAD src0_sel:BYTE_0 src1_sel:DWORD
	v_min_u32_e32 v14, 32, v14
	v_lshrrev_b16_e32 v12, 3, v12
	v_subrev_u32_e32 v16, 28, v14
	v_and_b32_e32 v12, 15, v12
	v_lshlrev_b32_e32 v16, v16, v19
	v_sub_u32_e32 v14, 29, v14
	v_and_b32_e32 v16, 7, v16
	v_cmp_eq_u16_e32 vcc, 0, v12
	v_cndmask_b32_e32 v13, v13, v16, vcc
	v_cndmask_b32_e32 v12, v12, v14, vcc
	v_lshlrev_b32_e32 v14, 24, v19
	v_mov_b32_e32 v16, 0x3b800000
	v_lshlrev_b32_e32 v13, 20, v13
	v_and_b32_e32 v14, 0x80000000, v14
	v_lshl_add_u32 v12, v12, 23, v16
	v_or3_b32 v12, v14, v12, v13
.LBB1_868:
	s_or_b64 exec, exec, s[6:7]
	s_movk_i32 s4, 0x7f
	v_cmp_gt_i16_sdwa s[6:7], v15, s4 src0_sel:BYTE_0 src1_sel:DWORD
	s_mov_b64 s[4:5], 0
                                        ; implicit-def: $sgpr10
	s_and_saveexec_b64 s[8:9], s[6:7]
	s_xor_b64 s[6:7], exec, s[8:9]
	s_cbranch_execz .LBB1_869
; %bb.10861:
	s_getpc_b64 s[14:15]
.Lpost_getpc1334:
	s_add_u32 s14, s14, (.LBB1_4965-.Lpost_getpc1334)&4294967295
	s_addc_u32 s15, s15, (.LBB1_4965-.Lpost_getpc1334)>>32
	s_setpc_b64 s[14:15]
.LBB1_869:
	s_or_saveexec_b64 s[6:7], s[6:7]
	v_mov_b32_e32 v13, s10
	s_xor_b64 exec, exec, s[6:7]
	s_cbranch_execz .LBB1_870
; %bb.10863:
	s_getpc_b64 s[14:15]
.Lpost_getpc1335:
	s_add_u32 s14, s14, (.LBB1_4968-.Lpost_getpc1335)&4294967295
	s_addc_u32 s15, s15, (.LBB1_4968-.Lpost_getpc1335)>>32
	s_setpc_b64 s[14:15]
.LBB1_870:
	s_or_b64 exec, exec, s[6:7]
	s_and_saveexec_b64 s[6:7], s[4:5]
	s_cbranch_execz .LBB1_872
.LBB1_871:
	v_and_b32_e32 v13, 3, v15
	v_ffbh_u32_e32 v16, v13
	v_min_u32_e32 v16, 32, v16
	v_lshrrev_b16_e32 v14, 2, v15
	v_subrev_u32_e32 v17, 29, v16
	v_and_b32_e32 v14, 31, v14
	v_lshlrev_b32_e32 v17, v17, v15
	v_sub_u32_e32 v16, 30, v16
	v_and_b32_e32 v17, 3, v17
	v_cmp_eq_u16_e32 vcc, 0, v14
	v_cndmask_b32_e32 v13, v13, v17, vcc
	v_cndmask_b32_e32 v14, v14, v16, vcc
	v_lshlrev_b32_e32 v16, 24, v15
	v_mov_b32_e32 v17, 0x37800000
	v_lshlrev_b32_e32 v13, 21, v13
	v_and_b32_e32 v16, 0x80000000, v16
	v_lshl_add_u32 v14, v14, 23, v17
	v_or3_b32 v13, v16, v14, v13
.LBB1_872:
	s_or_b64 exec, exec, s[6:7]
	s_nop 0
	v_mfma_f32_16x16x4f32 a[0:3], v12, v13, a[0:3]
	v_lshrrev_b32_e32 v13, 8, v19
	s_movk_i32 s4, 0x7f
	v_cmp_gt_i16_sdwa s[6:7], v13, s4 src0_sel:BYTE_0 src1_sel:DWORD
	s_mov_b64 s[4:5], 0
                                        ; implicit-def: $sgpr10
	s_and_saveexec_b64 s[8:9], s[6:7]
	s_xor_b64 s[6:7], exec, s[8:9]
	s_cbranch_execz .LBB1_873
; %bb.10865:
	s_getpc_b64 s[14:15]
.Lpost_getpc1336:
	s_add_u32 s14, s14, (.LBB1_4969-.Lpost_getpc1336)&4294967295
	s_addc_u32 s15, s15, (.LBB1_4969-.Lpost_getpc1336)>>32
	s_setpc_b64 s[14:15]
.LBB1_873:
	s_or_saveexec_b64 s[6:7], s[6:7]
	v_mov_b32_e32 v12, s10
	s_xor_b64 exec, exec, s[6:7]
	s_cbranch_execz .LBB1_874
; %bb.10867:
	s_getpc_b64 s[14:15]
.Lpost_getpc1337:
	s_add_u32 s14, s14, (.LBB1_4972-.Lpost_getpc1337)&4294967295
	s_addc_u32 s15, s15, (.LBB1_4972-.Lpost_getpc1337)>>32
	s_setpc_b64 s[14:15]
.LBB1_874:
	s_or_b64 exec, exec, s[6:7]
	s_and_saveexec_b64 s[6:7], s[4:5]
	s_cbranch_execz .LBB1_876
.LBB1_875:
	v_bfe_u32 v12, v19, 8, 3
	v_ffbh_u32_e32 v16, v12
	v_min_u32_e32 v16, 32, v16
	v_lshrrev_b16_e32 v14, 3, v13
	v_subrev_u32_e32 v17, 28, v16
	v_and_b32_e32 v14, 15, v14
	v_lshlrev_b32_e32 v13, v17, v13
	v_sub_u32_e32 v16, 29, v16
	v_and_b32_e32 v13, 7, v13
	v_cmp_eq_u16_e32 vcc, 0, v14
	v_cndmask_b32_e32 v12, v12, v13, vcc
	v_cndmask_b32_e32 v13, v14, v16, vcc
	v_lshlrev_b32_e32 v14, 16, v19
	v_mov_b32_e32 v16, 0x3b800000
	v_lshlrev_b32_e32 v12, 20, v12
	v_and_b32_e32 v14, 0x80000000, v14
	v_lshl_add_u32 v13, v13, 23, v16
	v_or3_b32 v12, v14, v13, v12
.LBB1_876:
	s_or_b64 exec, exec, s[6:7]
	v_lshrrev_b32_e32 v13, 8, v15
	s_movk_i32 s4, 0x7f
	v_cmp_gt_i16_sdwa s[6:7], v13, s4 src0_sel:BYTE_0 src1_sel:DWORD
	s_mov_b64 s[4:5], 0
                                        ; implicit-def: $sgpr10
	s_and_saveexec_b64 s[8:9], s[6:7]
	s_xor_b64 s[6:7], exec, s[8:9]
	s_cbranch_execz .LBB1_877
; %bb.10869:
	s_getpc_b64 s[14:15]
.Lpost_getpc1338:
	s_add_u32 s14, s14, (.LBB1_4973-.Lpost_getpc1338)&4294967295
	s_addc_u32 s15, s15, (.LBB1_4973-.Lpost_getpc1338)>>32
	s_setpc_b64 s[14:15]
.LBB1_877:
	s_or_saveexec_b64 s[6:7], s[6:7]
	v_mov_b32_e32 v14, s10
	s_xor_b64 exec, exec, s[6:7]
	s_cbranch_execz .LBB1_878
; %bb.10871:
	s_getpc_b64 s[14:15]
.Lpost_getpc1339:
	s_add_u32 s14, s14, (.LBB1_4976-.Lpost_getpc1339)&4294967295
	s_addc_u32 s15, s15, (.LBB1_4976-.Lpost_getpc1339)>>32
	s_setpc_b64 s[14:15]
.LBB1_878:
	s_or_b64 exec, exec, s[6:7]
	s_and_saveexec_b64 s[6:7], s[4:5]
	s_cbranch_execz .LBB1_880
.LBB1_879:
	v_bfe_u32 v14, v15, 8, 2
	v_ffbh_u32_e32 v17, v14
	v_min_u32_e32 v17, 32, v17
	v_lshrrev_b16_e32 v16, 2, v13
	v_subrev_u32_e32 v18, 29, v17
	v_and_b32_e32 v16, 31, v16
	v_lshlrev_b32_e32 v13, v18, v13
	v_sub_u32_e32 v17, 30, v17
	v_and_b32_e32 v13, 3, v13
	v_cmp_eq_u16_e32 vcc, 0, v16
	v_cndmask_b32_e32 v13, v14, v13, vcc
	v_cndmask_b32_e32 v14, v16, v17, vcc
	v_lshlrev_b32_e32 v16, 16, v15
	v_mov_b32_e32 v17, 0x37800000
	v_lshlrev_b32_e32 v13, 21, v13
	v_and_b32_e32 v16, 0x80000000, v16
	v_lshl_add_u32 v14, v14, 23, v17
	v_or3_b32 v14, v16, v14, v13
.LBB1_880:
	s_or_b64 exec, exec, s[6:7]
	s_nop 0
	v_mfma_f32_16x16x4f32 a[0:3], v12, v14, a[0:3]
	s_movk_i32 s4, 0xff
	v_and_b32_sdwa v13, v19, s4 dst_sel:DWORD dst_unused:UNUSED_PAD src0_sel:WORD_1 src1_sel:DWORD
	s_movk_i32 s4, 0x7f
	v_cmp_lt_i16_e32 vcc, s4, v13
	s_mov_b64 s[4:5], 0
                                        ; implicit-def: $sgpr10
	s_and_saveexec_b64 s[6:7], vcc
	s_xor_b64 s[6:7], exec, s[6:7]
	s_cbranch_execz .LBB1_881
; %bb.10873:
	s_getpc_b64 s[14:15]
.Lpost_getpc1340:
	s_add_u32 s14, s14, (.LBB1_4977-.Lpost_getpc1340)&4294967295
	s_addc_u32 s15, s15, (.LBB1_4977-.Lpost_getpc1340)>>32
	s_setpc_b64 s[14:15]
.LBB1_881:
	s_or_saveexec_b64 s[6:7], s[6:7]
	v_mov_b32_e32 v12, s10
	s_xor_b64 exec, exec, s[6:7]
	s_cbranch_execz .LBB1_882
; %bb.10875:
	s_getpc_b64 s[14:15]
.Lpost_getpc1341:
	s_add_u32 s14, s14, (.LBB1_4980-.Lpost_getpc1341)&4294967295
	s_addc_u32 s15, s15, (.LBB1_4980-.Lpost_getpc1341)>>32
	s_setpc_b64 s[14:15]
.LBB1_882:
	s_or_b64 exec, exec, s[6:7]
	s_and_saveexec_b64 s[6:7], s[4:5]
	s_cbranch_execz .LBB1_884
.LBB1_883:
	v_bfe_u32 v12, v19, 16, 3
	v_ffbh_u32_e32 v16, v12
	v_min_u32_e32 v16, 32, v16
	v_lshrrev_b32_e32 v13, 19, v19
	v_subrev_u32_e32 v17, 28, v16
	v_and_b32_e32 v13, 15, v13
	v_lshlrev_b32_sdwa v17, v17, v19 dst_sel:DWORD dst_unused:UNUSED_PAD src0_sel:DWORD src1_sel:WORD_1
	v_bfe_u32 v14, v19, 19, 4
	v_sub_u32_e32 v16, 29, v16
	v_and_b32_e32 v17, 7, v17
	v_cmp_eq_u16_e32 vcc, 0, v13
	v_cndmask_b32_e32 v12, v12, v17, vcc
	v_cndmask_b32_e32 v13, v14, v16, vcc
	v_lshlrev_b32_e32 v14, 8, v19
	v_mov_b32_e32 v16, 0x3b800000
	v_lshlrev_b32_e32 v12, 20, v12
	v_and_b32_e32 v14, 0x80000000, v14
	v_lshl_add_u32 v13, v13, 23, v16
	v_or3_b32 v12, v14, v13, v12
.LBB1_884:
	s_or_b64 exec, exec, s[6:7]
	s_movk_i32 s4, 0xff
	v_and_b32_sdwa v13, v15, s4 dst_sel:DWORD dst_unused:UNUSED_PAD src0_sel:WORD_1 src1_sel:DWORD
	s_movk_i32 s4, 0x7f
	v_cmp_lt_i16_e32 vcc, s4, v13
	s_mov_b64 s[4:5], 0
                                        ; implicit-def: $sgpr10
	s_and_saveexec_b64 s[6:7], vcc
	s_xor_b64 s[6:7], exec, s[6:7]
	s_cbranch_execz .LBB1_885
; %bb.10877:
	s_getpc_b64 s[14:15]
.Lpost_getpc1342:
	s_add_u32 s14, s14, (.LBB1_4981-.Lpost_getpc1342)&4294967295
	s_addc_u32 s15, s15, (.LBB1_4981-.Lpost_getpc1342)>>32
	s_setpc_b64 s[14:15]
.LBB1_885:
	s_or_saveexec_b64 s[6:7], s[6:7]
	v_mov_b32_e32 v14, s10
	s_xor_b64 exec, exec, s[6:7]
	s_cbranch_execz .LBB1_886
; %bb.10879:
	s_getpc_b64 s[14:15]
.Lpost_getpc1343:
	s_add_u32 s14, s14, (.LBB1_4984-.Lpost_getpc1343)&4294967295
	s_addc_u32 s15, s15, (.LBB1_4984-.Lpost_getpc1343)>>32
	s_setpc_b64 s[14:15]
.LBB1_886:
	s_or_b64 exec, exec, s[6:7]
	s_and_saveexec_b64 s[6:7], s[4:5]
	s_cbranch_execz .LBB1_888
.LBB1_887:
	v_bfe_u32 v13, v15, 16, 2
	v_ffbh_u32_e32 v17, v13
	v_min_u32_e32 v17, 32, v17
	v_lshrrev_b32_e32 v14, 18, v15
	v_subrev_u32_e32 v18, 29, v17
	v_and_b32_e32 v14, 31, v14
	v_lshlrev_b32_sdwa v18, v18, v15 dst_sel:DWORD dst_unused:UNUSED_PAD src0_sel:DWORD src1_sel:WORD_1
	v_bfe_u32 v16, v15, 18, 5
	v_sub_u32_e32 v17, 30, v17
	v_and_b32_e32 v18, 3, v18
	v_cmp_eq_u16_e32 vcc, 0, v14
	v_cndmask_b32_e32 v13, v13, v18, vcc
	v_cndmask_b32_e32 v14, v16, v17, vcc
	v_lshlrev_b32_e32 v16, 8, v15
	v_mov_b32_e32 v17, 0x37800000
	v_lshlrev_b32_e32 v13, 21, v13
	v_and_b32_e32 v16, 0x80000000, v16
	v_lshl_add_u32 v14, v14, 23, v17
	v_or3_b32 v14, v16, v14, v13
.LBB1_888:
	s_or_b64 exec, exec, s[6:7]
	s_nop 0
	v_mfma_f32_16x16x4f32 a[0:3], v12, v14, a[0:3]
	s_movk_i32 s4, 0x7f
	v_cmp_gt_i16_sdwa s[6:7], v19, s4 src0_sel:BYTE_3 src1_sel:DWORD
	s_mov_b64 s[4:5], 0
                                        ; implicit-def: $sgpr10
	s_and_saveexec_b64 s[8:9], s[6:7]
	s_xor_b64 s[6:7], exec, s[8:9]
	s_cbranch_execz .LBB1_889
; %bb.10881:
	s_getpc_b64 s[14:15]
.Lpost_getpc1344:
	s_add_u32 s14, s14, (.LBB1_4985-.Lpost_getpc1344)&4294967295
	s_addc_u32 s15, s15, (.LBB1_4985-.Lpost_getpc1344)>>32
	s_setpc_b64 s[14:15]
.LBB1_889:
	s_or_saveexec_b64 s[6:7], s[6:7]
	v_mov_b32_e32 v12, s10
	s_xor_b64 exec, exec, s[6:7]
	s_cbranch_execz .LBB1_890
; %bb.10883:
	s_getpc_b64 s[14:15]
.Lpost_getpc1345:
	s_add_u32 s14, s14, (.LBB1_4988-.Lpost_getpc1345)&4294967295
	s_addc_u32 s15, s15, (.LBB1_4988-.Lpost_getpc1345)>>32
	s_setpc_b64 s[14:15]
.LBB1_890:
	s_or_b64 exec, exec, s[6:7]
	s_and_saveexec_b64 s[6:7], s[4:5]
	s_cbranch_execz .LBB1_892
.LBB1_891:
	v_bfe_u32 v12, v19, 24, 3
	v_ffbh_u32_e32 v17, v12
	v_min_u32_e32 v17, 32, v17
	v_lshrrev_b32_e32 v14, 27, v19
	v_subrev_u32_e32 v18, 28, v17
	v_and_b32_e32 v14, 15, v14
	v_lshlrev_b32_sdwa v18, v18, v19 dst_sel:DWORD dst_unused:UNUSED_PAD src0_sel:DWORD src1_sel:BYTE_3
	v_bfe_u32 v16, v19, 27, 4
	v_sub_u32_e32 v17, 29, v17
	v_and_b32_e32 v18, 7, v18
	v_cmp_eq_u16_e32 vcc, 0, v14
	v_cndmask_b32_e32 v12, v12, v18, vcc
	v_cndmask_b32_e32 v14, v16, v17, vcc
	v_mov_b32_e32 v16, 0x3b800000
	v_and_b32_e32 v13, 0x80000000, v19
	v_lshlrev_b32_e32 v12, 20, v12
	v_lshl_add_u32 v14, v14, 23, v16
	v_or3_b32 v12, v13, v14, v12
.LBB1_892:
	s_or_b64 exec, exec, s[6:7]
	s_movk_i32 s4, 0x7f
	v_cmp_gt_i16_sdwa s[6:7], v15, s4 src0_sel:BYTE_3 src1_sel:DWORD
	s_mov_b64 s[4:5], 0
                                        ; implicit-def: $sgpr10
	s_and_saveexec_b64 s[8:9], s[6:7]
	s_xor_b64 s[6:7], exec, s[8:9]
	s_cbranch_execz .LBB1_893
; %bb.10885:
	s_getpc_b64 s[14:15]
.Lpost_getpc1346:
	s_add_u32 s14, s14, (.LBB1_4989-.Lpost_getpc1346)&4294967295
	s_addc_u32 s15, s15, (.LBB1_4989-.Lpost_getpc1346)>>32
	s_setpc_b64 s[14:15]
.LBB1_893:
	s_or_saveexec_b64 s[6:7], s[6:7]
	v_mov_b32_e32 v13, s10
	s_xor_b64 exec, exec, s[6:7]
	s_cbranch_execz .LBB1_894
; %bb.10887:
	s_getpc_b64 s[14:15]
.Lpost_getpc1347:
	s_add_u32 s14, s14, (.LBB1_4992-.Lpost_getpc1347)&4294967295
	s_addc_u32 s15, s15, (.LBB1_4992-.Lpost_getpc1347)>>32
	s_setpc_b64 s[14:15]
.LBB1_894:
	s_or_b64 exec, exec, s[6:7]
	s_and_saveexec_b64 s[6:7], s[4:5]
	s_cbranch_execz .LBB1_896
.LBB1_895:
	v_bfe_u32 v13, v15, 24, 2
	v_ffbh_u32_e32 v18, v13
	v_min_u32_e32 v18, 32, v18
	v_lshrrev_b32_e32 v16, 26, v15
	v_subrev_u32_e32 v19, 29, v18
	v_and_b32_e32 v14, 0x80000000, v15
	v_and_b32_e32 v16, 31, v16
	v_bfe_u32 v17, v15, 26, 5
	v_lshlrev_b32_sdwa v15, v19, v15 dst_sel:DWORD dst_unused:UNUSED_PAD src0_sel:DWORD src1_sel:BYTE_3
	v_sub_u32_e32 v18, 30, v18
	v_and_b32_e32 v15, 3, v15
	v_cmp_eq_u16_e32 vcc, 0, v16
	v_cndmask_b32_e32 v13, v13, v15, vcc
	v_cndmask_b32_e32 v15, v17, v18, vcc
	v_mov_b32_e32 v16, 0x37800000
	v_lshlrev_b32_e32 v13, 21, v13
	v_lshl_add_u32 v15, v15, 23, v16
	v_or3_b32 v13, v14, v15, v13
.LBB1_896:
	s_or_b64 exec, exec, s[6:7]
	s_nop 0
	v_mfma_f32_16x16x4f32 a[0:3], v12, v13, a[0:3]
	v_mov_b32_e32 v16, 8
	s_movk_i32 s4, 0x7f
                                        ; implicit-def: $sgpr10
	s_nop 7
	s_nop 0
	flat_store_dwordx4 v[10:11], a[0:3] offset:96
	flat_load_dword v14, v[0:1] offset:544
	flat_load_dwordx2 v[12:13], v[6:7]
	s_waitcnt vmcnt(0) lgkmcnt(0)
	v_ashrrev_i32_e32 v15, 31, v14
	v_add_co_u32_e32 v12, vcc, v12, v14
	v_addc_co_u32_e32 v13, vcc, v13, v15, vcc
	flat_load_dwordx4 v[12:15], v[12:13] offset:1536
	s_waitcnt vmcnt(0) lgkmcnt(0)
	v_lshrrev_b32_sdwa v20, v16, v14 dst_sel:BYTE_1 dst_unused:UNUSED_PAD src0_sel:DWORD src1_sel:DWORD
	flat_store_dwordx4 v[8:9], v[12:15]
	flat_load_dwordx4 v[16:19], v[4:5]
	s_waitcnt vmcnt(0) lgkmcnt(0)
	v_cmp_gt_i16_sdwa s[6:7], v16, s4 src0_sel:BYTE_0 src1_sel:DWORD
	s_mov_b64 s[4:5], 0
	s_and_saveexec_b64 s[8:9], s[6:7]
	s_xor_b64 s[6:7], exec, s[8:9]
	s_cbranch_execz .LBB1_897
; %bb.10889:
	s_getpc_b64 s[14:15]
.Lpost_getpc1348:
	s_add_u32 s14, s14, (.LBB1_4993-.Lpost_getpc1348)&4294967295
	s_addc_u32 s15, s15, (.LBB1_4993-.Lpost_getpc1348)>>32
	s_setpc_b64 s[14:15]
.LBB1_897:
	s_or_saveexec_b64 s[6:7], s[6:7]
	v_mov_b32_e32 v21, s10
	s_xor_b64 exec, exec, s[6:7]
	s_cbranch_execz .LBB1_898
; %bb.10891:
	s_getpc_b64 s[14:15]
.Lpost_getpc1349:
	s_add_u32 s14, s14, (.LBB1_4996-.Lpost_getpc1349)&4294967295
	s_addc_u32 s15, s15, (.LBB1_4996-.Lpost_getpc1349)>>32
	s_setpc_b64 s[14:15]
.LBB1_898:
	s_or_b64 exec, exec, s[6:7]
	s_and_saveexec_b64 s[6:7], s[4:5]
	s_cbranch_execz .LBB1_900
.LBB1_899:
	v_and_b32_e32 v21, 7, v16
	v_ffbh_u32_e32 v23, v21
	v_min_u32_e32 v23, 32, v23
	v_lshrrev_b16_e32 v22, 3, v16
	v_subrev_u32_e32 v24, 28, v23
	v_and_b32_e32 v22, 15, v22
	v_lshlrev_b32_e32 v24, v24, v16
	v_sub_u32_e32 v23, 29, v23
	v_and_b32_e32 v24, 7, v24
	v_cmp_eq_u16_e32 vcc, 0, v22
	v_cndmask_b32_e32 v21, v21, v24, vcc
	v_cndmask_b32_e32 v22, v22, v23, vcc
	v_lshlrev_b32_e32 v23, 24, v16
	v_mov_b32_e32 v24, 0x3b800000
	v_lshlrev_b32_e32 v21, 20, v21
	v_and_b32_e32 v23, 0x80000000, v23
	v_lshl_add_u32 v22, v22, 23, v24
	v_or3_b32 v21, v23, v22, v21
.LBB1_900:
	s_or_b64 exec, exec, s[6:7]
	s_movk_i32 s4, 0x7f
	v_cmp_gt_i16_sdwa s[6:7], v12, s4 src0_sel:BYTE_0 src1_sel:DWORD
	s_mov_b64 s[4:5], 0
                                        ; implicit-def: $sgpr10
	s_and_saveexec_b64 s[8:9], s[6:7]
	s_xor_b64 s[6:7], exec, s[8:9]
	s_cbranch_execz .LBB1_901
; %bb.10893:
	s_getpc_b64 s[14:15]
.Lpost_getpc1350:
	s_add_u32 s14, s14, (.LBB1_4997-.Lpost_getpc1350)&4294967295
	s_addc_u32 s15, s15, (.LBB1_4997-.Lpost_getpc1350)>>32
	s_setpc_b64 s[14:15]
.LBB1_901:
	s_or_saveexec_b64 s[6:7], s[6:7]
	v_mov_b32_e32 v22, s10
	s_xor_b64 exec, exec, s[6:7]
	s_cbranch_execz .LBB1_902
; %bb.10895:
	s_getpc_b64 s[14:15]
.Lpost_getpc1351:
	s_add_u32 s14, s14, (.LBB1_5000-.Lpost_getpc1351)&4294967295
	s_addc_u32 s15, s15, (.LBB1_5000-.Lpost_getpc1351)>>32
	s_setpc_b64 s[14:15]
.LBB1_902:
	s_or_b64 exec, exec, s[6:7]
	s_and_saveexec_b64 s[6:7], s[4:5]
	s_cbranch_execz .LBB1_904
.LBB1_903:
	v_and_b32_e32 v22, 3, v12
	v_ffbh_u32_e32 v24, v22
	v_min_u32_e32 v24, 32, v24
	v_lshrrev_b16_e32 v23, 2, v12
	v_subrev_u32_e32 v25, 29, v24
	v_and_b32_e32 v23, 31, v23
	v_lshlrev_b32_e32 v25, v25, v12
	v_sub_u32_e32 v24, 30, v24
	v_and_b32_e32 v25, 3, v25
	v_cmp_eq_u16_e32 vcc, 0, v23
	v_cndmask_b32_e32 v22, v22, v25, vcc
	v_cndmask_b32_e32 v23, v23, v24, vcc
	v_lshlrev_b32_e32 v24, 24, v12
	v_mov_b32_e32 v25, 0x37800000
	v_lshlrev_b32_e32 v22, 21, v22
	v_and_b32_e32 v24, 0x80000000, v24
	v_lshl_add_u32 v23, v23, 23, v25
	v_or3_b32 v22, v24, v23, v22
.LBB1_904:
	s_or_b64 exec, exec, s[6:7]
	flat_load_dwordx4 a[0:3], v[10:11] offset:112
	s_movk_i32 s4, 0x7f
                                        ; implicit-def: $sgpr10
	s_waitcnt vmcnt(0) lgkmcnt(0)
	v_mfma_f32_16x16x4f32 a[0:3], v21, v22, a[0:3]
	v_lshrrev_b32_e32 v22, 8, v16
	v_cmp_gt_i16_sdwa s[6:7], v22, s4 src0_sel:BYTE_0 src1_sel:DWORD
	s_mov_b64 s[4:5], 0
	s_and_saveexec_b64 s[8:9], s[6:7]
	s_xor_b64 s[6:7], exec, s[8:9]
	s_cbranch_execz .LBB1_905
; %bb.10897:
	s_getpc_b64 s[14:15]
.Lpost_getpc1352:
	s_add_u32 s14, s14, (.LBB1_5001-.Lpost_getpc1352)&4294967295
	s_addc_u32 s15, s15, (.LBB1_5001-.Lpost_getpc1352)>>32
	s_setpc_b64 s[14:15]
.LBB1_905:
	s_or_saveexec_b64 s[6:7], s[6:7]
	v_mov_b32_e32 v21, s10
	s_xor_b64 exec, exec, s[6:7]
	s_cbranch_execz .LBB1_906
; %bb.10899:
	s_getpc_b64 s[14:15]
.Lpost_getpc1353:
	s_add_u32 s14, s14, (.LBB1_5004-.Lpost_getpc1353)&4294967295
	s_addc_u32 s15, s15, (.LBB1_5004-.Lpost_getpc1353)>>32
	s_setpc_b64 s[14:15]
.LBB1_906:
	s_or_b64 exec, exec, s[6:7]
	s_and_saveexec_b64 s[6:7], s[4:5]
	s_cbranch_execz .LBB1_908
.LBB1_907:
	v_bfe_u32 v21, v16, 8, 3
	v_ffbh_u32_e32 v24, v21
	v_min_u32_e32 v24, 32, v24
	v_lshrrev_b16_e32 v23, 3, v22
	v_subrev_u32_e32 v25, 28, v24
	v_and_b32_e32 v23, 15, v23
	v_lshlrev_b32_e32 v22, v25, v22
	v_sub_u32_e32 v24, 29, v24
	v_and_b32_e32 v22, 7, v22
	v_cmp_eq_u16_e32 vcc, 0, v23
	v_cndmask_b32_e32 v21, v21, v22, vcc
	v_cndmask_b32_e32 v22, v23, v24, vcc
	v_lshlrev_b32_e32 v23, 16, v16
	v_mov_b32_e32 v24, 0x3b800000
	v_lshlrev_b32_e32 v21, 20, v21
	v_and_b32_e32 v23, 0x80000000, v23
	v_lshl_add_u32 v22, v22, 23, v24
	v_or3_b32 v21, v23, v22, v21
.LBB1_908:
	s_or_b64 exec, exec, s[6:7]
	v_lshrrev_b32_e32 v22, 8, v12
	s_movk_i32 s4, 0x7f
	v_cmp_gt_i16_sdwa s[6:7], v22, s4 src0_sel:BYTE_0 src1_sel:DWORD
	s_mov_b64 s[4:5], 0
                                        ; implicit-def: $sgpr10
	s_and_saveexec_b64 s[8:9], s[6:7]
	s_xor_b64 s[6:7], exec, s[8:9]
	s_cbranch_execz .LBB1_909
; %bb.10901:
	s_getpc_b64 s[14:15]
.Lpost_getpc1354:
	s_add_u32 s14, s14, (.LBB1_5005-.Lpost_getpc1354)&4294967295
	s_addc_u32 s15, s15, (.LBB1_5005-.Lpost_getpc1354)>>32
	s_setpc_b64 s[14:15]
.LBB1_909:
	s_or_saveexec_b64 s[6:7], s[6:7]
	v_mov_b32_e32 v23, s10
	s_xor_b64 exec, exec, s[6:7]
	s_cbranch_execz .LBB1_910
; %bb.10903:
	s_getpc_b64 s[14:15]
.Lpost_getpc1355:
	s_add_u32 s14, s14, (.LBB1_5008-.Lpost_getpc1355)&4294967295
	s_addc_u32 s15, s15, (.LBB1_5008-.Lpost_getpc1355)>>32
	s_setpc_b64 s[14:15]
.LBB1_910:
	s_or_b64 exec, exec, s[6:7]
	s_and_saveexec_b64 s[6:7], s[4:5]
	s_cbranch_execz .LBB1_912
.LBB1_911:
	v_bfe_u32 v23, v12, 8, 2
	v_ffbh_u32_e32 v25, v23
	v_min_u32_e32 v25, 32, v25
	v_lshrrev_b16_e32 v24, 2, v22
	v_subrev_u32_e32 v26, 29, v25
	v_and_b32_e32 v24, 31, v24
	v_lshlrev_b32_e32 v22, v26, v22
	v_sub_u32_e32 v25, 30, v25
	v_and_b32_e32 v22, 3, v22
	v_cmp_eq_u16_e32 vcc, 0, v24
	v_cndmask_b32_e32 v22, v23, v22, vcc
	v_cndmask_b32_e32 v23, v24, v25, vcc
	v_lshlrev_b32_e32 v24, 16, v12
	v_mov_b32_e32 v25, 0x37800000
	v_lshlrev_b32_e32 v22, 21, v22
	v_and_b32_e32 v24, 0x80000000, v24
	v_lshl_add_u32 v23, v23, 23, v25
	v_or3_b32 v23, v24, v23, v22
.LBB1_912:
	s_or_b64 exec, exec, s[6:7]
	s_nop 0
	v_mfma_f32_16x16x4f32 a[0:3], v21, v23, a[0:3]
	s_movk_i32 s4, 0xff
	v_and_b32_sdwa v22, v16, s4 dst_sel:DWORD dst_unused:UNUSED_PAD src0_sel:WORD_1 src1_sel:DWORD
	s_movk_i32 s4, 0x7f
	v_cmp_lt_i16_e32 vcc, s4, v22
	s_mov_b64 s[4:5], 0
                                        ; implicit-def: $sgpr10
	s_and_saveexec_b64 s[6:7], vcc
	s_xor_b64 s[6:7], exec, s[6:7]
	s_cbranch_execz .LBB1_913
; %bb.10905:
	s_getpc_b64 s[14:15]
.Lpost_getpc1356:
	s_add_u32 s14, s14, (.LBB1_5009-.Lpost_getpc1356)&4294967295
	s_addc_u32 s15, s15, (.LBB1_5009-.Lpost_getpc1356)>>32
	s_setpc_b64 s[14:15]
.LBB1_913:
	s_or_saveexec_b64 s[6:7], s[6:7]
	v_mov_b32_e32 v21, s10
	s_xor_b64 exec, exec, s[6:7]
	s_cbranch_execz .LBB1_914
; %bb.10907:
	s_getpc_b64 s[14:15]
.Lpost_getpc1357:
	s_add_u32 s14, s14, (.LBB1_5012-.Lpost_getpc1357)&4294967295
	s_addc_u32 s15, s15, (.LBB1_5012-.Lpost_getpc1357)>>32
	s_setpc_b64 s[14:15]
.LBB1_914:
	s_or_b64 exec, exec, s[6:7]
	s_and_saveexec_b64 s[6:7], s[4:5]
	s_cbranch_execz .LBB1_916
.LBB1_915:
	v_bfe_u32 v21, v16, 16, 3
	v_ffbh_u32_e32 v24, v21
	v_min_u32_e32 v24, 32, v24
	v_lshrrev_b32_e32 v22, 19, v16
	v_subrev_u32_e32 v25, 28, v24
	v_and_b32_e32 v22, 15, v22
	v_lshlrev_b32_sdwa v25, v25, v16 dst_sel:DWORD dst_unused:UNUSED_PAD src0_sel:DWORD src1_sel:WORD_1
	v_bfe_u32 v23, v16, 19, 4
	v_sub_u32_e32 v24, 29, v24
	v_and_b32_e32 v25, 7, v25
	v_cmp_eq_u16_e32 vcc, 0, v22
	v_cndmask_b32_e32 v21, v21, v25, vcc
	v_cndmask_b32_e32 v22, v23, v24, vcc
	v_lshlrev_b32_e32 v23, 8, v16
	v_mov_b32_e32 v24, 0x3b800000
	v_lshlrev_b32_e32 v21, 20, v21
	v_and_b32_e32 v23, 0x80000000, v23
	v_lshl_add_u32 v22, v22, 23, v24
	v_or3_b32 v21, v23, v22, v21
.LBB1_916:
	s_or_b64 exec, exec, s[6:7]
	s_movk_i32 s4, 0xff
	v_and_b32_sdwa v22, v12, s4 dst_sel:DWORD dst_unused:UNUSED_PAD src0_sel:WORD_1 src1_sel:DWORD
	s_movk_i32 s4, 0x7f
	v_cmp_lt_i16_e32 vcc, s4, v22
	s_mov_b64 s[4:5], 0
                                        ; implicit-def: $sgpr10
	s_and_saveexec_b64 s[6:7], vcc
	s_xor_b64 s[6:7], exec, s[6:7]
	s_cbranch_execz .LBB1_917
; %bb.10909:
	s_getpc_b64 s[14:15]
.Lpost_getpc1358:
	s_add_u32 s14, s14, (.LBB1_5013-.Lpost_getpc1358)&4294967295
	s_addc_u32 s15, s15, (.LBB1_5013-.Lpost_getpc1358)>>32
	s_setpc_b64 s[14:15]
.LBB1_917:
	s_or_saveexec_b64 s[6:7], s[6:7]
	v_mov_b32_e32 v23, s10
	s_xor_b64 exec, exec, s[6:7]
	s_cbranch_execz .LBB1_918
; %bb.10911:
	s_getpc_b64 s[14:15]
.Lpost_getpc1359:
	s_add_u32 s14, s14, (.LBB1_5016-.Lpost_getpc1359)&4294967295
	s_addc_u32 s15, s15, (.LBB1_5016-.Lpost_getpc1359)>>32
	s_setpc_b64 s[14:15]
.LBB1_918:
	s_or_b64 exec, exec, s[6:7]
	s_and_saveexec_b64 s[6:7], s[4:5]
	s_cbranch_execz .LBB1_920
.LBB1_919:
	v_bfe_u32 v22, v12, 16, 2
	v_ffbh_u32_e32 v25, v22
	v_min_u32_e32 v25, 32, v25
	v_lshrrev_b32_e32 v23, 18, v12
	v_subrev_u32_e32 v26, 29, v25
	v_and_b32_e32 v23, 31, v23
	v_lshlrev_b32_sdwa v26, v26, v12 dst_sel:DWORD dst_unused:UNUSED_PAD src0_sel:DWORD src1_sel:WORD_1
	v_bfe_u32 v24, v12, 18, 5
	v_sub_u32_e32 v25, 30, v25
	v_and_b32_e32 v26, 3, v26
	v_cmp_eq_u16_e32 vcc, 0, v23
	v_cndmask_b32_e32 v22, v22, v26, vcc
	v_cndmask_b32_e32 v23, v24, v25, vcc
	v_lshlrev_b32_e32 v24, 8, v12
	v_mov_b32_e32 v25, 0x37800000
	v_lshlrev_b32_e32 v22, 21, v22
	v_and_b32_e32 v24, 0x80000000, v24
	v_lshl_add_u32 v23, v23, 23, v25
	v_or3_b32 v23, v24, v23, v22
.LBB1_920:
	s_or_b64 exec, exec, s[6:7]
	s_nop 0
	v_mfma_f32_16x16x4f32 a[0:3], v21, v23, a[0:3]
	s_movk_i32 s4, 0x7f
	v_cmp_gt_i16_sdwa s[6:7], v16, s4 src0_sel:BYTE_3 src1_sel:DWORD
	s_mov_b64 s[4:5], 0
                                        ; implicit-def: $sgpr10
	s_and_saveexec_b64 s[8:9], s[6:7]
	s_xor_b64 s[6:7], exec, s[8:9]
	s_cbranch_execz .LBB1_921
; %bb.10913:
	s_getpc_b64 s[14:15]
.Lpost_getpc1360:
	s_add_u32 s14, s14, (.LBB1_5017-.Lpost_getpc1360)&4294967295
	s_addc_u32 s15, s15, (.LBB1_5017-.Lpost_getpc1360)>>32
	s_setpc_b64 s[14:15]
.LBB1_921:
	s_or_saveexec_b64 s[6:7], s[6:7]
	v_mov_b32_e32 v21, s10
	s_xor_b64 exec, exec, s[6:7]
	s_cbranch_execz .LBB1_922
; %bb.10915:
	s_getpc_b64 s[14:15]
.Lpost_getpc1361:
	s_add_u32 s14, s14, (.LBB1_5020-.Lpost_getpc1361)&4294967295
	s_addc_u32 s15, s15, (.LBB1_5020-.Lpost_getpc1361)>>32
	s_setpc_b64 s[14:15]
.LBB1_922:
	s_or_b64 exec, exec, s[6:7]
	s_and_saveexec_b64 s[6:7], s[4:5]
	s_cbranch_execz .LBB1_924
.LBB1_923:
	v_bfe_u32 v21, v16, 24, 3
	v_ffbh_u32_e32 v25, v21
	v_min_u32_e32 v25, 32, v25
	v_lshrrev_b32_e32 v23, 27, v16
	v_subrev_u32_e32 v26, 28, v25
	v_and_b32_e32 v22, 0x80000000, v16
	v_and_b32_e32 v23, 15, v23
	v_bfe_u32 v24, v16, 27, 4
	v_lshlrev_b32_sdwa v16, v26, v16 dst_sel:DWORD dst_unused:UNUSED_PAD src0_sel:DWORD src1_sel:BYTE_3
	v_sub_u32_e32 v25, 29, v25
	v_and_b32_e32 v16, 7, v16
	v_cmp_eq_u16_e32 vcc, 0, v23
	v_cndmask_b32_e32 v16, v21, v16, vcc
	v_cndmask_b32_e32 v21, v24, v25, vcc
	v_mov_b32_e32 v23, 0x3b800000
	v_lshlrev_b32_e32 v16, 20, v16
	v_lshl_add_u32 v21, v21, 23, v23
	v_or3_b32 v21, v22, v21, v16
.LBB1_924:
	s_or_b64 exec, exec, s[6:7]
	s_movk_i32 s4, 0x7f
	v_cmp_gt_i16_sdwa s[6:7], v12, s4 src0_sel:BYTE_3 src1_sel:DWORD
	s_mov_b64 s[4:5], 0
                                        ; implicit-def: $sgpr10
	s_and_saveexec_b64 s[8:9], s[6:7]
	s_xor_b64 s[6:7], exec, s[8:9]
	s_cbranch_execz .LBB1_925
; %bb.10917:
	s_getpc_b64 s[14:15]
.Lpost_getpc1362:
	s_add_u32 s14, s14, (.LBB1_5021-.Lpost_getpc1362)&4294967295
	s_addc_u32 s15, s15, (.LBB1_5021-.Lpost_getpc1362)>>32
	s_setpc_b64 s[14:15]
.LBB1_925:
	s_or_saveexec_b64 s[6:7], s[6:7]
	v_mov_b32_e32 v16, s10
	s_xor_b64 exec, exec, s[6:7]
	s_cbranch_execz .LBB1_926
; %bb.10919:
	s_getpc_b64 s[14:15]
.Lpost_getpc1363:
	s_add_u32 s14, s14, (.LBB1_5024-.Lpost_getpc1363)&4294967295
	s_addc_u32 s15, s15, (.LBB1_5024-.Lpost_getpc1363)>>32
	s_setpc_b64 s[14:15]
.LBB1_926:
	s_or_b64 exec, exec, s[6:7]
	s_and_saveexec_b64 s[6:7], s[4:5]
	s_cbranch_execz .LBB1_928
.LBB1_927:
	v_bfe_u32 v16, v12, 24, 2
	v_ffbh_u32_e32 v25, v16
	v_min_u32_e32 v25, 32, v25
	v_lshrrev_b32_e32 v23, 26, v12
	v_subrev_u32_e32 v26, 29, v25
	v_and_b32_e32 v22, 0x80000000, v12
	v_and_b32_e32 v23, 31, v23
	v_bfe_u32 v24, v12, 26, 5
	v_lshlrev_b32_sdwa v12, v26, v12 dst_sel:DWORD dst_unused:UNUSED_PAD src0_sel:DWORD src1_sel:BYTE_3
	v_sub_u32_e32 v25, 30, v25
	v_and_b32_e32 v12, 3, v12
	v_cmp_eq_u16_e32 vcc, 0, v23
	v_cndmask_b32_e32 v12, v16, v12, vcc
	v_cndmask_b32_e32 v16, v24, v25, vcc
	v_mov_b32_e32 v23, 0x37800000
	v_lshlrev_b32_e32 v12, 21, v12
	v_lshl_add_u32 v16, v16, 23, v23
	v_or3_b32 v16, v22, v16, v12
.LBB1_928:
	s_or_b64 exec, exec, s[6:7]
	s_nop 0
	v_mfma_f32_16x16x4f32 a[0:3], v21, v16, a[0:3]
	s_movk_i32 s4, 0x7f
	v_cmp_gt_i16_sdwa s[6:7], v17, s4 src0_sel:BYTE_0 src1_sel:DWORD
	s_mov_b64 s[4:5], 0
                                        ; implicit-def: $sgpr10
	s_and_saveexec_b64 s[8:9], s[6:7]
	s_xor_b64 s[6:7], exec, s[8:9]
	s_cbranch_execz .LBB1_929
; %bb.10921:
	s_getpc_b64 s[14:15]
.Lpost_getpc1364:
	s_add_u32 s14, s14, (.LBB1_5025-.Lpost_getpc1364)&4294967295
	s_addc_u32 s15, s15, (.LBB1_5025-.Lpost_getpc1364)>>32
	s_setpc_b64 s[14:15]
.LBB1_929:
	s_or_saveexec_b64 s[6:7], s[6:7]
	v_mov_b32_e32 v12, s10
	s_xor_b64 exec, exec, s[6:7]
	s_cbranch_execz .LBB1_930
; %bb.10923:
	s_getpc_b64 s[14:15]
.Lpost_getpc1365:
	s_add_u32 s14, s14, (.LBB1_5028-.Lpost_getpc1365)&4294967295
	s_addc_u32 s15, s15, (.LBB1_5028-.Lpost_getpc1365)>>32
	s_setpc_b64 s[14:15]
.LBB1_930:
	s_or_b64 exec, exec, s[6:7]
	s_and_saveexec_b64 s[6:7], s[4:5]
	s_cbranch_execz .LBB1_932
.LBB1_931:
	v_and_b32_e32 v12, 7, v17
	v_ffbh_u32_e32 v21, v12
	v_min_u32_e32 v21, 32, v21
	v_lshrrev_b16_e32 v16, 3, v17
	v_subrev_u32_e32 v22, 28, v21
	v_and_b32_e32 v16, 15, v16
	v_lshlrev_b32_e32 v22, v22, v17
	v_sub_u32_e32 v21, 29, v21
	v_and_b32_e32 v22, 7, v22
	v_cmp_eq_u16_e32 vcc, 0, v16
	v_cndmask_b32_e32 v12, v12, v22, vcc
	v_cndmask_b32_e32 v16, v16, v21, vcc
	v_lshlrev_b32_e32 v21, 24, v17
	v_mov_b32_e32 v22, 0x3b800000
	v_lshlrev_b32_e32 v12, 20, v12
	v_and_b32_e32 v21, 0x80000000, v21
	v_lshl_add_u32 v16, v16, 23, v22
	v_or3_b32 v12, v21, v16, v12
.LBB1_932:
	s_or_b64 exec, exec, s[6:7]
	s_movk_i32 s4, 0x7f
	v_cmp_gt_i16_sdwa s[6:7], v13, s4 src0_sel:BYTE_0 src1_sel:DWORD
	s_mov_b64 s[4:5], 0
                                        ; implicit-def: $sgpr10
	s_and_saveexec_b64 s[8:9], s[6:7]
	s_xor_b64 s[6:7], exec, s[8:9]
	s_cbranch_execz .LBB1_933
; %bb.10925:
	s_getpc_b64 s[14:15]
.Lpost_getpc1366:
	s_add_u32 s14, s14, (.LBB1_5029-.Lpost_getpc1366)&4294967295
	s_addc_u32 s15, s15, (.LBB1_5029-.Lpost_getpc1366)>>32
	s_setpc_b64 s[14:15]
.LBB1_933:
	s_or_saveexec_b64 s[6:7], s[6:7]
	v_mov_b32_e32 v16, s10
	s_xor_b64 exec, exec, s[6:7]
	s_cbranch_execz .LBB1_934
; %bb.10927:
	s_getpc_b64 s[14:15]
.Lpost_getpc1367:
	s_add_u32 s14, s14, (.LBB1_5032-.Lpost_getpc1367)&4294967295
	s_addc_u32 s15, s15, (.LBB1_5032-.Lpost_getpc1367)>>32
	s_setpc_b64 s[14:15]
.LBB1_934:
	s_or_b64 exec, exec, s[6:7]
	s_and_saveexec_b64 s[6:7], s[4:5]
	s_cbranch_execz .LBB1_936
.LBB1_935:
	v_and_b32_e32 v16, 3, v13
	v_ffbh_u32_e32 v22, v16
	v_min_u32_e32 v22, 32, v22
	v_lshrrev_b16_e32 v21, 2, v13
	v_subrev_u32_e32 v23, 29, v22
	v_and_b32_e32 v21, 31, v21
	v_lshlrev_b32_e32 v23, v23, v13
	v_sub_u32_e32 v22, 30, v22
	v_and_b32_e32 v23, 3, v23
	v_cmp_eq_u16_e32 vcc, 0, v21
	v_cndmask_b32_e32 v16, v16, v23, vcc
	v_cndmask_b32_e32 v21, v21, v22, vcc
	v_lshlrev_b32_e32 v22, 24, v13
	v_mov_b32_e32 v23, 0x37800000
	v_lshlrev_b32_e32 v16, 21, v16
	v_and_b32_e32 v22, 0x80000000, v22
	v_lshl_add_u32 v21, v21, 23, v23
	v_or3_b32 v16, v22, v21, v16
.LBB1_936:
	s_or_b64 exec, exec, s[6:7]
	s_nop 0
	v_mfma_f32_16x16x4f32 a[0:3], v12, v16, a[0:3]
	v_lshrrev_b32_e32 v16, 8, v17
	s_movk_i32 s4, 0x7f
	v_cmp_gt_i16_sdwa s[6:7], v16, s4 src0_sel:BYTE_0 src1_sel:DWORD
	s_mov_b64 s[4:5], 0
                                        ; implicit-def: $sgpr10
	s_and_saveexec_b64 s[8:9], s[6:7]
	s_xor_b64 s[6:7], exec, s[8:9]
	s_cbranch_execz .LBB1_937
; %bb.10929:
	s_getpc_b64 s[14:15]
.Lpost_getpc1368:
	s_add_u32 s14, s14, (.LBB1_5033-.Lpost_getpc1368)&4294967295
	s_addc_u32 s15, s15, (.LBB1_5033-.Lpost_getpc1368)>>32
	s_setpc_b64 s[14:15]
.LBB1_937:
	s_or_saveexec_b64 s[6:7], s[6:7]
	v_mov_b32_e32 v12, s10
	s_xor_b64 exec, exec, s[6:7]
	s_cbranch_execz .LBB1_938
; %bb.10931:
	s_getpc_b64 s[14:15]
.Lpost_getpc1369:
	s_add_u32 s14, s14, (.LBB1_5036-.Lpost_getpc1369)&4294967295
	s_addc_u32 s15, s15, (.LBB1_5036-.Lpost_getpc1369)>>32
	s_setpc_b64 s[14:15]
.LBB1_938:
	s_or_b64 exec, exec, s[6:7]
	s_and_saveexec_b64 s[6:7], s[4:5]
	s_cbranch_execz .LBB1_940
.LBB1_939:
	v_bfe_u32 v12, v17, 8, 3
	v_ffbh_u32_e32 v22, v12
	v_min_u32_e32 v22, 32, v22
	v_lshrrev_b16_e32 v21, 3, v16
	v_subrev_u32_e32 v23, 28, v22
	v_and_b32_e32 v21, 15, v21
	v_lshlrev_b32_e32 v16, v23, v16
	v_sub_u32_e32 v22, 29, v22
	v_and_b32_e32 v16, 7, v16
	v_cmp_eq_u16_e32 vcc, 0, v21
	v_cndmask_b32_e32 v12, v12, v16, vcc
	v_cndmask_b32_e32 v16, v21, v22, vcc
	v_lshlrev_b32_e32 v21, 16, v17
	v_mov_b32_e32 v22, 0x3b800000
	v_lshlrev_b32_e32 v12, 20, v12
	v_and_b32_e32 v21, 0x80000000, v21
	v_lshl_add_u32 v16, v16, 23, v22
	v_or3_b32 v12, v21, v16, v12
.LBB1_940:
	s_or_b64 exec, exec, s[6:7]
	v_lshrrev_b32_e32 v16, 8, v13
	s_movk_i32 s4, 0x7f
	v_cmp_gt_i16_sdwa s[6:7], v16, s4 src0_sel:BYTE_0 src1_sel:DWORD
	s_mov_b64 s[4:5], 0
                                        ; implicit-def: $sgpr10
	s_and_saveexec_b64 s[8:9], s[6:7]
	s_xor_b64 s[6:7], exec, s[8:9]
	s_cbranch_execz .LBB1_941
; %bb.10933:
	s_getpc_b64 s[14:15]
.Lpost_getpc1370:
	s_add_u32 s14, s14, (.LBB1_5037-.Lpost_getpc1370)&4294967295
	s_addc_u32 s15, s15, (.LBB1_5037-.Lpost_getpc1370)>>32
	s_setpc_b64 s[14:15]
.LBB1_941:
	s_or_saveexec_b64 s[6:7], s[6:7]
	v_mov_b32_e32 v21, s10
	s_xor_b64 exec, exec, s[6:7]
	s_cbranch_execz .LBB1_942
; %bb.10935:
	s_getpc_b64 s[14:15]
.Lpost_getpc1371:
	s_add_u32 s14, s14, (.LBB1_5040-.Lpost_getpc1371)&4294967295
	s_addc_u32 s15, s15, (.LBB1_5040-.Lpost_getpc1371)>>32
	s_setpc_b64 s[14:15]
.LBB1_942:
	s_or_b64 exec, exec, s[6:7]
	s_and_saveexec_b64 s[6:7], s[4:5]
	s_cbranch_execz .LBB1_944
.LBB1_943:
	v_bfe_u32 v21, v13, 8, 2
	v_ffbh_u32_e32 v23, v21
	v_min_u32_e32 v23, 32, v23
	v_lshrrev_b16_e32 v22, 2, v16
	v_subrev_u32_e32 v24, 29, v23
	v_and_b32_e32 v22, 31, v22
	v_lshlrev_b32_e32 v16, v24, v16
	v_sub_u32_e32 v23, 30, v23
	v_and_b32_e32 v16, 3, v16
	v_cmp_eq_u16_e32 vcc, 0, v22
	v_cndmask_b32_e32 v16, v21, v16, vcc
	v_cndmask_b32_e32 v21, v22, v23, vcc
	v_lshlrev_b32_e32 v22, 16, v13
	v_mov_b32_e32 v23, 0x37800000
	v_lshlrev_b32_e32 v16, 21, v16
	v_and_b32_e32 v22, 0x80000000, v22
	v_lshl_add_u32 v21, v21, 23, v23
	v_or3_b32 v21, v22, v21, v16
.LBB1_944:
	s_or_b64 exec, exec, s[6:7]
	s_nop 0
	v_mfma_f32_16x16x4f32 a[0:3], v12, v21, a[0:3]
	s_movk_i32 s4, 0xff
	v_and_b32_sdwa v16, v17, s4 dst_sel:DWORD dst_unused:UNUSED_PAD src0_sel:WORD_1 src1_sel:DWORD
	s_movk_i32 s4, 0x7f
	v_cmp_lt_i16_e32 vcc, s4, v16
	s_mov_b64 s[4:5], 0
                                        ; implicit-def: $sgpr10
	s_and_saveexec_b64 s[6:7], vcc
	s_xor_b64 s[6:7], exec, s[6:7]
	s_cbranch_execz .LBB1_945
; %bb.10937:
	s_getpc_b64 s[14:15]
.Lpost_getpc1372:
	s_add_u32 s14, s14, (.LBB1_5041-.Lpost_getpc1372)&4294967295
	s_addc_u32 s15, s15, (.LBB1_5041-.Lpost_getpc1372)>>32
	s_setpc_b64 s[14:15]
.LBB1_945:
	s_or_saveexec_b64 s[6:7], s[6:7]
	v_mov_b32_e32 v12, s10
	s_xor_b64 exec, exec, s[6:7]
	s_cbranch_execz .LBB1_946
; %bb.10939:
	s_getpc_b64 s[14:15]
.Lpost_getpc1373:
	s_add_u32 s14, s14, (.LBB1_5044-.Lpost_getpc1373)&4294967295
	s_addc_u32 s15, s15, (.LBB1_5044-.Lpost_getpc1373)>>32
	s_setpc_b64 s[14:15]
.LBB1_946:
	s_or_b64 exec, exec, s[6:7]
	s_and_saveexec_b64 s[6:7], s[4:5]
	s_cbranch_execz .LBB1_948
.LBB1_947:
	v_bfe_u32 v12, v17, 16, 3
	v_ffbh_u32_e32 v22, v12
	v_min_u32_e32 v22, 32, v22
	v_lshrrev_b32_e32 v16, 19, v17
	v_subrev_u32_e32 v23, 28, v22
	v_and_b32_e32 v16, 15, v16
	v_lshlrev_b32_sdwa v23, v23, v17 dst_sel:DWORD dst_unused:UNUSED_PAD src0_sel:DWORD src1_sel:WORD_1
	v_bfe_u32 v21, v17, 19, 4
	v_sub_u32_e32 v22, 29, v22
	v_and_b32_e32 v23, 7, v23
	v_cmp_eq_u16_e32 vcc, 0, v16
	v_cndmask_b32_e32 v12, v12, v23, vcc
	v_cndmask_b32_e32 v16, v21, v22, vcc
	v_lshlrev_b32_e32 v21, 8, v17
	v_mov_b32_e32 v22, 0x3b800000
	v_lshlrev_b32_e32 v12, 20, v12
	v_and_b32_e32 v21, 0x80000000, v21
	v_lshl_add_u32 v16, v16, 23, v22
	v_or3_b32 v12, v21, v16, v12
.LBB1_948:
	s_or_b64 exec, exec, s[6:7]
	s_movk_i32 s4, 0xff
	v_and_b32_sdwa v16, v13, s4 dst_sel:DWORD dst_unused:UNUSED_PAD src0_sel:WORD_1 src1_sel:DWORD
	s_movk_i32 s4, 0x7f
	v_cmp_lt_i16_e32 vcc, s4, v16
	s_mov_b64 s[4:5], 0
                                        ; implicit-def: $sgpr10
	s_and_saveexec_b64 s[6:7], vcc
	s_xor_b64 s[6:7], exec, s[6:7]
	s_cbranch_execz .LBB1_949
; %bb.10941:
	s_getpc_b64 s[14:15]
.Lpost_getpc1374:
	s_add_u32 s14, s14, (.LBB1_5045-.Lpost_getpc1374)&4294967295
	s_addc_u32 s15, s15, (.LBB1_5045-.Lpost_getpc1374)>>32
	s_setpc_b64 s[14:15]
.LBB1_949:
	s_or_saveexec_b64 s[6:7], s[6:7]
	v_mov_b32_e32 v21, s10
	s_xor_b64 exec, exec, s[6:7]
	s_cbranch_execz .LBB1_950
; %bb.10943:
	s_getpc_b64 s[14:15]
.Lpost_getpc1375:
	s_add_u32 s14, s14, (.LBB1_5048-.Lpost_getpc1375)&4294967295
	s_addc_u32 s15, s15, (.LBB1_5048-.Lpost_getpc1375)>>32
	s_setpc_b64 s[14:15]
.LBB1_950:
	s_or_b64 exec, exec, s[6:7]
	s_and_saveexec_b64 s[6:7], s[4:5]
	s_cbranch_execz .LBB1_952
.LBB1_951:
	v_bfe_u32 v16, v13, 16, 2
	v_ffbh_u32_e32 v23, v16
	v_min_u32_e32 v23, 32, v23
	v_lshrrev_b32_e32 v21, 18, v13
	v_subrev_u32_e32 v24, 29, v23
	v_and_b32_e32 v21, 31, v21
	v_lshlrev_b32_sdwa v24, v24, v13 dst_sel:DWORD dst_unused:UNUSED_PAD src0_sel:DWORD src1_sel:WORD_1
	v_bfe_u32 v22, v13, 18, 5
	v_sub_u32_e32 v23, 30, v23
	v_and_b32_e32 v24, 3, v24
	v_cmp_eq_u16_e32 vcc, 0, v21
	v_cndmask_b32_e32 v16, v16, v24, vcc
	v_cndmask_b32_e32 v21, v22, v23, vcc
	v_lshlrev_b32_e32 v22, 8, v13
	v_mov_b32_e32 v23, 0x37800000
	v_lshlrev_b32_e32 v16, 21, v16
	v_and_b32_e32 v22, 0x80000000, v22
	v_lshl_add_u32 v21, v21, 23, v23
	v_or3_b32 v21, v22, v21, v16
.LBB1_952:
	s_or_b64 exec, exec, s[6:7]
	s_nop 0
	v_mfma_f32_16x16x4f32 a[0:3], v12, v21, a[0:3]
	s_movk_i32 s4, 0x7f
	v_cmp_gt_i16_sdwa s[6:7], v17, s4 src0_sel:BYTE_3 src1_sel:DWORD
	s_mov_b64 s[4:5], 0
                                        ; implicit-def: $sgpr10
	s_and_saveexec_b64 s[8:9], s[6:7]
	s_xor_b64 s[6:7], exec, s[8:9]
	s_cbranch_execz .LBB1_953
; %bb.10945:
	s_getpc_b64 s[14:15]
.Lpost_getpc1376:
	s_add_u32 s14, s14, (.LBB1_5049-.Lpost_getpc1376)&4294967295
	s_addc_u32 s15, s15, (.LBB1_5049-.Lpost_getpc1376)>>32
	s_setpc_b64 s[14:15]
.LBB1_953:
	s_or_saveexec_b64 s[6:7], s[6:7]
	v_mov_b32_e32 v12, s10
	s_xor_b64 exec, exec, s[6:7]
	s_cbranch_execz .LBB1_954
; %bb.10947:
	s_getpc_b64 s[14:15]
.Lpost_getpc1377:
	s_add_u32 s14, s14, (.LBB1_5052-.Lpost_getpc1377)&4294967295
	s_addc_u32 s15, s15, (.LBB1_5052-.Lpost_getpc1377)>>32
	s_setpc_b64 s[14:15]
.LBB1_954:
	s_or_b64 exec, exec, s[6:7]
	s_and_saveexec_b64 s[6:7], s[4:5]
	s_cbranch_execz .LBB1_956
.LBB1_955:
	v_bfe_u32 v12, v17, 24, 3
	v_ffbh_u32_e32 v23, v12
	v_min_u32_e32 v23, 32, v23
	v_lshrrev_b32_e32 v21, 27, v17
	v_subrev_u32_e32 v24, 28, v23
	v_and_b32_e32 v16, 0x80000000, v17
	v_and_b32_e32 v21, 15, v21
	v_bfe_u32 v22, v17, 27, 4
	v_lshlrev_b32_sdwa v17, v24, v17 dst_sel:DWORD dst_unused:UNUSED_PAD src0_sel:DWORD src1_sel:BYTE_3
	v_sub_u32_e32 v23, 29, v23
	v_and_b32_e32 v17, 7, v17
	v_cmp_eq_u16_e32 vcc, 0, v21
	v_cndmask_b32_e32 v12, v12, v17, vcc
	v_cndmask_b32_e32 v17, v22, v23, vcc
	v_mov_b32_e32 v21, 0x3b800000
	v_lshlrev_b32_e32 v12, 20, v12
	v_lshl_add_u32 v17, v17, 23, v21
	v_or3_b32 v12, v16, v17, v12
.LBB1_956:
	s_or_b64 exec, exec, s[6:7]
	s_movk_i32 s4, 0x7f
	v_cmp_gt_i16_sdwa s[6:7], v13, s4 src0_sel:BYTE_3 src1_sel:DWORD
	s_mov_b64 s[4:5], 0
                                        ; implicit-def: $sgpr10
	s_and_saveexec_b64 s[8:9], s[6:7]
	s_xor_b64 s[6:7], exec, s[8:9]
	s_cbranch_execz .LBB1_957
; %bb.10949:
	s_getpc_b64 s[14:15]
.Lpost_getpc1378:
	s_add_u32 s14, s14, (.LBB1_5053-.Lpost_getpc1378)&4294967295
	s_addc_u32 s15, s15, (.LBB1_5053-.Lpost_getpc1378)>>32
	s_setpc_b64 s[14:15]
.LBB1_957:
	s_or_saveexec_b64 s[6:7], s[6:7]
	v_mov_b32_e32 v16, s10
	s_xor_b64 exec, exec, s[6:7]
	s_cbranch_execz .LBB1_958
; %bb.10951:
	s_getpc_b64 s[14:15]
.Lpost_getpc1379:
	s_add_u32 s14, s14, (.LBB1_5056-.Lpost_getpc1379)&4294967295
	s_addc_u32 s15, s15, (.LBB1_5056-.Lpost_getpc1379)>>32
	s_setpc_b64 s[14:15]
.LBB1_958:
	s_or_b64 exec, exec, s[6:7]
	s_and_saveexec_b64 s[6:7], s[4:5]
	s_cbranch_execz .LBB1_960
.LBB1_959:
	v_bfe_u32 v16, v13, 24, 2
	v_ffbh_u32_e32 v23, v16
	v_min_u32_e32 v23, 32, v23
	v_lshrrev_b32_e32 v21, 26, v13
	v_subrev_u32_e32 v24, 29, v23
	v_and_b32_e32 v17, 0x80000000, v13
	v_and_b32_e32 v21, 31, v21
	v_bfe_u32 v22, v13, 26, 5
	v_lshlrev_b32_sdwa v13, v24, v13 dst_sel:DWORD dst_unused:UNUSED_PAD src0_sel:DWORD src1_sel:BYTE_3
	v_sub_u32_e32 v23, 30, v23
	v_and_b32_e32 v13, 3, v13
	v_cmp_eq_u16_e32 vcc, 0, v21
	v_cndmask_b32_e32 v13, v16, v13, vcc
	v_cndmask_b32_e32 v16, v22, v23, vcc
	v_mov_b32_e32 v21, 0x37800000
	v_lshlrev_b32_e32 v13, 21, v13
	v_lshl_add_u32 v16, v16, 23, v21
	v_or3_b32 v16, v17, v16, v13
.LBB1_960:
	s_or_b64 exec, exec, s[6:7]
	s_nop 0
	v_mfma_f32_16x16x4f32 a[0:3], v12, v16, a[0:3]
	s_movk_i32 s4, 0x7f
	v_cmp_gt_i16_sdwa s[6:7], v18, s4 src0_sel:BYTE_0 src1_sel:DWORD
	s_mov_b64 s[4:5], 0
                                        ; implicit-def: $sgpr10
	s_and_saveexec_b64 s[8:9], s[6:7]
	s_xor_b64 s[6:7], exec, s[8:9]
	s_cbranch_execz .LBB1_961
; %bb.10953:
	s_getpc_b64 s[14:15]
.Lpost_getpc1380:
	s_add_u32 s14, s14, (.LBB1_5057-.Lpost_getpc1380)&4294967295
	s_addc_u32 s15, s15, (.LBB1_5057-.Lpost_getpc1380)>>32
	s_setpc_b64 s[14:15]
.LBB1_961:
	s_or_saveexec_b64 s[6:7], s[6:7]
	v_mov_b32_e32 v13, s10
	s_xor_b64 exec, exec, s[6:7]
	s_cbranch_execz .LBB1_962
; %bb.10955:
	s_getpc_b64 s[14:15]
.Lpost_getpc1381:
	s_add_u32 s14, s14, (.LBB1_5060-.Lpost_getpc1381)&4294967295
	s_addc_u32 s15, s15, (.LBB1_5060-.Lpost_getpc1381)>>32
	s_setpc_b64 s[14:15]
.LBB1_962:
	s_or_b64 exec, exec, s[6:7]
	s_and_saveexec_b64 s[6:7], s[4:5]
	s_cbranch_execz .LBB1_964
.LBB1_963:
	v_and_b32_e32 v12, 7, v18
	v_ffbh_u32_e32 v16, v12
	v_min_u32_e32 v16, 32, v16
	v_lshrrev_b16_e32 v13, 3, v18
	v_subrev_u32_e32 v17, 28, v16
	v_and_b32_e32 v13, 15, v13
	v_lshlrev_b32_e32 v17, v17, v18
	v_sub_u32_e32 v16, 29, v16
	v_and_b32_e32 v17, 7, v17
	v_cmp_eq_u16_e32 vcc, 0, v13
	v_cndmask_b32_e32 v12, v12, v17, vcc
	v_cndmask_b32_e32 v13, v13, v16, vcc
	v_lshlrev_b32_e32 v16, 24, v18
	v_mov_b32_e32 v17, 0x3b800000
	v_lshlrev_b32_e32 v12, 20, v12
	v_and_b32_e32 v16, 0x80000000, v16
	v_lshl_add_u32 v13, v13, 23, v17
	v_or3_b32 v13, v16, v13, v12
.LBB1_964:
	s_or_b64 exec, exec, s[6:7]
	s_movk_i32 s4, 0xff
	v_mov_b32_e32 v12, 8
	v_or_b32_sdwa v16, v14, v20 dst_sel:DWORD dst_unused:UNUSED_PAD src0_sel:BYTE_0 src1_sel:DWORD
	v_lshlrev_b16_sdwa v12, v12, v14 dst_sel:DWORD dst_unused:UNUSED_PAD src0_sel:DWORD src1_sel:BYTE_3
	v_and_b32_sdwa v14, v14, s4 dst_sel:DWORD dst_unused:UNUSED_PAD src0_sel:WORD_1 src1_sel:DWORD
	s_movk_i32 s4, 0x7f
	v_or_b32_sdwa v12, v14, v12 dst_sel:WORD_1 dst_unused:UNUSED_PAD src0_sel:DWORD src1_sel:DWORD
	v_cmp_gt_i16_sdwa s[6:7], v16, s4 src0_sel:BYTE_0 src1_sel:DWORD
	s_mov_b64 s[4:5], 0
                                        ; implicit-def: $sgpr10
	s_and_saveexec_b64 s[8:9], s[6:7]
	s_xor_b64 s[6:7], exec, s[8:9]
	s_cbranch_execz .LBB1_965
; %bb.10957:
	s_getpc_b64 s[14:15]
.Lpost_getpc1382:
	s_add_u32 s14, s14, (.LBB1_5061-.Lpost_getpc1382)&4294967295
	s_addc_u32 s15, s15, (.LBB1_5061-.Lpost_getpc1382)>>32
	s_setpc_b64 s[14:15]
.LBB1_965:
	s_or_saveexec_b64 s[6:7], s[6:7]
	v_mov_b32_e32 v14, s10
	s_xor_b64 exec, exec, s[6:7]
	s_cbranch_execz .LBB1_966
; %bb.10959:
	s_getpc_b64 s[14:15]
.Lpost_getpc1383:
	s_add_u32 s14, s14, (.LBB1_5064-.Lpost_getpc1383)&4294967295
	s_addc_u32 s15, s15, (.LBB1_5064-.Lpost_getpc1383)>>32
	s_setpc_b64 s[14:15]
.LBB1_966:
	s_or_b64 exec, exec, s[6:7]
	v_or_b32_sdwa v12, v16, v12 dst_sel:DWORD dst_unused:UNUSED_PAD src0_sel:WORD_0 src1_sel:DWORD
	s_and_saveexec_b64 s[6:7], s[4:5]
	s_cbranch_execz .LBB1_968
.LBB1_967:
	v_and_b32_e32 v14, 3, v12
	v_ffbh_u32_e32 v17, v14
	v_min_u32_e32 v17, 32, v17
	v_lshrrev_b16_e32 v16, 2, v16
	v_subrev_u32_e32 v20, 29, v17
	v_and_b32_e32 v16, 31, v16
	v_lshlrev_b32_e32 v20, v20, v12
	v_sub_u32_e32 v17, 30, v17
	v_and_b32_e32 v20, 3, v20
	v_cmp_eq_u16_e32 vcc, 0, v16
	v_cndmask_b32_e32 v14, v14, v20, vcc
	v_cndmask_b32_e32 v16, v16, v17, vcc
	v_lshlrev_b32_e32 v17, 24, v12
	v_mov_b32_e32 v20, 0x37800000
	v_lshlrev_b32_e32 v14, 21, v14
	v_and_b32_e32 v17, 0x80000000, v17
	v_lshl_add_u32 v16, v16, 23, v20
	v_or3_b32 v14, v17, v16, v14
.LBB1_968:
	s_or_b64 exec, exec, s[6:7]
	s_nop 0
	v_mfma_f32_16x16x4f32 a[0:3], v13, v14, a[0:3]
	v_lshrrev_b32_e32 v14, 8, v18
	s_movk_i32 s4, 0x7f
	v_cmp_gt_i16_sdwa s[6:7], v14, s4 src0_sel:BYTE_0 src1_sel:DWORD
	s_mov_b64 s[4:5], 0
                                        ; implicit-def: $sgpr10
	s_and_saveexec_b64 s[8:9], s[6:7]
	s_xor_b64 s[6:7], exec, s[8:9]
	s_cbranch_execz .LBB1_969
; %bb.10961:
	s_getpc_b64 s[14:15]
.Lpost_getpc1384:
	s_add_u32 s14, s14, (.LBB1_5065-.Lpost_getpc1384)&4294967295
	s_addc_u32 s15, s15, (.LBB1_5065-.Lpost_getpc1384)>>32
	s_setpc_b64 s[14:15]
.LBB1_969:
	s_or_saveexec_b64 s[6:7], s[6:7]
	v_mov_b32_e32 v13, s10
	s_xor_b64 exec, exec, s[6:7]
	s_cbranch_execz .LBB1_970
; %bb.10963:
	s_getpc_b64 s[14:15]
.Lpost_getpc1385:
	s_add_u32 s14, s14, (.LBB1_5068-.Lpost_getpc1385)&4294967295
	s_addc_u32 s15, s15, (.LBB1_5068-.Lpost_getpc1385)>>32
	s_setpc_b64 s[14:15]
.LBB1_970:
	s_or_b64 exec, exec, s[6:7]
	s_and_saveexec_b64 s[6:7], s[4:5]
	s_cbranch_execz .LBB1_972
.LBB1_971:
	v_bfe_u32 v13, v18, 8, 3
	v_ffbh_u32_e32 v17, v13
	v_min_u32_e32 v17, 32, v17
	v_lshrrev_b16_e32 v16, 3, v14
	v_subrev_u32_e32 v20, 28, v17
	v_and_b32_e32 v16, 15, v16
	v_lshlrev_b32_e32 v14, v20, v14
	v_sub_u32_e32 v17, 29, v17
	v_and_b32_e32 v14, 7, v14
	v_cmp_eq_u16_e32 vcc, 0, v16
	v_cndmask_b32_e32 v13, v13, v14, vcc
	v_cndmask_b32_e32 v14, v16, v17, vcc
	v_lshlrev_b32_e32 v16, 16, v18
	v_mov_b32_e32 v17, 0x3b800000
	v_lshlrev_b32_e32 v13, 20, v13
	v_and_b32_e32 v16, 0x80000000, v16
	v_lshl_add_u32 v14, v14, 23, v17
	v_or3_b32 v13, v16, v14, v13
.LBB1_972:
	s_or_b64 exec, exec, s[6:7]
	v_lshrrev_b32_e32 v14, 8, v12
	s_movk_i32 s4, 0x7f
	v_cmp_gt_i16_sdwa s[6:7], v14, s4 src0_sel:BYTE_0 src1_sel:DWORD
	s_mov_b64 s[4:5], 0
                                        ; implicit-def: $sgpr10
	s_and_saveexec_b64 s[8:9], s[6:7]
	s_xor_b64 s[6:7], exec, s[8:9]
	s_cbranch_execz .LBB1_973
; %bb.10965:
	s_getpc_b64 s[14:15]
.Lpost_getpc1386:
	s_add_u32 s14, s14, (.LBB1_5069-.Lpost_getpc1386)&4294967295
	s_addc_u32 s15, s15, (.LBB1_5069-.Lpost_getpc1386)>>32
	s_setpc_b64 s[14:15]
.LBB1_973:
	s_or_saveexec_b64 s[6:7], s[6:7]
	v_mov_b32_e32 v16, s10
	s_xor_b64 exec, exec, s[6:7]
	s_cbranch_execz .LBB1_974
; %bb.10967:
	s_getpc_b64 s[14:15]
.Lpost_getpc1387:
	s_add_u32 s14, s14, (.LBB1_5072-.Lpost_getpc1387)&4294967295
	s_addc_u32 s15, s15, (.LBB1_5072-.Lpost_getpc1387)>>32
	s_setpc_b64 s[14:15]
.LBB1_974:
	s_or_b64 exec, exec, s[6:7]
	s_and_saveexec_b64 s[6:7], s[4:5]
	s_cbranch_execz .LBB1_976
.LBB1_975:
	v_bfe_u32 v16, v12, 8, 2
	v_ffbh_u32_e32 v20, v16
	v_min_u32_e32 v20, 32, v20
	v_lshrrev_b16_e32 v17, 2, v14
	v_subrev_u32_e32 v21, 29, v20
	v_and_b32_e32 v17, 31, v17
	v_lshlrev_b32_e32 v14, v21, v14
	v_sub_u32_e32 v20, 30, v20
	v_and_b32_e32 v14, 3, v14
	v_cmp_eq_u16_e32 vcc, 0, v17
	v_cndmask_b32_e32 v14, v16, v14, vcc
	v_cndmask_b32_e32 v16, v17, v20, vcc
	v_lshlrev_b32_e32 v17, 16, v12
	v_mov_b32_e32 v20, 0x37800000
	v_lshlrev_b32_e32 v14, 21, v14
	v_and_b32_e32 v17, 0x80000000, v17
	v_lshl_add_u32 v16, v16, 23, v20
	v_or3_b32 v16, v17, v16, v14
.LBB1_976:
	s_or_b64 exec, exec, s[6:7]
	s_nop 0
	v_mfma_f32_16x16x4f32 a[0:3], v13, v16, a[0:3]
	s_movk_i32 s4, 0xff
	v_and_b32_sdwa v14, v18, s4 dst_sel:DWORD dst_unused:UNUSED_PAD src0_sel:WORD_1 src1_sel:DWORD
	s_movk_i32 s4, 0x7f
	v_cmp_lt_i16_e32 vcc, s4, v14
	s_mov_b64 s[4:5], 0
                                        ; implicit-def: $sgpr10
	s_and_saveexec_b64 s[6:7], vcc
	s_xor_b64 s[6:7], exec, s[6:7]
	s_cbranch_execz .LBB1_977
; %bb.10969:
	s_getpc_b64 s[14:15]
.Lpost_getpc1388:
	s_add_u32 s14, s14, (.LBB1_5073-.Lpost_getpc1388)&4294967295
	s_addc_u32 s15, s15, (.LBB1_5073-.Lpost_getpc1388)>>32
	s_setpc_b64 s[14:15]
.LBB1_977:
	s_or_saveexec_b64 s[6:7], s[6:7]
	v_mov_b32_e32 v13, s10
	s_xor_b64 exec, exec, s[6:7]
	s_cbranch_execz .LBB1_978
; %bb.10971:
	s_getpc_b64 s[14:15]
.Lpost_getpc1389:
	s_add_u32 s14, s14, (.LBB1_5076-.Lpost_getpc1389)&4294967295
	s_addc_u32 s15, s15, (.LBB1_5076-.Lpost_getpc1389)>>32
	s_setpc_b64 s[14:15]
.LBB1_978:
	s_or_b64 exec, exec, s[6:7]
	s_and_saveexec_b64 s[6:7], s[4:5]
	s_cbranch_execz .LBB1_980
.LBB1_979:
	v_bfe_u32 v13, v18, 16, 3
	v_ffbh_u32_e32 v17, v13
	v_min_u32_e32 v17, 32, v17
	v_lshrrev_b32_e32 v14, 19, v18
	v_subrev_u32_e32 v20, 28, v17
	v_and_b32_e32 v14, 15, v14
	v_lshlrev_b32_sdwa v20, v20, v18 dst_sel:DWORD dst_unused:UNUSED_PAD src0_sel:DWORD src1_sel:WORD_1
	v_bfe_u32 v16, v18, 19, 4
	v_sub_u32_e32 v17, 29, v17
	v_and_b32_e32 v20, 7, v20
	v_cmp_eq_u16_e32 vcc, 0, v14
	v_cndmask_b32_e32 v13, v13, v20, vcc
	v_cndmask_b32_e32 v14, v16, v17, vcc
	v_lshlrev_b32_e32 v16, 8, v18
	v_mov_b32_e32 v17, 0x3b800000
	v_lshlrev_b32_e32 v13, 20, v13
	v_and_b32_e32 v16, 0x80000000, v16
	v_lshl_add_u32 v14, v14, 23, v17
	v_or3_b32 v13, v16, v14, v13
.LBB1_980:
	s_or_b64 exec, exec, s[6:7]
	s_movk_i32 s4, 0xff
	v_and_b32_sdwa v14, v12, s4 dst_sel:DWORD dst_unused:UNUSED_PAD src0_sel:WORD_1 src1_sel:DWORD
	s_movk_i32 s4, 0x7f
	v_cmp_lt_i16_e32 vcc, s4, v14
	s_mov_b64 s[4:5], 0
                                        ; implicit-def: $sgpr10
	s_and_saveexec_b64 s[6:7], vcc
	s_xor_b64 s[6:7], exec, s[6:7]
	s_cbranch_execz .LBB1_981
; %bb.10973:
	s_getpc_b64 s[14:15]
.Lpost_getpc1390:
	s_add_u32 s14, s14, (.LBB1_5077-.Lpost_getpc1390)&4294967295
	s_addc_u32 s15, s15, (.LBB1_5077-.Lpost_getpc1390)>>32
	s_setpc_b64 s[14:15]
.LBB1_981:
	s_or_saveexec_b64 s[6:7], s[6:7]
	v_mov_b32_e32 v16, s10
	s_xor_b64 exec, exec, s[6:7]
	s_cbranch_execz .LBB1_982
; %bb.10975:
	s_getpc_b64 s[14:15]
.Lpost_getpc1391:
	s_add_u32 s14, s14, (.LBB1_5080-.Lpost_getpc1391)&4294967295
	s_addc_u32 s15, s15, (.LBB1_5080-.Lpost_getpc1391)>>32
	s_setpc_b64 s[14:15]
.LBB1_982:
	s_or_b64 exec, exec, s[6:7]
	s_and_saveexec_b64 s[6:7], s[4:5]
	s_cbranch_execz .LBB1_984
.LBB1_983:
	v_bfe_u32 v14, v12, 16, 2
	v_ffbh_u32_e32 v20, v14
	v_min_u32_e32 v20, 32, v20
	v_lshrrev_b32_e32 v16, 18, v12
	v_subrev_u32_e32 v21, 29, v20
	v_and_b32_e32 v16, 31, v16
	v_lshlrev_b32_sdwa v21, v21, v12 dst_sel:DWORD dst_unused:UNUSED_PAD src0_sel:DWORD src1_sel:WORD_1
	v_bfe_u32 v17, v12, 18, 5
	v_sub_u32_e32 v20, 30, v20
	v_and_b32_e32 v21, 3, v21
	v_cmp_eq_u16_e32 vcc, 0, v16
	v_cndmask_b32_e32 v14, v14, v21, vcc
	v_cndmask_b32_e32 v16, v17, v20, vcc
	v_lshlrev_b32_e32 v17, 8, v12
	v_mov_b32_e32 v20, 0x37800000
	v_lshlrev_b32_e32 v14, 21, v14
	v_and_b32_e32 v17, 0x80000000, v17
	v_lshl_add_u32 v16, v16, 23, v20
	v_or3_b32 v16, v17, v16, v14
.LBB1_984:
	s_or_b64 exec, exec, s[6:7]
	s_nop 0
	v_mfma_f32_16x16x4f32 a[0:3], v13, v16, a[0:3]
	s_movk_i32 s4, 0x7f
	v_cmp_gt_i16_sdwa s[6:7], v18, s4 src0_sel:BYTE_3 src1_sel:DWORD
	s_mov_b64 s[4:5], 0
                                        ; implicit-def: $sgpr10
	s_and_saveexec_b64 s[8:9], s[6:7]
	s_xor_b64 s[6:7], exec, s[8:9]
	s_cbranch_execz .LBB1_985
; %bb.10977:
	s_getpc_b64 s[14:15]
.Lpost_getpc1392:
	s_add_u32 s14, s14, (.LBB1_5081-.Lpost_getpc1392)&4294967295
	s_addc_u32 s15, s15, (.LBB1_5081-.Lpost_getpc1392)>>32
	s_setpc_b64 s[14:15]
.LBB1_985:
	s_or_saveexec_b64 s[6:7], s[6:7]
	v_mov_b32_e32 v13, s10
	s_xor_b64 exec, exec, s[6:7]
	s_cbranch_execz .LBB1_986
; %bb.10979:
	s_getpc_b64 s[14:15]
.Lpost_getpc1393:
	s_add_u32 s14, s14, (.LBB1_5084-.Lpost_getpc1393)&4294967295
	s_addc_u32 s15, s15, (.LBB1_5084-.Lpost_getpc1393)>>32
	s_setpc_b64 s[14:15]
.LBB1_986:
	s_or_b64 exec, exec, s[6:7]
	s_and_saveexec_b64 s[6:7], s[4:5]
	s_cbranch_execz .LBB1_988
.LBB1_987:
	v_bfe_u32 v13, v18, 24, 3
	v_ffbh_u32_e32 v20, v13
	v_min_u32_e32 v20, 32, v20
	v_lshrrev_b32_e32 v16, 27, v18
	v_subrev_u32_e32 v21, 28, v20
	v_and_b32_e32 v14, 0x80000000, v18
	v_and_b32_e32 v16, 15, v16
	v_bfe_u32 v17, v18, 27, 4
	v_lshlrev_b32_sdwa v18, v21, v18 dst_sel:DWORD dst_unused:UNUSED_PAD src0_sel:DWORD src1_sel:BYTE_3
	v_sub_u32_e32 v20, 29, v20
	v_and_b32_e32 v18, 7, v18
	v_cmp_eq_u16_e32 vcc, 0, v16
	v_cndmask_b32_e32 v13, v13, v18, vcc
	v_cndmask_b32_e32 v16, v17, v20, vcc
	v_mov_b32_e32 v17, 0x3b800000
	v_lshlrev_b32_e32 v13, 20, v13
	v_lshl_add_u32 v16, v16, 23, v17
	v_or3_b32 v13, v14, v16, v13
.LBB1_988:
	s_or_b64 exec, exec, s[6:7]
	s_movk_i32 s4, 0x7f
	v_cmp_gt_i16_sdwa s[6:7], v12, s4 src0_sel:BYTE_3 src1_sel:DWORD
	s_mov_b64 s[4:5], 0
                                        ; implicit-def: $sgpr10
	s_and_saveexec_b64 s[8:9], s[6:7]
	s_xor_b64 s[6:7], exec, s[8:9]
	s_cbranch_execz .LBB1_989
; %bb.10981:
	s_getpc_b64 s[14:15]
.Lpost_getpc1394:
	s_add_u32 s14, s14, (.LBB1_5085-.Lpost_getpc1394)&4294967295
	s_addc_u32 s15, s15, (.LBB1_5085-.Lpost_getpc1394)>>32
	s_setpc_b64 s[14:15]
.LBB1_989:
	s_or_saveexec_b64 s[6:7], s[6:7]
	v_mov_b32_e32 v14, s10
	s_xor_b64 exec, exec, s[6:7]
	s_cbranch_execz .LBB1_990
; %bb.10983:
	s_getpc_b64 s[14:15]
.Lpost_getpc1395:
	s_add_u32 s14, s14, (.LBB1_5088-.Lpost_getpc1395)&4294967295
	s_addc_u32 s15, s15, (.LBB1_5088-.Lpost_getpc1395)>>32
	s_setpc_b64 s[14:15]
.LBB1_990:
	s_or_b64 exec, exec, s[6:7]
	s_and_saveexec_b64 s[6:7], s[4:5]
	s_cbranch_execz .LBB1_992
.LBB1_991:
	v_bfe_u32 v14, v12, 24, 2
	v_ffbh_u32_e32 v20, v14
	v_min_u32_e32 v20, 32, v20
	v_lshrrev_b32_e32 v17, 26, v12
	v_subrev_u32_e32 v21, 29, v20
	v_and_b32_e32 v16, 0x80000000, v12
	v_and_b32_e32 v17, 31, v17
	v_bfe_u32 v18, v12, 26, 5
	v_lshlrev_b32_sdwa v12, v21, v12 dst_sel:DWORD dst_unused:UNUSED_PAD src0_sel:DWORD src1_sel:BYTE_3
	v_sub_u32_e32 v20, 30, v20
	v_and_b32_e32 v12, 3, v12
	v_cmp_eq_u16_e32 vcc, 0, v17
	v_cndmask_b32_e32 v12, v14, v12, vcc
	v_cndmask_b32_e32 v14, v18, v20, vcc
	v_mov_b32_e32 v17, 0x37800000
	v_lshlrev_b32_e32 v12, 21, v12
	v_lshl_add_u32 v14, v14, 23, v17
	v_or3_b32 v14, v16, v14, v12
.LBB1_992:
	s_or_b64 exec, exec, s[6:7]
	s_nop 0
	v_mfma_f32_16x16x4f32 a[0:3], v13, v14, a[0:3]
	s_movk_i32 s4, 0x7f
	v_cmp_gt_i16_sdwa s[6:7], v19, s4 src0_sel:BYTE_0 src1_sel:DWORD
	s_mov_b64 s[4:5], 0
                                        ; implicit-def: $sgpr10
	s_and_saveexec_b64 s[8:9], s[6:7]
	s_xor_b64 s[6:7], exec, s[8:9]
	s_cbranch_execz .LBB1_993
; %bb.10985:
	s_getpc_b64 s[14:15]
.Lpost_getpc1396:
	s_add_u32 s14, s14, (.LBB1_5089-.Lpost_getpc1396)&4294967295
	s_addc_u32 s15, s15, (.LBB1_5089-.Lpost_getpc1396)>>32
	s_setpc_b64 s[14:15]
.LBB1_993:
	s_or_saveexec_b64 s[6:7], s[6:7]
	v_mov_b32_e32 v12, s10
	s_xor_b64 exec, exec, s[6:7]
	s_cbranch_execz .LBB1_994
; %bb.10987:
	s_getpc_b64 s[14:15]
.Lpost_getpc1397:
	s_add_u32 s14, s14, (.LBB1_5092-.Lpost_getpc1397)&4294967295
	s_addc_u32 s15, s15, (.LBB1_5092-.Lpost_getpc1397)>>32
	s_setpc_b64 s[14:15]
.LBB1_994:
	s_or_b64 exec, exec, s[6:7]
	s_and_saveexec_b64 s[6:7], s[4:5]
	s_cbranch_execz .LBB1_996
.LBB1_995:
	v_mov_b32_e32 v12, 8
	v_and_b32_e32 v13, 7, v19
	v_lshrrev_b32_sdwa v12, v12, v19 dst_sel:BYTE_1 dst_unused:UNUSED_PAD src0_sel:DWORD src1_sel:DWORD
	v_ffbh_u32_e32 v14, v13
	v_or_b32_sdwa v12, v19, v12 dst_sel:DWORD dst_unused:UNUSED_PAD src0_sel:BYTE_0 src1_sel:DWORD
	v_min_u32_e32 v14, 32, v14
	v_lshrrev_b16_e32 v12, 3, v12
	v_subrev_u32_e32 v16, 28, v14
	v_and_b32_e32 v12, 15, v12
	v_lshlrev_b32_e32 v16, v16, v19
	v_sub_u32_e32 v14, 29, v14
	v_and_b32_e32 v16, 7, v16
	v_cmp_eq_u16_e32 vcc, 0, v12
	v_cndmask_b32_e32 v13, v13, v16, vcc
	v_cndmask_b32_e32 v12, v12, v14, vcc
	v_lshlrev_b32_e32 v14, 24, v19
	v_mov_b32_e32 v16, 0x3b800000
	v_lshlrev_b32_e32 v13, 20, v13
	v_and_b32_e32 v14, 0x80000000, v14
	v_lshl_add_u32 v12, v12, 23, v16
	v_or3_b32 v12, v14, v12, v13
.LBB1_996:
	s_or_b64 exec, exec, s[6:7]
	s_movk_i32 s4, 0x7f
	v_cmp_gt_i16_sdwa s[6:7], v15, s4 src0_sel:BYTE_0 src1_sel:DWORD
	s_mov_b64 s[4:5], 0
                                        ; implicit-def: $sgpr10
	s_and_saveexec_b64 s[8:9], s[6:7]
	s_xor_b64 s[6:7], exec, s[8:9]
	s_cbranch_execz .LBB1_997
; %bb.10989:
	s_getpc_b64 s[14:15]
.Lpost_getpc1398:
	s_add_u32 s14, s14, (.LBB1_5093-.Lpost_getpc1398)&4294967295
	s_addc_u32 s15, s15, (.LBB1_5093-.Lpost_getpc1398)>>32
	s_setpc_b64 s[14:15]
.LBB1_997:
	s_or_saveexec_b64 s[6:7], s[6:7]
	v_mov_b32_e32 v13, s10
	s_xor_b64 exec, exec, s[6:7]
	s_cbranch_execz .LBB1_998
; %bb.10991:
	s_getpc_b64 s[14:15]
.Lpost_getpc1399:
	s_add_u32 s14, s14, (.LBB1_5096-.Lpost_getpc1399)&4294967295
	s_addc_u32 s15, s15, (.LBB1_5096-.Lpost_getpc1399)>>32
	s_setpc_b64 s[14:15]
.LBB1_998:
	s_or_b64 exec, exec, s[6:7]
	s_and_saveexec_b64 s[6:7], s[4:5]
	s_cbranch_execz .LBB1_1000
.LBB1_999:
	v_and_b32_e32 v13, 3, v15
	v_ffbh_u32_e32 v16, v13
	v_min_u32_e32 v16, 32, v16
	v_lshrrev_b16_e32 v14, 2, v15
	v_subrev_u32_e32 v17, 29, v16
	v_and_b32_e32 v14, 31, v14
	v_lshlrev_b32_e32 v17, v17, v15
	v_sub_u32_e32 v16, 30, v16
	v_and_b32_e32 v17, 3, v17
	v_cmp_eq_u16_e32 vcc, 0, v14
	v_cndmask_b32_e32 v13, v13, v17, vcc
	v_cndmask_b32_e32 v14, v14, v16, vcc
	v_lshlrev_b32_e32 v16, 24, v15
	v_mov_b32_e32 v17, 0x37800000
	v_lshlrev_b32_e32 v13, 21, v13
	v_and_b32_e32 v16, 0x80000000, v16
	v_lshl_add_u32 v14, v14, 23, v17
	v_or3_b32 v13, v16, v14, v13
.LBB1_1000:
	s_or_b64 exec, exec, s[6:7]
	s_nop 0
	v_mfma_f32_16x16x4f32 a[0:3], v12, v13, a[0:3]
	v_lshrrev_b32_e32 v13, 8, v19
	s_movk_i32 s4, 0x7f
	v_cmp_gt_i16_sdwa s[6:7], v13, s4 src0_sel:BYTE_0 src1_sel:DWORD
	s_mov_b64 s[4:5], 0
                                        ; implicit-def: $sgpr10
	s_and_saveexec_b64 s[8:9], s[6:7]
	s_xor_b64 s[6:7], exec, s[8:9]
	s_cbranch_execz .LBB1_1001
; %bb.10993:
	s_getpc_b64 s[14:15]
.Lpost_getpc1400:
	s_add_u32 s14, s14, (.LBB1_5097-.Lpost_getpc1400)&4294967295
	s_addc_u32 s15, s15, (.LBB1_5097-.Lpost_getpc1400)>>32
	s_setpc_b64 s[14:15]
.LBB1_1001:
	s_or_saveexec_b64 s[6:7], s[6:7]
	v_mov_b32_e32 v12, s10
	s_xor_b64 exec, exec, s[6:7]
	s_cbranch_execz .LBB1_1002
; %bb.10995:
	s_getpc_b64 s[14:15]
.Lpost_getpc1401:
	s_add_u32 s14, s14, (.LBB1_5100-.Lpost_getpc1401)&4294967295
	s_addc_u32 s15, s15, (.LBB1_5100-.Lpost_getpc1401)>>32
	s_setpc_b64 s[14:15]
.LBB1_1002:
	s_or_b64 exec, exec, s[6:7]
	s_and_saveexec_b64 s[6:7], s[4:5]
	s_cbranch_execz .LBB1_1004
.LBB1_1003:
	v_bfe_u32 v12, v19, 8, 3
	v_ffbh_u32_e32 v16, v12
	v_min_u32_e32 v16, 32, v16
	v_lshrrev_b16_e32 v14, 3, v13
	v_subrev_u32_e32 v17, 28, v16
	v_and_b32_e32 v14, 15, v14
	v_lshlrev_b32_e32 v13, v17, v13
	v_sub_u32_e32 v16, 29, v16
	v_and_b32_e32 v13, 7, v13
	v_cmp_eq_u16_e32 vcc, 0, v14
	v_cndmask_b32_e32 v12, v12, v13, vcc
	v_cndmask_b32_e32 v13, v14, v16, vcc
	v_lshlrev_b32_e32 v14, 16, v19
	v_mov_b32_e32 v16, 0x3b800000
	v_lshlrev_b32_e32 v12, 20, v12
	v_and_b32_e32 v14, 0x80000000, v14
	v_lshl_add_u32 v13, v13, 23, v16
	v_or3_b32 v12, v14, v13, v12
.LBB1_1004:
	s_or_b64 exec, exec, s[6:7]
	v_lshrrev_b32_e32 v13, 8, v15
	s_movk_i32 s4, 0x7f
	v_cmp_gt_i16_sdwa s[6:7], v13, s4 src0_sel:BYTE_0 src1_sel:DWORD
	s_mov_b64 s[4:5], 0
                                        ; implicit-def: $sgpr10
	s_and_saveexec_b64 s[8:9], s[6:7]
	s_xor_b64 s[6:7], exec, s[8:9]
	s_cbranch_execz .LBB1_1005
; %bb.10997:
	s_getpc_b64 s[14:15]
.Lpost_getpc1402:
	s_add_u32 s14, s14, (.LBB1_5101-.Lpost_getpc1402)&4294967295
	s_addc_u32 s15, s15, (.LBB1_5101-.Lpost_getpc1402)>>32
	s_setpc_b64 s[14:15]
.LBB1_1005:
	s_or_saveexec_b64 s[6:7], s[6:7]
	v_mov_b32_e32 v14, s10
	s_xor_b64 exec, exec, s[6:7]
	s_cbranch_execz .LBB1_1006
; %bb.10999:
	s_getpc_b64 s[14:15]
.Lpost_getpc1403:
	s_add_u32 s14, s14, (.LBB1_5104-.Lpost_getpc1403)&4294967295
	s_addc_u32 s15, s15, (.LBB1_5104-.Lpost_getpc1403)>>32
	s_setpc_b64 s[14:15]
.LBB1_1006:
	s_or_b64 exec, exec, s[6:7]
	s_and_saveexec_b64 s[6:7], s[4:5]
	s_cbranch_execz .LBB1_1008
.LBB1_1007:
	v_bfe_u32 v14, v15, 8, 2
	v_ffbh_u32_e32 v17, v14
	v_min_u32_e32 v17, 32, v17
	v_lshrrev_b16_e32 v16, 2, v13
	v_subrev_u32_e32 v18, 29, v17
	v_and_b32_e32 v16, 31, v16
	v_lshlrev_b32_e32 v13, v18, v13
	v_sub_u32_e32 v17, 30, v17
	v_and_b32_e32 v13, 3, v13
	v_cmp_eq_u16_e32 vcc, 0, v16
	v_cndmask_b32_e32 v13, v14, v13, vcc
	v_cndmask_b32_e32 v14, v16, v17, vcc
	v_lshlrev_b32_e32 v16, 16, v15
	v_mov_b32_e32 v17, 0x37800000
	v_lshlrev_b32_e32 v13, 21, v13
	v_and_b32_e32 v16, 0x80000000, v16
	v_lshl_add_u32 v14, v14, 23, v17
	v_or3_b32 v14, v16, v14, v13
.LBB1_1008:
	s_or_b64 exec, exec, s[6:7]
	s_nop 0
	v_mfma_f32_16x16x4f32 a[0:3], v12, v14, a[0:3]
	s_movk_i32 s4, 0xff
	v_and_b32_sdwa v13, v19, s4 dst_sel:DWORD dst_unused:UNUSED_PAD src0_sel:WORD_1 src1_sel:DWORD
	s_movk_i32 s4, 0x7f
	v_cmp_lt_i16_e32 vcc, s4, v13
	s_mov_b64 s[4:5], 0
                                        ; implicit-def: $sgpr10
	s_and_saveexec_b64 s[6:7], vcc
	s_xor_b64 s[6:7], exec, s[6:7]
	s_cbranch_execz .LBB1_1009
; %bb.11001:
	s_getpc_b64 s[14:15]
.Lpost_getpc1404:
	s_add_u32 s14, s14, (.LBB1_5105-.Lpost_getpc1404)&4294967295
	s_addc_u32 s15, s15, (.LBB1_5105-.Lpost_getpc1404)>>32
	s_setpc_b64 s[14:15]
.LBB1_1009:
	s_or_saveexec_b64 s[6:7], s[6:7]
	v_mov_b32_e32 v12, s10
	s_xor_b64 exec, exec, s[6:7]
	s_cbranch_execz .LBB1_1010
; %bb.11003:
	s_getpc_b64 s[14:15]
.Lpost_getpc1405:
	s_add_u32 s14, s14, (.LBB1_5108-.Lpost_getpc1405)&4294967295
	s_addc_u32 s15, s15, (.LBB1_5108-.Lpost_getpc1405)>>32
	s_setpc_b64 s[14:15]
.LBB1_1010:
	s_or_b64 exec, exec, s[6:7]
	s_and_saveexec_b64 s[6:7], s[4:5]
	s_cbranch_execz .LBB1_1012
.LBB1_1011:
	v_bfe_u32 v12, v19, 16, 3
	v_ffbh_u32_e32 v16, v12
	v_min_u32_e32 v16, 32, v16
	v_lshrrev_b32_e32 v13, 19, v19
	v_subrev_u32_e32 v17, 28, v16
	v_and_b32_e32 v13, 15, v13
	v_lshlrev_b32_sdwa v17, v17, v19 dst_sel:DWORD dst_unused:UNUSED_PAD src0_sel:DWORD src1_sel:WORD_1
	v_bfe_u32 v14, v19, 19, 4
	v_sub_u32_e32 v16, 29, v16
	v_and_b32_e32 v17, 7, v17
	v_cmp_eq_u16_e32 vcc, 0, v13
	v_cndmask_b32_e32 v12, v12, v17, vcc
	v_cndmask_b32_e32 v13, v14, v16, vcc
	v_lshlrev_b32_e32 v14, 8, v19
	v_mov_b32_e32 v16, 0x3b800000
	v_lshlrev_b32_e32 v12, 20, v12
	v_and_b32_e32 v14, 0x80000000, v14
	v_lshl_add_u32 v13, v13, 23, v16
	v_or3_b32 v12, v14, v13, v12
.LBB1_1012:
	s_or_b64 exec, exec, s[6:7]
	s_movk_i32 s4, 0xff
	v_and_b32_sdwa v13, v15, s4 dst_sel:DWORD dst_unused:UNUSED_PAD src0_sel:WORD_1 src1_sel:DWORD
	s_movk_i32 s4, 0x7f
	v_cmp_lt_i16_e32 vcc, s4, v13
	s_mov_b64 s[4:5], 0
                                        ; implicit-def: $sgpr10
	s_and_saveexec_b64 s[6:7], vcc
	s_xor_b64 s[6:7], exec, s[6:7]
	s_cbranch_execz .LBB1_1013
; %bb.11005:
	s_getpc_b64 s[14:15]
.Lpost_getpc1406:
	s_add_u32 s14, s14, (.LBB1_5109-.Lpost_getpc1406)&4294967295
	s_addc_u32 s15, s15, (.LBB1_5109-.Lpost_getpc1406)>>32
	s_setpc_b64 s[14:15]
.LBB1_1013:
	s_or_saveexec_b64 s[6:7], s[6:7]
	v_mov_b32_e32 v14, s10
	s_xor_b64 exec, exec, s[6:7]
	s_cbranch_execz .LBB1_1014
; %bb.11007:
	s_getpc_b64 s[14:15]
.Lpost_getpc1407:
	s_add_u32 s14, s14, (.LBB1_5112-.Lpost_getpc1407)&4294967295
	s_addc_u32 s15, s15, (.LBB1_5112-.Lpost_getpc1407)>>32
	s_setpc_b64 s[14:15]
.LBB1_1014:
	s_or_b64 exec, exec, s[6:7]
	s_and_saveexec_b64 s[6:7], s[4:5]
	s_cbranch_execz .LBB1_1016
.LBB1_1015:
	v_bfe_u32 v13, v15, 16, 2
	v_ffbh_u32_e32 v17, v13
	v_min_u32_e32 v17, 32, v17
	v_lshrrev_b32_e32 v14, 18, v15
	v_subrev_u32_e32 v18, 29, v17
	v_and_b32_e32 v14, 31, v14
	v_lshlrev_b32_sdwa v18, v18, v15 dst_sel:DWORD dst_unused:UNUSED_PAD src0_sel:DWORD src1_sel:WORD_1
	v_bfe_u32 v16, v15, 18, 5
	v_sub_u32_e32 v17, 30, v17
	v_and_b32_e32 v18, 3, v18
	v_cmp_eq_u16_e32 vcc, 0, v14
	v_cndmask_b32_e32 v13, v13, v18, vcc
	v_cndmask_b32_e32 v14, v16, v17, vcc
	v_lshlrev_b32_e32 v16, 8, v15
	v_mov_b32_e32 v17, 0x37800000
	v_lshlrev_b32_e32 v13, 21, v13
	v_and_b32_e32 v16, 0x80000000, v16
	v_lshl_add_u32 v14, v14, 23, v17
	v_or3_b32 v14, v16, v14, v13
.LBB1_1016:
	s_or_b64 exec, exec, s[6:7]
	s_nop 0
	v_mfma_f32_16x16x4f32 a[0:3], v12, v14, a[0:3]
	s_movk_i32 s4, 0x7f
	v_cmp_gt_i16_sdwa s[6:7], v19, s4 src0_sel:BYTE_3 src1_sel:DWORD
	s_mov_b64 s[4:5], 0
                                        ; implicit-def: $sgpr10
	s_and_saveexec_b64 s[8:9], s[6:7]
	s_xor_b64 s[6:7], exec, s[8:9]
	s_cbranch_execz .LBB1_1017
; %bb.11009:
	s_getpc_b64 s[14:15]
.Lpost_getpc1408:
	s_add_u32 s14, s14, (.LBB1_5113-.Lpost_getpc1408)&4294967295
	s_addc_u32 s15, s15, (.LBB1_5113-.Lpost_getpc1408)>>32
	s_setpc_b64 s[14:15]
.LBB1_1017:
	s_or_saveexec_b64 s[6:7], s[6:7]
	v_mov_b32_e32 v12, s10
	s_xor_b64 exec, exec, s[6:7]
	s_cbranch_execz .LBB1_1018
; %bb.11011:
	s_getpc_b64 s[14:15]
.Lpost_getpc1409:
	s_add_u32 s14, s14, (.LBB1_5116-.Lpost_getpc1409)&4294967295
	s_addc_u32 s15, s15, (.LBB1_5116-.Lpost_getpc1409)>>32
	s_setpc_b64 s[14:15]
.LBB1_1018:
	s_or_b64 exec, exec, s[6:7]
	s_and_saveexec_b64 s[6:7], s[4:5]
	s_cbranch_execz .LBB1_1020
.LBB1_1019:
	v_bfe_u32 v12, v19, 24, 3
	v_ffbh_u32_e32 v17, v12
	v_min_u32_e32 v17, 32, v17
	v_lshrrev_b32_e32 v14, 27, v19
	v_subrev_u32_e32 v18, 28, v17
	v_and_b32_e32 v14, 15, v14
	v_lshlrev_b32_sdwa v18, v18, v19 dst_sel:DWORD dst_unused:UNUSED_PAD src0_sel:DWORD src1_sel:BYTE_3
	v_bfe_u32 v16, v19, 27, 4
	v_sub_u32_e32 v17, 29, v17
	v_and_b32_e32 v18, 7, v18
	v_cmp_eq_u16_e32 vcc, 0, v14
	v_cndmask_b32_e32 v12, v12, v18, vcc
	v_cndmask_b32_e32 v14, v16, v17, vcc
	v_mov_b32_e32 v16, 0x3b800000
	v_and_b32_e32 v13, 0x80000000, v19
	v_lshlrev_b32_e32 v12, 20, v12
	v_lshl_add_u32 v14, v14, 23, v16
	v_or3_b32 v12, v13, v14, v12
.LBB1_1020:
	s_or_b64 exec, exec, s[6:7]
	s_movk_i32 s4, 0x7f
	v_cmp_gt_i16_sdwa s[6:7], v15, s4 src0_sel:BYTE_3 src1_sel:DWORD
	s_mov_b64 s[4:5], 0
                                        ; implicit-def: $sgpr10
	s_and_saveexec_b64 s[8:9], s[6:7]
	s_xor_b64 s[6:7], exec, s[8:9]
	s_cbranch_execz .LBB1_1021
; %bb.11013:
	s_getpc_b64 s[14:15]
.Lpost_getpc1410:
	s_add_u32 s14, s14, (.LBB1_5117-.Lpost_getpc1410)&4294967295
	s_addc_u32 s15, s15, (.LBB1_5117-.Lpost_getpc1410)>>32
	s_setpc_b64 s[14:15]
.LBB1_1021:
	s_or_saveexec_b64 s[6:7], s[6:7]
	v_mov_b32_e32 v13, s10
	s_xor_b64 exec, exec, s[6:7]
	s_cbranch_execz .LBB1_1022
; %bb.11015:
	s_getpc_b64 s[14:15]
.Lpost_getpc1411:
	s_add_u32 s14, s14, (.LBB1_5120-.Lpost_getpc1411)&4294967295
	s_addc_u32 s15, s15, (.LBB1_5120-.Lpost_getpc1411)>>32
	s_setpc_b64 s[14:15]
.LBB1_1022:
	s_or_b64 exec, exec, s[6:7]
	s_and_saveexec_b64 s[6:7], s[4:5]
	s_cbranch_execz .LBB1_1024
.LBB1_1023:
	v_bfe_u32 v13, v15, 24, 2
	v_ffbh_u32_e32 v18, v13
	v_min_u32_e32 v18, 32, v18
	v_lshrrev_b32_e32 v16, 26, v15
	v_subrev_u32_e32 v19, 29, v18
	v_and_b32_e32 v14, 0x80000000, v15
	v_and_b32_e32 v16, 31, v16
	v_bfe_u32 v17, v15, 26, 5
	v_lshlrev_b32_sdwa v15, v19, v15 dst_sel:DWORD dst_unused:UNUSED_PAD src0_sel:DWORD src1_sel:BYTE_3
	v_sub_u32_e32 v18, 30, v18
	v_and_b32_e32 v15, 3, v15
	v_cmp_eq_u16_e32 vcc, 0, v16
	v_cndmask_b32_e32 v13, v13, v15, vcc
	v_cndmask_b32_e32 v15, v17, v18, vcc
	v_mov_b32_e32 v16, 0x37800000
	v_lshlrev_b32_e32 v13, 21, v13
	v_lshl_add_u32 v15, v15, 23, v16
	v_or3_b32 v13, v14, v15, v13
.LBB1_1024:
	s_or_b64 exec, exec, s[6:7]
	s_nop 0
	v_mfma_f32_16x16x4f32 a[0:3], v12, v13, a[0:3]
	v_mov_b32_e32 v16, 8
	s_movk_i32 s4, 0x7f
                                        ; implicit-def: $sgpr10
	s_nop 7
	s_nop 0
	flat_store_dwordx4 v[10:11], a[0:3] offset:112
	flat_load_dword v14, v[0:1] offset:512
	flat_load_dwordx2 v[12:13], v[2:3]
	s_waitcnt vmcnt(0) lgkmcnt(0)
	v_ashrrev_i32_e32 v15, 31, v14
	v_add_co_u32_e32 v12, vcc, v12, v14
	v_addc_co_u32_e32 v13, vcc, v13, v15, vcc
	flat_load_dwordx4 v[12:15], v[12:13] offset:1024
	s_waitcnt vmcnt(0) lgkmcnt(0)
	flat_store_dwordx4 v[4:5], v[12:15]
	flat_load_dword v14, v[0:1] offset:544
	s_nop 0
	flat_load_dwordx2 v[12:13], v[6:7]
	s_waitcnt vmcnt(0) lgkmcnt(0)
	v_ashrrev_i32_e32 v15, 31, v14
	v_add_co_u32_e32 v12, vcc, v12, v14
	v_addc_co_u32_e32 v13, vcc, v13, v15, vcc
	flat_load_dwordx4 v[12:15], v[12:13]
	s_waitcnt vmcnt(0) lgkmcnt(0)
	v_lshrrev_b32_sdwa v20, v16, v14 dst_sel:BYTE_1 dst_unused:UNUSED_PAD src0_sel:DWORD src1_sel:DWORD
	flat_store_dwordx4 v[8:9], v[12:15]
	flat_load_dwordx4 v[16:19], v[4:5]
	s_waitcnt vmcnt(0) lgkmcnt(0)
	v_cmp_gt_i16_sdwa s[6:7], v16, s4 src0_sel:BYTE_0 src1_sel:DWORD
	s_mov_b64 s[4:5], 0
	s_and_saveexec_b64 s[8:9], s[6:7]
	s_xor_b64 s[6:7], exec, s[8:9]
	s_cbranch_execz .LBB1_1025
; %bb.11017:
	s_getpc_b64 s[14:15]
.Lpost_getpc1412:
	s_add_u32 s14, s14, (.LBB1_5121-.Lpost_getpc1412)&4294967295
	s_addc_u32 s15, s15, (.LBB1_5121-.Lpost_getpc1412)>>32
	s_setpc_b64 s[14:15]
.LBB1_1025:
	s_or_saveexec_b64 s[6:7], s[6:7]
	v_mov_b32_e32 v21, s10
	s_xor_b64 exec, exec, s[6:7]
	s_cbranch_execz .LBB1_1026
; %bb.11019:
	s_getpc_b64 s[14:15]
.Lpost_getpc1413:
	s_add_u32 s14, s14, (.LBB1_5124-.Lpost_getpc1413)&4294967295
	s_addc_u32 s15, s15, (.LBB1_5124-.Lpost_getpc1413)>>32
	s_setpc_b64 s[14:15]
.LBB1_1026:
	s_or_b64 exec, exec, s[6:7]
	s_and_saveexec_b64 s[6:7], s[4:5]
	s_cbranch_execz .LBB1_1028
.LBB1_1027:
	v_and_b32_e32 v21, 7, v16
	v_ffbh_u32_e32 v23, v21
	v_min_u32_e32 v23, 32, v23
	v_lshrrev_b16_e32 v22, 3, v16
	v_subrev_u32_e32 v24, 28, v23
	v_and_b32_e32 v22, 15, v22
	v_lshlrev_b32_e32 v24, v24, v16
	v_sub_u32_e32 v23, 29, v23
	v_and_b32_e32 v24, 7, v24
	v_cmp_eq_u16_e32 vcc, 0, v22
	v_cndmask_b32_e32 v21, v21, v24, vcc
	v_cndmask_b32_e32 v22, v22, v23, vcc
	v_lshlrev_b32_e32 v23, 24, v16
	v_mov_b32_e32 v24, 0x3b800000
	v_lshlrev_b32_e32 v21, 20, v21
	v_and_b32_e32 v23, 0x80000000, v23
	v_lshl_add_u32 v22, v22, 23, v24
	v_or3_b32 v21, v23, v22, v21
.LBB1_1028:
	s_or_b64 exec, exec, s[6:7]
	s_movk_i32 s4, 0x7f
	v_cmp_gt_i16_sdwa s[6:7], v12, s4 src0_sel:BYTE_0 src1_sel:DWORD
	s_mov_b64 s[4:5], 0
                                        ; implicit-def: $sgpr10
	s_and_saveexec_b64 s[8:9], s[6:7]
	s_xor_b64 s[6:7], exec, s[8:9]
	s_cbranch_execz .LBB1_1029
; %bb.11021:
	s_getpc_b64 s[14:15]
.Lpost_getpc1414:
	s_add_u32 s14, s14, (.LBB1_5125-.Lpost_getpc1414)&4294967295
	s_addc_u32 s15, s15, (.LBB1_5125-.Lpost_getpc1414)>>32
	s_setpc_b64 s[14:15]
.LBB1_1029:
	s_or_saveexec_b64 s[6:7], s[6:7]
	v_mov_b32_e32 v22, s10
	s_xor_b64 exec, exec, s[6:7]
	s_cbranch_execz .LBB1_1030
; %bb.11023:
	s_getpc_b64 s[14:15]
.Lpost_getpc1415:
	s_add_u32 s14, s14, (.LBB1_5128-.Lpost_getpc1415)&4294967295
	s_addc_u32 s15, s15, (.LBB1_5128-.Lpost_getpc1415)>>32
	s_setpc_b64 s[14:15]
.LBB1_1030:
	s_or_b64 exec, exec, s[6:7]
	s_and_saveexec_b64 s[6:7], s[4:5]
	s_cbranch_execz .LBB1_1032
.LBB1_1031:
	v_and_b32_e32 v22, 3, v12
	v_ffbh_u32_e32 v24, v22
	v_min_u32_e32 v24, 32, v24
	v_lshrrev_b16_e32 v23, 2, v12
	v_subrev_u32_e32 v25, 29, v24
	v_and_b32_e32 v23, 31, v23
	v_lshlrev_b32_e32 v25, v25, v12
	v_sub_u32_e32 v24, 30, v24
	v_and_b32_e32 v25, 3, v25
	v_cmp_eq_u16_e32 vcc, 0, v23
	v_cndmask_b32_e32 v22, v22, v25, vcc
	v_cndmask_b32_e32 v23, v23, v24, vcc
	v_lshlrev_b32_e32 v24, 24, v12
	v_mov_b32_e32 v25, 0x37800000
	v_lshlrev_b32_e32 v22, 21, v22
	v_and_b32_e32 v24, 0x80000000, v24
	v_lshl_add_u32 v23, v23, 23, v25
	v_or3_b32 v22, v24, v23, v22
.LBB1_1032:
	s_or_b64 exec, exec, s[6:7]
	flat_load_dwordx4 a[0:3], v[10:11] offset:128
	s_movk_i32 s4, 0x7f
                                        ; implicit-def: $sgpr10
	s_waitcnt vmcnt(0) lgkmcnt(0)
	v_mfma_f32_16x16x4f32 a[0:3], v21, v22, a[0:3]
	v_lshrrev_b32_e32 v22, 8, v16
	v_cmp_gt_i16_sdwa s[6:7], v22, s4 src0_sel:BYTE_0 src1_sel:DWORD
	s_mov_b64 s[4:5], 0
	s_and_saveexec_b64 s[8:9], s[6:7]
	s_xor_b64 s[6:7], exec, s[8:9]
	s_cbranch_execz .LBB1_1033
; %bb.11025:
	s_getpc_b64 s[14:15]
.Lpost_getpc1416:
	s_add_u32 s14, s14, (.LBB1_5129-.Lpost_getpc1416)&4294967295
	s_addc_u32 s15, s15, (.LBB1_5129-.Lpost_getpc1416)>>32
	s_setpc_b64 s[14:15]
.LBB1_1033:
	s_or_saveexec_b64 s[6:7], s[6:7]
	v_mov_b32_e32 v21, s10
	s_xor_b64 exec, exec, s[6:7]
	s_cbranch_execz .LBB1_1034
; %bb.11027:
	s_getpc_b64 s[14:15]
.Lpost_getpc1417:
	s_add_u32 s14, s14, (.LBB1_5132-.Lpost_getpc1417)&4294967295
	s_addc_u32 s15, s15, (.LBB1_5132-.Lpost_getpc1417)>>32
	s_setpc_b64 s[14:15]
.LBB1_1034:
	s_or_b64 exec, exec, s[6:7]
	s_and_saveexec_b64 s[6:7], s[4:5]
	s_cbranch_execz .LBB1_1036
.LBB1_1035:
	v_bfe_u32 v21, v16, 8, 3
	v_ffbh_u32_e32 v24, v21
	v_min_u32_e32 v24, 32, v24
	v_lshrrev_b16_e32 v23, 3, v22
	v_subrev_u32_e32 v25, 28, v24
	v_and_b32_e32 v23, 15, v23
	v_lshlrev_b32_e32 v22, v25, v22
	v_sub_u32_e32 v24, 29, v24
	v_and_b32_e32 v22, 7, v22
	v_cmp_eq_u16_e32 vcc, 0, v23
	v_cndmask_b32_e32 v21, v21, v22, vcc
	v_cndmask_b32_e32 v22, v23, v24, vcc
	v_lshlrev_b32_e32 v23, 16, v16
	v_mov_b32_e32 v24, 0x3b800000
	v_lshlrev_b32_e32 v21, 20, v21
	v_and_b32_e32 v23, 0x80000000, v23
	v_lshl_add_u32 v22, v22, 23, v24
	v_or3_b32 v21, v23, v22, v21
.LBB1_1036:
	s_or_b64 exec, exec, s[6:7]
	v_lshrrev_b32_e32 v22, 8, v12
	s_movk_i32 s4, 0x7f
	v_cmp_gt_i16_sdwa s[6:7], v22, s4 src0_sel:BYTE_0 src1_sel:DWORD
	s_mov_b64 s[4:5], 0
                                        ; implicit-def: $sgpr10
	s_and_saveexec_b64 s[8:9], s[6:7]
	s_xor_b64 s[6:7], exec, s[8:9]
	s_cbranch_execz .LBB1_1037
; %bb.11029:
	s_getpc_b64 s[14:15]
.Lpost_getpc1418:
	s_add_u32 s14, s14, (.LBB1_5133-.Lpost_getpc1418)&4294967295
	s_addc_u32 s15, s15, (.LBB1_5133-.Lpost_getpc1418)>>32
	s_setpc_b64 s[14:15]
.LBB1_1037:
	s_or_saveexec_b64 s[6:7], s[6:7]
	v_mov_b32_e32 v23, s10
	s_xor_b64 exec, exec, s[6:7]
	s_cbranch_execz .LBB1_1038
; %bb.11031:
	s_getpc_b64 s[14:15]
.Lpost_getpc1419:
	s_add_u32 s14, s14, (.LBB1_5136-.Lpost_getpc1419)&4294967295
	s_addc_u32 s15, s15, (.LBB1_5136-.Lpost_getpc1419)>>32
	s_setpc_b64 s[14:15]
.LBB1_1038:
	s_or_b64 exec, exec, s[6:7]
	s_and_saveexec_b64 s[6:7], s[4:5]
	s_cbranch_execz .LBB1_1040
.LBB1_1039:
	v_bfe_u32 v23, v12, 8, 2
	v_ffbh_u32_e32 v25, v23
	v_min_u32_e32 v25, 32, v25
	v_lshrrev_b16_e32 v24, 2, v22
	v_subrev_u32_e32 v26, 29, v25
	v_and_b32_e32 v24, 31, v24
	v_lshlrev_b32_e32 v22, v26, v22
	v_sub_u32_e32 v25, 30, v25
	v_and_b32_e32 v22, 3, v22
	v_cmp_eq_u16_e32 vcc, 0, v24
	v_cndmask_b32_e32 v22, v23, v22, vcc
	v_cndmask_b32_e32 v23, v24, v25, vcc
	v_lshlrev_b32_e32 v24, 16, v12
	v_mov_b32_e32 v25, 0x37800000
	v_lshlrev_b32_e32 v22, 21, v22
	v_and_b32_e32 v24, 0x80000000, v24
	v_lshl_add_u32 v23, v23, 23, v25
	v_or3_b32 v23, v24, v23, v22
.LBB1_1040:
	s_or_b64 exec, exec, s[6:7]
	s_nop 0
	v_mfma_f32_16x16x4f32 a[0:3], v21, v23, a[0:3]
	s_movk_i32 s4, 0xff
	v_and_b32_sdwa v22, v16, s4 dst_sel:DWORD dst_unused:UNUSED_PAD src0_sel:WORD_1 src1_sel:DWORD
	s_movk_i32 s4, 0x7f
	v_cmp_lt_i16_e32 vcc, s4, v22
	s_mov_b64 s[4:5], 0
                                        ; implicit-def: $sgpr10
	s_and_saveexec_b64 s[6:7], vcc
	s_xor_b64 s[6:7], exec, s[6:7]
	s_cbranch_execz .LBB1_1041
; %bb.11033:
	s_getpc_b64 s[14:15]
.Lpost_getpc1420:
	s_add_u32 s14, s14, (.LBB1_5137-.Lpost_getpc1420)&4294967295
	s_addc_u32 s15, s15, (.LBB1_5137-.Lpost_getpc1420)>>32
	s_setpc_b64 s[14:15]
.LBB1_1041:
	s_or_saveexec_b64 s[6:7], s[6:7]
	v_mov_b32_e32 v21, s10
	s_xor_b64 exec, exec, s[6:7]
	s_cbranch_execz .LBB1_1042
; %bb.11035:
	s_getpc_b64 s[14:15]
.Lpost_getpc1421:
	s_add_u32 s14, s14, (.LBB1_5140-.Lpost_getpc1421)&4294967295
	s_addc_u32 s15, s15, (.LBB1_5140-.Lpost_getpc1421)>>32
	s_setpc_b64 s[14:15]
.LBB1_1042:
	s_or_b64 exec, exec, s[6:7]
	s_and_saveexec_b64 s[6:7], s[4:5]
	s_cbranch_execz .LBB1_1044
.LBB1_1043:
	v_bfe_u32 v21, v16, 16, 3
	v_ffbh_u32_e32 v24, v21
	v_min_u32_e32 v24, 32, v24
	v_lshrrev_b32_e32 v22, 19, v16
	v_subrev_u32_e32 v25, 28, v24
	v_and_b32_e32 v22, 15, v22
	v_lshlrev_b32_sdwa v25, v25, v16 dst_sel:DWORD dst_unused:UNUSED_PAD src0_sel:DWORD src1_sel:WORD_1
	v_bfe_u32 v23, v16, 19, 4
	v_sub_u32_e32 v24, 29, v24
	v_and_b32_e32 v25, 7, v25
	v_cmp_eq_u16_e32 vcc, 0, v22
	v_cndmask_b32_e32 v21, v21, v25, vcc
	v_cndmask_b32_e32 v22, v23, v24, vcc
	v_lshlrev_b32_e32 v23, 8, v16
	v_mov_b32_e32 v24, 0x3b800000
	v_lshlrev_b32_e32 v21, 20, v21
	v_and_b32_e32 v23, 0x80000000, v23
	v_lshl_add_u32 v22, v22, 23, v24
	v_or3_b32 v21, v23, v22, v21
.LBB1_1044:
	s_or_b64 exec, exec, s[6:7]
	s_movk_i32 s4, 0xff
	v_and_b32_sdwa v22, v12, s4 dst_sel:DWORD dst_unused:UNUSED_PAD src0_sel:WORD_1 src1_sel:DWORD
	s_movk_i32 s4, 0x7f
	v_cmp_lt_i16_e32 vcc, s4, v22
	s_mov_b64 s[4:5], 0
                                        ; implicit-def: $sgpr10
	s_and_saveexec_b64 s[6:7], vcc
	s_xor_b64 s[6:7], exec, s[6:7]
	s_cbranch_execz .LBB1_1045
; %bb.11037:
	s_getpc_b64 s[14:15]
.Lpost_getpc1422:
	s_add_u32 s14, s14, (.LBB1_5141-.Lpost_getpc1422)&4294967295
	s_addc_u32 s15, s15, (.LBB1_5141-.Lpost_getpc1422)>>32
	s_setpc_b64 s[14:15]
.LBB1_1045:
	s_or_saveexec_b64 s[6:7], s[6:7]
	v_mov_b32_e32 v23, s10
	s_xor_b64 exec, exec, s[6:7]
	s_cbranch_execz .LBB1_1046
; %bb.11039:
	s_getpc_b64 s[14:15]
.Lpost_getpc1423:
	s_add_u32 s14, s14, (.LBB1_5144-.Lpost_getpc1423)&4294967295
	s_addc_u32 s15, s15, (.LBB1_5144-.Lpost_getpc1423)>>32
	s_setpc_b64 s[14:15]
.LBB1_1046:
	s_or_b64 exec, exec, s[6:7]
	s_and_saveexec_b64 s[6:7], s[4:5]
	s_cbranch_execz .LBB1_1048
.LBB1_1047:
	v_bfe_u32 v22, v12, 16, 2
	v_ffbh_u32_e32 v25, v22
	v_min_u32_e32 v25, 32, v25
	v_lshrrev_b32_e32 v23, 18, v12
	v_subrev_u32_e32 v26, 29, v25
	v_and_b32_e32 v23, 31, v23
	v_lshlrev_b32_sdwa v26, v26, v12 dst_sel:DWORD dst_unused:UNUSED_PAD src0_sel:DWORD src1_sel:WORD_1
	v_bfe_u32 v24, v12, 18, 5
	v_sub_u32_e32 v25, 30, v25
	v_and_b32_e32 v26, 3, v26
	v_cmp_eq_u16_e32 vcc, 0, v23
	v_cndmask_b32_e32 v22, v22, v26, vcc
	v_cndmask_b32_e32 v23, v24, v25, vcc
	v_lshlrev_b32_e32 v24, 8, v12
	v_mov_b32_e32 v25, 0x37800000
	v_lshlrev_b32_e32 v22, 21, v22
	v_and_b32_e32 v24, 0x80000000, v24
	v_lshl_add_u32 v23, v23, 23, v25
	v_or3_b32 v23, v24, v23, v22
.LBB1_1048:
	s_or_b64 exec, exec, s[6:7]
	s_nop 0
	v_mfma_f32_16x16x4f32 a[0:3], v21, v23, a[0:3]
	s_movk_i32 s4, 0x7f
	v_cmp_gt_i16_sdwa s[6:7], v16, s4 src0_sel:BYTE_3 src1_sel:DWORD
	s_mov_b64 s[4:5], 0
                                        ; implicit-def: $sgpr10
	s_and_saveexec_b64 s[8:9], s[6:7]
	s_xor_b64 s[6:7], exec, s[8:9]
	s_cbranch_execz .LBB1_1049
; %bb.11041:
	s_getpc_b64 s[14:15]
.Lpost_getpc1424:
	s_add_u32 s14, s14, (.LBB1_5145-.Lpost_getpc1424)&4294967295
	s_addc_u32 s15, s15, (.LBB1_5145-.Lpost_getpc1424)>>32
	s_setpc_b64 s[14:15]
.LBB1_1049:
	s_or_saveexec_b64 s[6:7], s[6:7]
	v_mov_b32_e32 v21, s10
	s_xor_b64 exec, exec, s[6:7]
	s_cbranch_execz .LBB1_1050
; %bb.11043:
	s_getpc_b64 s[14:15]
.Lpost_getpc1425:
	s_add_u32 s14, s14, (.LBB1_5148-.Lpost_getpc1425)&4294967295
	s_addc_u32 s15, s15, (.LBB1_5148-.Lpost_getpc1425)>>32
	s_setpc_b64 s[14:15]
.LBB1_1050:
	s_or_b64 exec, exec, s[6:7]
	s_and_saveexec_b64 s[6:7], s[4:5]
	s_cbranch_execz .LBB1_1052
.LBB1_1051:
	v_bfe_u32 v21, v16, 24, 3
	v_ffbh_u32_e32 v25, v21
	v_min_u32_e32 v25, 32, v25
	v_lshrrev_b32_e32 v23, 27, v16
	v_subrev_u32_e32 v26, 28, v25
	v_and_b32_e32 v22, 0x80000000, v16
	v_and_b32_e32 v23, 15, v23
	v_bfe_u32 v24, v16, 27, 4
	v_lshlrev_b32_sdwa v16, v26, v16 dst_sel:DWORD dst_unused:UNUSED_PAD src0_sel:DWORD src1_sel:BYTE_3
	v_sub_u32_e32 v25, 29, v25
	v_and_b32_e32 v16, 7, v16
	v_cmp_eq_u16_e32 vcc, 0, v23
	v_cndmask_b32_e32 v16, v21, v16, vcc
	v_cndmask_b32_e32 v21, v24, v25, vcc
	v_mov_b32_e32 v23, 0x3b800000
	v_lshlrev_b32_e32 v16, 20, v16
	v_lshl_add_u32 v21, v21, 23, v23
	v_or3_b32 v21, v22, v21, v16
.LBB1_1052:
	s_or_b64 exec, exec, s[6:7]
	s_movk_i32 s4, 0x7f
	v_cmp_gt_i16_sdwa s[6:7], v12, s4 src0_sel:BYTE_3 src1_sel:DWORD
	s_mov_b64 s[4:5], 0
                                        ; implicit-def: $sgpr10
	s_and_saveexec_b64 s[8:9], s[6:7]
	s_xor_b64 s[6:7], exec, s[8:9]
	s_cbranch_execz .LBB1_1053
; %bb.11045:
	s_getpc_b64 s[14:15]
.Lpost_getpc1426:
	s_add_u32 s14, s14, (.LBB1_5149-.Lpost_getpc1426)&4294967295
	s_addc_u32 s15, s15, (.LBB1_5149-.Lpost_getpc1426)>>32
	s_setpc_b64 s[14:15]
.LBB1_1053:
	s_or_saveexec_b64 s[6:7], s[6:7]
	v_mov_b32_e32 v16, s10
	s_xor_b64 exec, exec, s[6:7]
	s_cbranch_execz .LBB1_1054
; %bb.11047:
	s_getpc_b64 s[14:15]
.Lpost_getpc1427:
	s_add_u32 s14, s14, (.LBB1_5152-.Lpost_getpc1427)&4294967295
	s_addc_u32 s15, s15, (.LBB1_5152-.Lpost_getpc1427)>>32
	s_setpc_b64 s[14:15]
.LBB1_1054:
	s_or_b64 exec, exec, s[6:7]
	s_and_saveexec_b64 s[6:7], s[4:5]
	s_cbranch_execz .LBB1_1056
.LBB1_1055:
	v_bfe_u32 v16, v12, 24, 2
	v_ffbh_u32_e32 v25, v16
	v_min_u32_e32 v25, 32, v25
	v_lshrrev_b32_e32 v23, 26, v12
	v_subrev_u32_e32 v26, 29, v25
	v_and_b32_e32 v22, 0x80000000, v12
	v_and_b32_e32 v23, 31, v23
	v_bfe_u32 v24, v12, 26, 5
	v_lshlrev_b32_sdwa v12, v26, v12 dst_sel:DWORD dst_unused:UNUSED_PAD src0_sel:DWORD src1_sel:BYTE_3
	v_sub_u32_e32 v25, 30, v25
	v_and_b32_e32 v12, 3, v12
	v_cmp_eq_u16_e32 vcc, 0, v23
	v_cndmask_b32_e32 v12, v16, v12, vcc
	v_cndmask_b32_e32 v16, v24, v25, vcc
	v_mov_b32_e32 v23, 0x37800000
	v_lshlrev_b32_e32 v12, 21, v12
	v_lshl_add_u32 v16, v16, 23, v23
	v_or3_b32 v16, v22, v16, v12
.LBB1_1056:
	s_or_b64 exec, exec, s[6:7]
	s_nop 0
	v_mfma_f32_16x16x4f32 a[0:3], v21, v16, a[0:3]
	s_movk_i32 s4, 0x7f
	v_cmp_gt_i16_sdwa s[6:7], v17, s4 src0_sel:BYTE_0 src1_sel:DWORD
	s_mov_b64 s[4:5], 0
                                        ; implicit-def: $sgpr10
	s_and_saveexec_b64 s[8:9], s[6:7]
	s_xor_b64 s[6:7], exec, s[8:9]
	s_cbranch_execz .LBB1_1057
; %bb.11049:
	s_getpc_b64 s[14:15]
.Lpost_getpc1428:
	s_add_u32 s14, s14, (.LBB1_5153-.Lpost_getpc1428)&4294967295
	s_addc_u32 s15, s15, (.LBB1_5153-.Lpost_getpc1428)>>32
	s_setpc_b64 s[14:15]
.LBB1_1057:
	s_or_saveexec_b64 s[6:7], s[6:7]
	v_mov_b32_e32 v12, s10
	s_xor_b64 exec, exec, s[6:7]
	s_cbranch_execz .LBB1_1058
; %bb.11051:
	s_getpc_b64 s[14:15]
.Lpost_getpc1429:
	s_add_u32 s14, s14, (.LBB1_5156-.Lpost_getpc1429)&4294967295
	s_addc_u32 s15, s15, (.LBB1_5156-.Lpost_getpc1429)>>32
	s_setpc_b64 s[14:15]
.LBB1_1058:
	s_or_b64 exec, exec, s[6:7]
	s_and_saveexec_b64 s[6:7], s[4:5]
	s_cbranch_execz .LBB1_1060
.LBB1_1059:
	v_and_b32_e32 v12, 7, v17
	v_ffbh_u32_e32 v21, v12
	v_min_u32_e32 v21, 32, v21
	v_lshrrev_b16_e32 v16, 3, v17
	v_subrev_u32_e32 v22, 28, v21
	v_and_b32_e32 v16, 15, v16
	v_lshlrev_b32_e32 v22, v22, v17
	v_sub_u32_e32 v21, 29, v21
	v_and_b32_e32 v22, 7, v22
	v_cmp_eq_u16_e32 vcc, 0, v16
	v_cndmask_b32_e32 v12, v12, v22, vcc
	v_cndmask_b32_e32 v16, v16, v21, vcc
	v_lshlrev_b32_e32 v21, 24, v17
	v_mov_b32_e32 v22, 0x3b800000
	v_lshlrev_b32_e32 v12, 20, v12
	v_and_b32_e32 v21, 0x80000000, v21
	v_lshl_add_u32 v16, v16, 23, v22
	v_or3_b32 v12, v21, v16, v12
.LBB1_1060:
	s_or_b64 exec, exec, s[6:7]
	s_movk_i32 s4, 0x7f
	v_cmp_gt_i16_sdwa s[6:7], v13, s4 src0_sel:BYTE_0 src1_sel:DWORD
	s_mov_b64 s[4:5], 0
                                        ; implicit-def: $sgpr10
	s_and_saveexec_b64 s[8:9], s[6:7]
	s_xor_b64 s[6:7], exec, s[8:9]
	s_cbranch_execz .LBB1_1061
; %bb.11053:
	s_getpc_b64 s[14:15]
.Lpost_getpc1430:
	s_add_u32 s14, s14, (.LBB1_5157-.Lpost_getpc1430)&4294967295
	s_addc_u32 s15, s15, (.LBB1_5157-.Lpost_getpc1430)>>32
	s_setpc_b64 s[14:15]
.LBB1_1061:
	s_or_saveexec_b64 s[6:7], s[6:7]
	v_mov_b32_e32 v16, s10
	s_xor_b64 exec, exec, s[6:7]
	s_cbranch_execz .LBB1_1062
; %bb.11055:
	s_getpc_b64 s[14:15]
.Lpost_getpc1431:
	s_add_u32 s14, s14, (.LBB1_5160-.Lpost_getpc1431)&4294967295
	s_addc_u32 s15, s15, (.LBB1_5160-.Lpost_getpc1431)>>32
	s_setpc_b64 s[14:15]
.LBB1_1062:
	s_or_b64 exec, exec, s[6:7]
	s_and_saveexec_b64 s[6:7], s[4:5]
	s_cbranch_execz .LBB1_1064
.LBB1_1063:
	v_and_b32_e32 v16, 3, v13
	v_ffbh_u32_e32 v22, v16
	v_min_u32_e32 v22, 32, v22
	v_lshrrev_b16_e32 v21, 2, v13
	v_subrev_u32_e32 v23, 29, v22
	v_and_b32_e32 v21, 31, v21
	v_lshlrev_b32_e32 v23, v23, v13
	v_sub_u32_e32 v22, 30, v22
	v_and_b32_e32 v23, 3, v23
	v_cmp_eq_u16_e32 vcc, 0, v21
	v_cndmask_b32_e32 v16, v16, v23, vcc
	v_cndmask_b32_e32 v21, v21, v22, vcc
	v_lshlrev_b32_e32 v22, 24, v13
	v_mov_b32_e32 v23, 0x37800000
	v_lshlrev_b32_e32 v16, 21, v16
	v_and_b32_e32 v22, 0x80000000, v22
	v_lshl_add_u32 v21, v21, 23, v23
	v_or3_b32 v16, v22, v21, v16
.LBB1_1064:
	s_or_b64 exec, exec, s[6:7]
	s_nop 0
	v_mfma_f32_16x16x4f32 a[0:3], v12, v16, a[0:3]
	v_lshrrev_b32_e32 v16, 8, v17
	s_movk_i32 s4, 0x7f
	v_cmp_gt_i16_sdwa s[6:7], v16, s4 src0_sel:BYTE_0 src1_sel:DWORD
	s_mov_b64 s[4:5], 0
                                        ; implicit-def: $sgpr10
	s_and_saveexec_b64 s[8:9], s[6:7]
	s_xor_b64 s[6:7], exec, s[8:9]
	s_cbranch_execz .LBB1_1065
; %bb.11057:
	s_getpc_b64 s[14:15]
.Lpost_getpc1432:
	s_add_u32 s14, s14, (.LBB1_5161-.Lpost_getpc1432)&4294967295
	s_addc_u32 s15, s15, (.LBB1_5161-.Lpost_getpc1432)>>32
	s_setpc_b64 s[14:15]
.LBB1_1065:
	s_or_saveexec_b64 s[6:7], s[6:7]
	v_mov_b32_e32 v12, s10
	s_xor_b64 exec, exec, s[6:7]
	s_cbranch_execz .LBB1_1066
; %bb.11059:
	s_getpc_b64 s[14:15]
.Lpost_getpc1433:
	s_add_u32 s14, s14, (.LBB1_5164-.Lpost_getpc1433)&4294967295
	s_addc_u32 s15, s15, (.LBB1_5164-.Lpost_getpc1433)>>32
	s_setpc_b64 s[14:15]
.LBB1_1066:
	s_or_b64 exec, exec, s[6:7]
	s_and_saveexec_b64 s[6:7], s[4:5]
	s_cbranch_execz .LBB1_1068
.LBB1_1067:
	v_bfe_u32 v12, v17, 8, 3
	v_ffbh_u32_e32 v22, v12
	v_min_u32_e32 v22, 32, v22
	v_lshrrev_b16_e32 v21, 3, v16
	v_subrev_u32_e32 v23, 28, v22
	v_and_b32_e32 v21, 15, v21
	v_lshlrev_b32_e32 v16, v23, v16
	v_sub_u32_e32 v22, 29, v22
	v_and_b32_e32 v16, 7, v16
	v_cmp_eq_u16_e32 vcc, 0, v21
	v_cndmask_b32_e32 v12, v12, v16, vcc
	v_cndmask_b32_e32 v16, v21, v22, vcc
	v_lshlrev_b32_e32 v21, 16, v17
	v_mov_b32_e32 v22, 0x3b800000
	v_lshlrev_b32_e32 v12, 20, v12
	v_and_b32_e32 v21, 0x80000000, v21
	v_lshl_add_u32 v16, v16, 23, v22
	v_or3_b32 v12, v21, v16, v12
.LBB1_1068:
	s_or_b64 exec, exec, s[6:7]
	v_lshrrev_b32_e32 v16, 8, v13
	s_movk_i32 s4, 0x7f
	v_cmp_gt_i16_sdwa s[6:7], v16, s4 src0_sel:BYTE_0 src1_sel:DWORD
	s_mov_b64 s[4:5], 0
                                        ; implicit-def: $sgpr10
	s_and_saveexec_b64 s[8:9], s[6:7]
	s_xor_b64 s[6:7], exec, s[8:9]
	s_cbranch_execz .LBB1_1069
; %bb.11061:
	s_getpc_b64 s[14:15]
.Lpost_getpc1434:
	s_add_u32 s14, s14, (.LBB1_5165-.Lpost_getpc1434)&4294967295
	s_addc_u32 s15, s15, (.LBB1_5165-.Lpost_getpc1434)>>32
	s_setpc_b64 s[14:15]
.LBB1_1069:
	s_or_saveexec_b64 s[6:7], s[6:7]
	v_mov_b32_e32 v21, s10
	s_xor_b64 exec, exec, s[6:7]
	s_cbranch_execz .LBB1_1070
; %bb.11063:
	s_getpc_b64 s[14:15]
.Lpost_getpc1435:
	s_add_u32 s14, s14, (.LBB1_5168-.Lpost_getpc1435)&4294967295
	s_addc_u32 s15, s15, (.LBB1_5168-.Lpost_getpc1435)>>32
	s_setpc_b64 s[14:15]
.LBB1_1070:
	s_or_b64 exec, exec, s[6:7]
	s_and_saveexec_b64 s[6:7], s[4:5]
	s_cbranch_execz .LBB1_1072
.LBB1_1071:
	v_bfe_u32 v21, v13, 8, 2
	v_ffbh_u32_e32 v23, v21
	v_min_u32_e32 v23, 32, v23
	v_lshrrev_b16_e32 v22, 2, v16
	v_subrev_u32_e32 v24, 29, v23
	v_and_b32_e32 v22, 31, v22
	v_lshlrev_b32_e32 v16, v24, v16
	v_sub_u32_e32 v23, 30, v23
	v_and_b32_e32 v16, 3, v16
	v_cmp_eq_u16_e32 vcc, 0, v22
	v_cndmask_b32_e32 v16, v21, v16, vcc
	v_cndmask_b32_e32 v21, v22, v23, vcc
	v_lshlrev_b32_e32 v22, 16, v13
	v_mov_b32_e32 v23, 0x37800000
	v_lshlrev_b32_e32 v16, 21, v16
	v_and_b32_e32 v22, 0x80000000, v22
	v_lshl_add_u32 v21, v21, 23, v23
	v_or3_b32 v21, v22, v21, v16
.LBB1_1072:
	s_or_b64 exec, exec, s[6:7]
	s_nop 0
	v_mfma_f32_16x16x4f32 a[0:3], v12, v21, a[0:3]
	s_movk_i32 s4, 0xff
	v_and_b32_sdwa v16, v17, s4 dst_sel:DWORD dst_unused:UNUSED_PAD src0_sel:WORD_1 src1_sel:DWORD
	s_movk_i32 s4, 0x7f
	v_cmp_lt_i16_e32 vcc, s4, v16
	s_mov_b64 s[4:5], 0
                                        ; implicit-def: $sgpr10
	s_and_saveexec_b64 s[6:7], vcc
	s_xor_b64 s[6:7], exec, s[6:7]
	s_cbranch_execz .LBB1_1073
; %bb.11065:
	s_getpc_b64 s[14:15]
.Lpost_getpc1436:
	s_add_u32 s14, s14, (.LBB1_5169-.Lpost_getpc1436)&4294967295
	s_addc_u32 s15, s15, (.LBB1_5169-.Lpost_getpc1436)>>32
	s_setpc_b64 s[14:15]
.LBB1_1073:
	s_or_saveexec_b64 s[6:7], s[6:7]
	v_mov_b32_e32 v12, s10
	s_xor_b64 exec, exec, s[6:7]
	s_cbranch_execz .LBB1_1074
; %bb.11067:
	s_getpc_b64 s[14:15]
.Lpost_getpc1437:
	s_add_u32 s14, s14, (.LBB1_5172-.Lpost_getpc1437)&4294967295
	s_addc_u32 s15, s15, (.LBB1_5172-.Lpost_getpc1437)>>32
	s_setpc_b64 s[14:15]
.LBB1_1074:
	s_or_b64 exec, exec, s[6:7]
	s_and_saveexec_b64 s[6:7], s[4:5]
	s_cbranch_execz .LBB1_1076
.LBB1_1075:
	v_bfe_u32 v12, v17, 16, 3
	v_ffbh_u32_e32 v22, v12
	v_min_u32_e32 v22, 32, v22
	v_lshrrev_b32_e32 v16, 19, v17
	v_subrev_u32_e32 v23, 28, v22
	v_and_b32_e32 v16, 15, v16
	v_lshlrev_b32_sdwa v23, v23, v17 dst_sel:DWORD dst_unused:UNUSED_PAD src0_sel:DWORD src1_sel:WORD_1
	v_bfe_u32 v21, v17, 19, 4
	v_sub_u32_e32 v22, 29, v22
	v_and_b32_e32 v23, 7, v23
	v_cmp_eq_u16_e32 vcc, 0, v16
	v_cndmask_b32_e32 v12, v12, v23, vcc
	v_cndmask_b32_e32 v16, v21, v22, vcc
	v_lshlrev_b32_e32 v21, 8, v17
	v_mov_b32_e32 v22, 0x3b800000
	v_lshlrev_b32_e32 v12, 20, v12
	v_and_b32_e32 v21, 0x80000000, v21
	v_lshl_add_u32 v16, v16, 23, v22
	v_or3_b32 v12, v21, v16, v12
.LBB1_1076:
	s_or_b64 exec, exec, s[6:7]
	s_movk_i32 s4, 0xff
	v_and_b32_sdwa v16, v13, s4 dst_sel:DWORD dst_unused:UNUSED_PAD src0_sel:WORD_1 src1_sel:DWORD
	s_movk_i32 s4, 0x7f
	v_cmp_lt_i16_e32 vcc, s4, v16
	s_mov_b64 s[4:5], 0
                                        ; implicit-def: $sgpr10
	s_and_saveexec_b64 s[6:7], vcc
	s_xor_b64 s[6:7], exec, s[6:7]
	s_cbranch_execz .LBB1_1077
; %bb.11069:
	s_getpc_b64 s[14:15]
.Lpost_getpc1438:
	s_add_u32 s14, s14, (.LBB1_5173-.Lpost_getpc1438)&4294967295
	s_addc_u32 s15, s15, (.LBB1_5173-.Lpost_getpc1438)>>32
	s_setpc_b64 s[14:15]
.LBB1_1077:
	s_or_saveexec_b64 s[6:7], s[6:7]
	v_mov_b32_e32 v21, s10
	s_xor_b64 exec, exec, s[6:7]
	s_cbranch_execz .LBB1_1078
; %bb.11071:
	s_getpc_b64 s[14:15]
.Lpost_getpc1439:
	s_add_u32 s14, s14, (.LBB1_5176-.Lpost_getpc1439)&4294967295
	s_addc_u32 s15, s15, (.LBB1_5176-.Lpost_getpc1439)>>32
	s_setpc_b64 s[14:15]
.LBB1_1078:
	s_or_b64 exec, exec, s[6:7]
	s_and_saveexec_b64 s[6:7], s[4:5]
	s_cbranch_execz .LBB1_1080
.LBB1_1079:
	v_bfe_u32 v16, v13, 16, 2
	v_ffbh_u32_e32 v23, v16
	v_min_u32_e32 v23, 32, v23
	v_lshrrev_b32_e32 v21, 18, v13
	v_subrev_u32_e32 v24, 29, v23
	v_and_b32_e32 v21, 31, v21
	v_lshlrev_b32_sdwa v24, v24, v13 dst_sel:DWORD dst_unused:UNUSED_PAD src0_sel:DWORD src1_sel:WORD_1
	v_bfe_u32 v22, v13, 18, 5
	v_sub_u32_e32 v23, 30, v23
	v_and_b32_e32 v24, 3, v24
	v_cmp_eq_u16_e32 vcc, 0, v21
	v_cndmask_b32_e32 v16, v16, v24, vcc
	v_cndmask_b32_e32 v21, v22, v23, vcc
	v_lshlrev_b32_e32 v22, 8, v13
	v_mov_b32_e32 v23, 0x37800000
	v_lshlrev_b32_e32 v16, 21, v16
	v_and_b32_e32 v22, 0x80000000, v22
	v_lshl_add_u32 v21, v21, 23, v23
	v_or3_b32 v21, v22, v21, v16
.LBB1_1080:
	s_or_b64 exec, exec, s[6:7]
	s_nop 0
	v_mfma_f32_16x16x4f32 a[0:3], v12, v21, a[0:3]
	s_movk_i32 s4, 0x7f
	v_cmp_gt_i16_sdwa s[6:7], v17, s4 src0_sel:BYTE_3 src1_sel:DWORD
	s_mov_b64 s[4:5], 0
                                        ; implicit-def: $sgpr10
	s_and_saveexec_b64 s[8:9], s[6:7]
	s_xor_b64 s[6:7], exec, s[8:9]
	s_cbranch_execz .LBB1_1081
; %bb.11073:
	s_getpc_b64 s[14:15]
.Lpost_getpc1440:
	s_add_u32 s14, s14, (.LBB1_5177-.Lpost_getpc1440)&4294967295
	s_addc_u32 s15, s15, (.LBB1_5177-.Lpost_getpc1440)>>32
	s_setpc_b64 s[14:15]
.LBB1_1081:
	s_or_saveexec_b64 s[6:7], s[6:7]
	v_mov_b32_e32 v12, s10
	s_xor_b64 exec, exec, s[6:7]
	s_cbranch_execz .LBB1_1082
; %bb.11075:
	s_getpc_b64 s[14:15]
.Lpost_getpc1441:
	s_add_u32 s14, s14, (.LBB1_5180-.Lpost_getpc1441)&4294967295
	s_addc_u32 s15, s15, (.LBB1_5180-.Lpost_getpc1441)>>32
	s_setpc_b64 s[14:15]
.LBB1_1082:
	s_or_b64 exec, exec, s[6:7]
	s_and_saveexec_b64 s[6:7], s[4:5]
	s_cbranch_execz .LBB1_1084
.LBB1_1083:
	v_bfe_u32 v12, v17, 24, 3
	v_ffbh_u32_e32 v23, v12
	v_min_u32_e32 v23, 32, v23
	v_lshrrev_b32_e32 v21, 27, v17
	v_subrev_u32_e32 v24, 28, v23
	v_and_b32_e32 v16, 0x80000000, v17
	v_and_b32_e32 v21, 15, v21
	v_bfe_u32 v22, v17, 27, 4
	v_lshlrev_b32_sdwa v17, v24, v17 dst_sel:DWORD dst_unused:UNUSED_PAD src0_sel:DWORD src1_sel:BYTE_3
	v_sub_u32_e32 v23, 29, v23
	v_and_b32_e32 v17, 7, v17
	v_cmp_eq_u16_e32 vcc, 0, v21
	v_cndmask_b32_e32 v12, v12, v17, vcc
	v_cndmask_b32_e32 v17, v22, v23, vcc
	v_mov_b32_e32 v21, 0x3b800000
	v_lshlrev_b32_e32 v12, 20, v12
	v_lshl_add_u32 v17, v17, 23, v21
	v_or3_b32 v12, v16, v17, v12
.LBB1_1084:
	s_or_b64 exec, exec, s[6:7]
	s_movk_i32 s4, 0x7f
	v_cmp_gt_i16_sdwa s[6:7], v13, s4 src0_sel:BYTE_3 src1_sel:DWORD
	s_mov_b64 s[4:5], 0
                                        ; implicit-def: $sgpr10
	s_and_saveexec_b64 s[8:9], s[6:7]
	s_xor_b64 s[6:7], exec, s[8:9]
	s_cbranch_execz .LBB1_1085
; %bb.11077:
	s_getpc_b64 s[14:15]
.Lpost_getpc1442:
	s_add_u32 s14, s14, (.LBB1_5181-.Lpost_getpc1442)&4294967295
	s_addc_u32 s15, s15, (.LBB1_5181-.Lpost_getpc1442)>>32
	s_setpc_b64 s[14:15]
.LBB1_1085:
	s_or_saveexec_b64 s[6:7], s[6:7]
	v_mov_b32_e32 v16, s10
	s_xor_b64 exec, exec, s[6:7]
	s_cbranch_execz .LBB1_1086
; %bb.11079:
	s_getpc_b64 s[14:15]
.Lpost_getpc1443:
	s_add_u32 s14, s14, (.LBB1_5184-.Lpost_getpc1443)&4294967295
	s_addc_u32 s15, s15, (.LBB1_5184-.Lpost_getpc1443)>>32
	s_setpc_b64 s[14:15]
.LBB1_1086:
	s_or_b64 exec, exec, s[6:7]
	s_and_saveexec_b64 s[6:7], s[4:5]
	s_cbranch_execz .LBB1_1088
.LBB1_1087:
	v_bfe_u32 v16, v13, 24, 2
	v_ffbh_u32_e32 v23, v16
	v_min_u32_e32 v23, 32, v23
	v_lshrrev_b32_e32 v21, 26, v13
	v_subrev_u32_e32 v24, 29, v23
	v_and_b32_e32 v17, 0x80000000, v13
	v_and_b32_e32 v21, 31, v21
	v_bfe_u32 v22, v13, 26, 5
	v_lshlrev_b32_sdwa v13, v24, v13 dst_sel:DWORD dst_unused:UNUSED_PAD src0_sel:DWORD src1_sel:BYTE_3
	v_sub_u32_e32 v23, 30, v23
	v_and_b32_e32 v13, 3, v13
	v_cmp_eq_u16_e32 vcc, 0, v21
	v_cndmask_b32_e32 v13, v16, v13, vcc
	v_cndmask_b32_e32 v16, v22, v23, vcc
	v_mov_b32_e32 v21, 0x37800000
	v_lshlrev_b32_e32 v13, 21, v13
	v_lshl_add_u32 v16, v16, 23, v21
	v_or3_b32 v16, v17, v16, v13
.LBB1_1088:
	s_or_b64 exec, exec, s[6:7]
	s_nop 0
	v_mfma_f32_16x16x4f32 a[0:3], v12, v16, a[0:3]
	s_movk_i32 s4, 0x7f
	v_cmp_gt_i16_sdwa s[6:7], v18, s4 src0_sel:BYTE_0 src1_sel:DWORD
	s_mov_b64 s[4:5], 0
                                        ; implicit-def: $sgpr10
	s_and_saveexec_b64 s[8:9], s[6:7]
	s_xor_b64 s[6:7], exec, s[8:9]
	s_cbranch_execz .LBB1_1089
; %bb.11081:
	s_getpc_b64 s[14:15]
.Lpost_getpc1444:
	s_add_u32 s14, s14, (.LBB1_5185-.Lpost_getpc1444)&4294967295
	s_addc_u32 s15, s15, (.LBB1_5185-.Lpost_getpc1444)>>32
	s_setpc_b64 s[14:15]
.LBB1_1089:
	s_or_saveexec_b64 s[6:7], s[6:7]
	v_mov_b32_e32 v13, s10
	s_xor_b64 exec, exec, s[6:7]
	s_cbranch_execz .LBB1_1090
; %bb.11083:
	s_getpc_b64 s[14:15]
.Lpost_getpc1445:
	s_add_u32 s14, s14, (.LBB1_5188-.Lpost_getpc1445)&4294967295
	s_addc_u32 s15, s15, (.LBB1_5188-.Lpost_getpc1445)>>32
	s_setpc_b64 s[14:15]
.LBB1_1090:
	s_or_b64 exec, exec, s[6:7]
	s_and_saveexec_b64 s[6:7], s[4:5]
	s_cbranch_execz .LBB1_1092
.LBB1_1091:
	v_and_b32_e32 v12, 7, v18
	v_ffbh_u32_e32 v16, v12
	v_min_u32_e32 v16, 32, v16
	v_lshrrev_b16_e32 v13, 3, v18
	v_subrev_u32_e32 v17, 28, v16
	v_and_b32_e32 v13, 15, v13
	v_lshlrev_b32_e32 v17, v17, v18
	v_sub_u32_e32 v16, 29, v16
	v_and_b32_e32 v17, 7, v17
	v_cmp_eq_u16_e32 vcc, 0, v13
	v_cndmask_b32_e32 v12, v12, v17, vcc
	v_cndmask_b32_e32 v13, v13, v16, vcc
	v_lshlrev_b32_e32 v16, 24, v18
	v_mov_b32_e32 v17, 0x3b800000
	v_lshlrev_b32_e32 v12, 20, v12
	v_and_b32_e32 v16, 0x80000000, v16
	v_lshl_add_u32 v13, v13, 23, v17
	v_or3_b32 v13, v16, v13, v12
.LBB1_1092:
	s_or_b64 exec, exec, s[6:7]
	s_movk_i32 s4, 0xff
	v_mov_b32_e32 v12, 8
	v_or_b32_sdwa v16, v14, v20 dst_sel:DWORD dst_unused:UNUSED_PAD src0_sel:BYTE_0 src1_sel:DWORD
	v_lshlrev_b16_sdwa v12, v12, v14 dst_sel:DWORD dst_unused:UNUSED_PAD src0_sel:DWORD src1_sel:BYTE_3
	v_and_b32_sdwa v14, v14, s4 dst_sel:DWORD dst_unused:UNUSED_PAD src0_sel:WORD_1 src1_sel:DWORD
	s_movk_i32 s4, 0x7f
	v_or_b32_sdwa v12, v14, v12 dst_sel:WORD_1 dst_unused:UNUSED_PAD src0_sel:DWORD src1_sel:DWORD
	v_cmp_gt_i16_sdwa s[6:7], v16, s4 src0_sel:BYTE_0 src1_sel:DWORD
	s_mov_b64 s[4:5], 0
                                        ; implicit-def: $sgpr10
	s_and_saveexec_b64 s[8:9], s[6:7]
	s_xor_b64 s[6:7], exec, s[8:9]
	s_cbranch_execz .LBB1_1093
; %bb.11085:
	s_getpc_b64 s[14:15]
.Lpost_getpc1446:
	s_add_u32 s14, s14, (.LBB1_5189-.Lpost_getpc1446)&4294967295
	s_addc_u32 s15, s15, (.LBB1_5189-.Lpost_getpc1446)>>32
	s_setpc_b64 s[14:15]
.LBB1_1093:
	s_or_saveexec_b64 s[6:7], s[6:7]
	v_mov_b32_e32 v14, s10
	s_xor_b64 exec, exec, s[6:7]
	s_cbranch_execz .LBB1_1094
; %bb.11087:
	s_getpc_b64 s[14:15]
.Lpost_getpc1447:
	s_add_u32 s14, s14, (.LBB1_5192-.Lpost_getpc1447)&4294967295
	s_addc_u32 s15, s15, (.LBB1_5192-.Lpost_getpc1447)>>32
	s_setpc_b64 s[14:15]
.LBB1_1094:
	s_or_b64 exec, exec, s[6:7]
	v_or_b32_sdwa v12, v16, v12 dst_sel:DWORD dst_unused:UNUSED_PAD src0_sel:WORD_0 src1_sel:DWORD
	s_and_saveexec_b64 s[6:7], s[4:5]
	s_cbranch_execz .LBB1_1096
.LBB1_1095:
	v_and_b32_e32 v14, 3, v12
	v_ffbh_u32_e32 v17, v14
	v_min_u32_e32 v17, 32, v17
	v_lshrrev_b16_e32 v16, 2, v16
	v_subrev_u32_e32 v20, 29, v17
	v_and_b32_e32 v16, 31, v16
	v_lshlrev_b32_e32 v20, v20, v12
	v_sub_u32_e32 v17, 30, v17
	v_and_b32_e32 v20, 3, v20
	v_cmp_eq_u16_e32 vcc, 0, v16
	v_cndmask_b32_e32 v14, v14, v20, vcc
	v_cndmask_b32_e32 v16, v16, v17, vcc
	v_lshlrev_b32_e32 v17, 24, v12
	v_mov_b32_e32 v20, 0x37800000
	v_lshlrev_b32_e32 v14, 21, v14
	v_and_b32_e32 v17, 0x80000000, v17
	v_lshl_add_u32 v16, v16, 23, v20
	v_or3_b32 v14, v17, v16, v14
.LBB1_1096:
	s_or_b64 exec, exec, s[6:7]
	s_nop 0
	v_mfma_f32_16x16x4f32 a[0:3], v13, v14, a[0:3]
	v_lshrrev_b32_e32 v14, 8, v18
	s_movk_i32 s4, 0x7f
	v_cmp_gt_i16_sdwa s[6:7], v14, s4 src0_sel:BYTE_0 src1_sel:DWORD
	s_mov_b64 s[4:5], 0
                                        ; implicit-def: $sgpr10
	s_and_saveexec_b64 s[8:9], s[6:7]
	s_xor_b64 s[6:7], exec, s[8:9]
	s_cbranch_execz .LBB1_1097
; %bb.11089:
	s_getpc_b64 s[14:15]
.Lpost_getpc1448:
	s_add_u32 s14, s14, (.LBB1_5193-.Lpost_getpc1448)&4294967295
	s_addc_u32 s15, s15, (.LBB1_5193-.Lpost_getpc1448)>>32
	s_setpc_b64 s[14:15]
.LBB1_1097:
	s_or_saveexec_b64 s[6:7], s[6:7]
	v_mov_b32_e32 v13, s10
	s_xor_b64 exec, exec, s[6:7]
	s_cbranch_execz .LBB1_1098
; %bb.11091:
	s_getpc_b64 s[14:15]
.Lpost_getpc1449:
	s_add_u32 s14, s14, (.LBB1_5196-.Lpost_getpc1449)&4294967295
	s_addc_u32 s15, s15, (.LBB1_5196-.Lpost_getpc1449)>>32
	s_setpc_b64 s[14:15]
.LBB1_1098:
	s_or_b64 exec, exec, s[6:7]
	s_and_saveexec_b64 s[6:7], s[4:5]
	s_cbranch_execz .LBB1_1100
.LBB1_1099:
	v_bfe_u32 v13, v18, 8, 3
	v_ffbh_u32_e32 v17, v13
	v_min_u32_e32 v17, 32, v17
	v_lshrrev_b16_e32 v16, 3, v14
	v_subrev_u32_e32 v20, 28, v17
	v_and_b32_e32 v16, 15, v16
	v_lshlrev_b32_e32 v14, v20, v14
	v_sub_u32_e32 v17, 29, v17
	v_and_b32_e32 v14, 7, v14
	v_cmp_eq_u16_e32 vcc, 0, v16
	v_cndmask_b32_e32 v13, v13, v14, vcc
	v_cndmask_b32_e32 v14, v16, v17, vcc
	v_lshlrev_b32_e32 v16, 16, v18
	v_mov_b32_e32 v17, 0x3b800000
	v_lshlrev_b32_e32 v13, 20, v13
	v_and_b32_e32 v16, 0x80000000, v16
	v_lshl_add_u32 v14, v14, 23, v17
	v_or3_b32 v13, v16, v14, v13
.LBB1_1100:
	s_or_b64 exec, exec, s[6:7]
	v_lshrrev_b32_e32 v14, 8, v12
	s_movk_i32 s4, 0x7f
	v_cmp_gt_i16_sdwa s[6:7], v14, s4 src0_sel:BYTE_0 src1_sel:DWORD
	s_mov_b64 s[4:5], 0
                                        ; implicit-def: $sgpr10
	s_and_saveexec_b64 s[8:9], s[6:7]
	s_xor_b64 s[6:7], exec, s[8:9]
	s_cbranch_execz .LBB1_1101
; %bb.11093:
	s_getpc_b64 s[14:15]
.Lpost_getpc1450:
	s_add_u32 s14, s14, (.LBB1_5197-.Lpost_getpc1450)&4294967295
	s_addc_u32 s15, s15, (.LBB1_5197-.Lpost_getpc1450)>>32
	s_setpc_b64 s[14:15]
.LBB1_1101:
	s_or_saveexec_b64 s[6:7], s[6:7]
	v_mov_b32_e32 v16, s10
	s_xor_b64 exec, exec, s[6:7]
	s_cbranch_execz .LBB1_1102
; %bb.11095:
	s_getpc_b64 s[14:15]
.Lpost_getpc1451:
	s_add_u32 s14, s14, (.LBB1_5200-.Lpost_getpc1451)&4294967295
	s_addc_u32 s15, s15, (.LBB1_5200-.Lpost_getpc1451)>>32
	s_setpc_b64 s[14:15]
.LBB1_1102:
	s_or_b64 exec, exec, s[6:7]
	s_and_saveexec_b64 s[6:7], s[4:5]
	s_cbranch_execz .LBB1_1104
.LBB1_1103:
	v_bfe_u32 v16, v12, 8, 2
	v_ffbh_u32_e32 v20, v16
	v_min_u32_e32 v20, 32, v20
	v_lshrrev_b16_e32 v17, 2, v14
	v_subrev_u32_e32 v21, 29, v20
	v_and_b32_e32 v17, 31, v17
	v_lshlrev_b32_e32 v14, v21, v14
	v_sub_u32_e32 v20, 30, v20
	v_and_b32_e32 v14, 3, v14
	v_cmp_eq_u16_e32 vcc, 0, v17
	v_cndmask_b32_e32 v14, v16, v14, vcc
	v_cndmask_b32_e32 v16, v17, v20, vcc
	v_lshlrev_b32_e32 v17, 16, v12
	v_mov_b32_e32 v20, 0x37800000
	v_lshlrev_b32_e32 v14, 21, v14
	v_and_b32_e32 v17, 0x80000000, v17
	v_lshl_add_u32 v16, v16, 23, v20
	v_or3_b32 v16, v17, v16, v14
.LBB1_1104:
	s_or_b64 exec, exec, s[6:7]
	s_nop 0
	v_mfma_f32_16x16x4f32 a[0:3], v13, v16, a[0:3]
	s_movk_i32 s4, 0xff
	v_and_b32_sdwa v14, v18, s4 dst_sel:DWORD dst_unused:UNUSED_PAD src0_sel:WORD_1 src1_sel:DWORD
	s_movk_i32 s4, 0x7f
	v_cmp_lt_i16_e32 vcc, s4, v14
	s_mov_b64 s[4:5], 0
                                        ; implicit-def: $sgpr10
	s_and_saveexec_b64 s[6:7], vcc
	s_xor_b64 s[6:7], exec, s[6:7]
	s_cbranch_execz .LBB1_1105
; %bb.11097:
	s_getpc_b64 s[14:15]
.Lpost_getpc1452:
	s_add_u32 s14, s14, (.LBB1_5201-.Lpost_getpc1452)&4294967295
	s_addc_u32 s15, s15, (.LBB1_5201-.Lpost_getpc1452)>>32
	s_setpc_b64 s[14:15]
.LBB1_1105:
	s_or_saveexec_b64 s[6:7], s[6:7]
	v_mov_b32_e32 v13, s10
	s_xor_b64 exec, exec, s[6:7]
	s_cbranch_execz .LBB1_1106
; %bb.11099:
	s_getpc_b64 s[14:15]
.Lpost_getpc1453:
	s_add_u32 s14, s14, (.LBB1_5204-.Lpost_getpc1453)&4294967295
	s_addc_u32 s15, s15, (.LBB1_5204-.Lpost_getpc1453)>>32
	s_setpc_b64 s[14:15]
.LBB1_1106:
	s_or_b64 exec, exec, s[6:7]
	s_and_saveexec_b64 s[6:7], s[4:5]
	s_cbranch_execz .LBB1_1108
.LBB1_1107:
	v_bfe_u32 v13, v18, 16, 3
	v_ffbh_u32_e32 v17, v13
	v_min_u32_e32 v17, 32, v17
	v_lshrrev_b32_e32 v14, 19, v18
	v_subrev_u32_e32 v20, 28, v17
	v_and_b32_e32 v14, 15, v14
	v_lshlrev_b32_sdwa v20, v20, v18 dst_sel:DWORD dst_unused:UNUSED_PAD src0_sel:DWORD src1_sel:WORD_1
	v_bfe_u32 v16, v18, 19, 4
	v_sub_u32_e32 v17, 29, v17
	v_and_b32_e32 v20, 7, v20
	v_cmp_eq_u16_e32 vcc, 0, v14
	v_cndmask_b32_e32 v13, v13, v20, vcc
	v_cndmask_b32_e32 v14, v16, v17, vcc
	v_lshlrev_b32_e32 v16, 8, v18
	v_mov_b32_e32 v17, 0x3b800000
	v_lshlrev_b32_e32 v13, 20, v13
	v_and_b32_e32 v16, 0x80000000, v16
	v_lshl_add_u32 v14, v14, 23, v17
	v_or3_b32 v13, v16, v14, v13
.LBB1_1108:
	s_or_b64 exec, exec, s[6:7]
	s_movk_i32 s4, 0xff
	v_and_b32_sdwa v14, v12, s4 dst_sel:DWORD dst_unused:UNUSED_PAD src0_sel:WORD_1 src1_sel:DWORD
	s_movk_i32 s4, 0x7f
	v_cmp_lt_i16_e32 vcc, s4, v14
	s_mov_b64 s[4:5], 0
                                        ; implicit-def: $sgpr10
	s_and_saveexec_b64 s[6:7], vcc
	s_xor_b64 s[6:7], exec, s[6:7]
	s_cbranch_execz .LBB1_1109
; %bb.11101:
	s_getpc_b64 s[14:15]
.Lpost_getpc1454:
	s_add_u32 s14, s14, (.LBB1_5205-.Lpost_getpc1454)&4294967295
	s_addc_u32 s15, s15, (.LBB1_5205-.Lpost_getpc1454)>>32
	s_setpc_b64 s[14:15]
.LBB1_1109:
	s_or_saveexec_b64 s[6:7], s[6:7]
	v_mov_b32_e32 v16, s10
	s_xor_b64 exec, exec, s[6:7]
	s_cbranch_execz .LBB1_1110
; %bb.11103:
	s_getpc_b64 s[14:15]
.Lpost_getpc1455:
	s_add_u32 s14, s14, (.LBB1_5208-.Lpost_getpc1455)&4294967295
	s_addc_u32 s15, s15, (.LBB1_5208-.Lpost_getpc1455)>>32
	s_setpc_b64 s[14:15]
.LBB1_1110:
	s_or_b64 exec, exec, s[6:7]
	s_and_saveexec_b64 s[6:7], s[4:5]
	s_cbranch_execz .LBB1_1112
.LBB1_1111:
	v_bfe_u32 v14, v12, 16, 2
	v_ffbh_u32_e32 v20, v14
	v_min_u32_e32 v20, 32, v20
	v_lshrrev_b32_e32 v16, 18, v12
	v_subrev_u32_e32 v21, 29, v20
	v_and_b32_e32 v16, 31, v16
	v_lshlrev_b32_sdwa v21, v21, v12 dst_sel:DWORD dst_unused:UNUSED_PAD src0_sel:DWORD src1_sel:WORD_1
	v_bfe_u32 v17, v12, 18, 5
	v_sub_u32_e32 v20, 30, v20
	v_and_b32_e32 v21, 3, v21
	v_cmp_eq_u16_e32 vcc, 0, v16
	v_cndmask_b32_e32 v14, v14, v21, vcc
	v_cndmask_b32_e32 v16, v17, v20, vcc
	v_lshlrev_b32_e32 v17, 8, v12
	v_mov_b32_e32 v20, 0x37800000
	v_lshlrev_b32_e32 v14, 21, v14
	v_and_b32_e32 v17, 0x80000000, v17
	v_lshl_add_u32 v16, v16, 23, v20
	v_or3_b32 v16, v17, v16, v14
.LBB1_1112:
	s_or_b64 exec, exec, s[6:7]
	s_nop 0
	v_mfma_f32_16x16x4f32 a[0:3], v13, v16, a[0:3]
	s_movk_i32 s4, 0x7f
	v_cmp_gt_i16_sdwa s[6:7], v18, s4 src0_sel:BYTE_3 src1_sel:DWORD
	s_mov_b64 s[4:5], 0
                                        ; implicit-def: $sgpr10
	s_and_saveexec_b64 s[8:9], s[6:7]
	s_xor_b64 s[6:7], exec, s[8:9]
	s_cbranch_execz .LBB1_1113
; %bb.11105:
	s_getpc_b64 s[14:15]
.Lpost_getpc1456:
	s_add_u32 s14, s14, (.LBB1_5209-.Lpost_getpc1456)&4294967295
	s_addc_u32 s15, s15, (.LBB1_5209-.Lpost_getpc1456)>>32
	s_setpc_b64 s[14:15]
.LBB1_1113:
	s_or_saveexec_b64 s[6:7], s[6:7]
	v_mov_b32_e32 v13, s10
	s_xor_b64 exec, exec, s[6:7]
	s_cbranch_execz .LBB1_1114
; %bb.11107:
	s_getpc_b64 s[14:15]
.Lpost_getpc1457:
	s_add_u32 s14, s14, (.LBB1_5212-.Lpost_getpc1457)&4294967295
	s_addc_u32 s15, s15, (.LBB1_5212-.Lpost_getpc1457)>>32
	s_setpc_b64 s[14:15]
.LBB1_1114:
	s_or_b64 exec, exec, s[6:7]
	s_and_saveexec_b64 s[6:7], s[4:5]
	s_cbranch_execz .LBB1_1116
.LBB1_1115:
	v_bfe_u32 v13, v18, 24, 3
	v_ffbh_u32_e32 v20, v13
	v_min_u32_e32 v20, 32, v20
	v_lshrrev_b32_e32 v16, 27, v18
	v_subrev_u32_e32 v21, 28, v20
	v_and_b32_e32 v14, 0x80000000, v18
	v_and_b32_e32 v16, 15, v16
	v_bfe_u32 v17, v18, 27, 4
	v_lshlrev_b32_sdwa v18, v21, v18 dst_sel:DWORD dst_unused:UNUSED_PAD src0_sel:DWORD src1_sel:BYTE_3
	v_sub_u32_e32 v20, 29, v20
	v_and_b32_e32 v18, 7, v18
	v_cmp_eq_u16_e32 vcc, 0, v16
	v_cndmask_b32_e32 v13, v13, v18, vcc
	v_cndmask_b32_e32 v16, v17, v20, vcc
	v_mov_b32_e32 v17, 0x3b800000
	v_lshlrev_b32_e32 v13, 20, v13
	v_lshl_add_u32 v16, v16, 23, v17
	v_or3_b32 v13, v14, v16, v13
.LBB1_1116:
	s_or_b64 exec, exec, s[6:7]
	s_movk_i32 s4, 0x7f
	v_cmp_gt_i16_sdwa s[6:7], v12, s4 src0_sel:BYTE_3 src1_sel:DWORD
	s_mov_b64 s[4:5], 0
                                        ; implicit-def: $sgpr10
	s_and_saveexec_b64 s[8:9], s[6:7]
	s_xor_b64 s[6:7], exec, s[8:9]
	s_cbranch_execz .LBB1_1117
; %bb.11109:
	s_getpc_b64 s[14:15]
.Lpost_getpc1458:
	s_add_u32 s14, s14, (.LBB1_5213-.Lpost_getpc1458)&4294967295
	s_addc_u32 s15, s15, (.LBB1_5213-.Lpost_getpc1458)>>32
	s_setpc_b64 s[14:15]
.LBB1_1117:
	s_or_saveexec_b64 s[6:7], s[6:7]
	v_mov_b32_e32 v14, s10
	s_xor_b64 exec, exec, s[6:7]
	s_cbranch_execz .LBB1_1118
; %bb.11111:
	s_getpc_b64 s[14:15]
.Lpost_getpc1459:
	s_add_u32 s14, s14, (.LBB1_5216-.Lpost_getpc1459)&4294967295
	s_addc_u32 s15, s15, (.LBB1_5216-.Lpost_getpc1459)>>32
	s_setpc_b64 s[14:15]
.LBB1_1118:
	s_or_b64 exec, exec, s[6:7]
	s_and_saveexec_b64 s[6:7], s[4:5]
	s_cbranch_execz .LBB1_1120
.LBB1_1119:
	v_bfe_u32 v14, v12, 24, 2
	v_ffbh_u32_e32 v20, v14
	v_min_u32_e32 v20, 32, v20
	v_lshrrev_b32_e32 v17, 26, v12
	v_subrev_u32_e32 v21, 29, v20
	v_and_b32_e32 v16, 0x80000000, v12
	v_and_b32_e32 v17, 31, v17
	v_bfe_u32 v18, v12, 26, 5
	v_lshlrev_b32_sdwa v12, v21, v12 dst_sel:DWORD dst_unused:UNUSED_PAD src0_sel:DWORD src1_sel:BYTE_3
	v_sub_u32_e32 v20, 30, v20
	v_and_b32_e32 v12, 3, v12
	v_cmp_eq_u16_e32 vcc, 0, v17
	v_cndmask_b32_e32 v12, v14, v12, vcc
	v_cndmask_b32_e32 v14, v18, v20, vcc
	v_mov_b32_e32 v17, 0x37800000
	v_lshlrev_b32_e32 v12, 21, v12
	v_lshl_add_u32 v14, v14, 23, v17
	v_or3_b32 v14, v16, v14, v12
.LBB1_1120:
	s_or_b64 exec, exec, s[6:7]
	s_nop 0
	v_mfma_f32_16x16x4f32 a[0:3], v13, v14, a[0:3]
	s_movk_i32 s4, 0x7f
	v_cmp_gt_i16_sdwa s[6:7], v19, s4 src0_sel:BYTE_0 src1_sel:DWORD
	s_mov_b64 s[4:5], 0
                                        ; implicit-def: $sgpr10
	s_and_saveexec_b64 s[8:9], s[6:7]
	s_xor_b64 s[6:7], exec, s[8:9]
	s_cbranch_execz .LBB1_1121
; %bb.11113:
	s_getpc_b64 s[14:15]
.Lpost_getpc1460:
	s_add_u32 s14, s14, (.LBB1_5217-.Lpost_getpc1460)&4294967295
	s_addc_u32 s15, s15, (.LBB1_5217-.Lpost_getpc1460)>>32
	s_setpc_b64 s[14:15]
.LBB1_1121:
	s_or_saveexec_b64 s[6:7], s[6:7]
	v_mov_b32_e32 v12, s10
	s_xor_b64 exec, exec, s[6:7]
	s_cbranch_execz .LBB1_1122
; %bb.11115:
	s_getpc_b64 s[14:15]
.Lpost_getpc1461:
	s_add_u32 s14, s14, (.LBB1_5220-.Lpost_getpc1461)&4294967295
	s_addc_u32 s15, s15, (.LBB1_5220-.Lpost_getpc1461)>>32
	s_setpc_b64 s[14:15]
.LBB1_1122:
	s_or_b64 exec, exec, s[6:7]
	s_and_saveexec_b64 s[6:7], s[4:5]
	s_cbranch_execz .LBB1_1124
.LBB1_1123:
	v_mov_b32_e32 v12, 8
	v_and_b32_e32 v13, 7, v19
	v_lshrrev_b32_sdwa v12, v12, v19 dst_sel:BYTE_1 dst_unused:UNUSED_PAD src0_sel:DWORD src1_sel:DWORD
	v_ffbh_u32_e32 v14, v13
	v_or_b32_sdwa v12, v19, v12 dst_sel:DWORD dst_unused:UNUSED_PAD src0_sel:BYTE_0 src1_sel:DWORD
	v_min_u32_e32 v14, 32, v14
	v_lshrrev_b16_e32 v12, 3, v12
	v_subrev_u32_e32 v16, 28, v14
	v_and_b32_e32 v12, 15, v12
	v_lshlrev_b32_e32 v16, v16, v19
	v_sub_u32_e32 v14, 29, v14
	v_and_b32_e32 v16, 7, v16
	v_cmp_eq_u16_e32 vcc, 0, v12
	v_cndmask_b32_e32 v13, v13, v16, vcc
	v_cndmask_b32_e32 v12, v12, v14, vcc
	v_lshlrev_b32_e32 v14, 24, v19
	v_mov_b32_e32 v16, 0x3b800000
	v_lshlrev_b32_e32 v13, 20, v13
	v_and_b32_e32 v14, 0x80000000, v14
	v_lshl_add_u32 v12, v12, 23, v16
	v_or3_b32 v12, v14, v12, v13
.LBB1_1124:
	s_or_b64 exec, exec, s[6:7]
	s_movk_i32 s4, 0x7f
	v_cmp_gt_i16_sdwa s[6:7], v15, s4 src0_sel:BYTE_0 src1_sel:DWORD
	s_mov_b64 s[4:5], 0
                                        ; implicit-def: $sgpr10
	s_and_saveexec_b64 s[8:9], s[6:7]
	s_xor_b64 s[6:7], exec, s[8:9]
	s_cbranch_execz .LBB1_1125
; %bb.11117:
	s_getpc_b64 s[14:15]
.Lpost_getpc1462:
	s_add_u32 s14, s14, (.LBB1_5221-.Lpost_getpc1462)&4294967295
	s_addc_u32 s15, s15, (.LBB1_5221-.Lpost_getpc1462)>>32
	s_setpc_b64 s[14:15]
.LBB1_1125:
	s_or_saveexec_b64 s[6:7], s[6:7]
	v_mov_b32_e32 v13, s10
	s_xor_b64 exec, exec, s[6:7]
	s_cbranch_execz .LBB1_1126
; %bb.11119:
	s_getpc_b64 s[14:15]
.Lpost_getpc1463:
	s_add_u32 s14, s14, (.LBB1_5224-.Lpost_getpc1463)&4294967295
	s_addc_u32 s15, s15, (.LBB1_5224-.Lpost_getpc1463)>>32
	s_setpc_b64 s[14:15]
.LBB1_1126:
	s_or_b64 exec, exec, s[6:7]
	s_and_saveexec_b64 s[6:7], s[4:5]
	s_cbranch_execz .LBB1_1128
.LBB1_1127:
	v_and_b32_e32 v13, 3, v15
	v_ffbh_u32_e32 v16, v13
	v_min_u32_e32 v16, 32, v16
	v_lshrrev_b16_e32 v14, 2, v15
	v_subrev_u32_e32 v17, 29, v16
	v_and_b32_e32 v14, 31, v14
	v_lshlrev_b32_e32 v17, v17, v15
	v_sub_u32_e32 v16, 30, v16
	v_and_b32_e32 v17, 3, v17
	v_cmp_eq_u16_e32 vcc, 0, v14
	v_cndmask_b32_e32 v13, v13, v17, vcc
	v_cndmask_b32_e32 v14, v14, v16, vcc
	v_lshlrev_b32_e32 v16, 24, v15
	v_mov_b32_e32 v17, 0x37800000
	v_lshlrev_b32_e32 v13, 21, v13
	v_and_b32_e32 v16, 0x80000000, v16
	v_lshl_add_u32 v14, v14, 23, v17
	v_or3_b32 v13, v16, v14, v13
.LBB1_1128:
	s_or_b64 exec, exec, s[6:7]
	s_nop 0
	v_mfma_f32_16x16x4f32 a[0:3], v12, v13, a[0:3]
	v_lshrrev_b32_e32 v13, 8, v19
	s_movk_i32 s4, 0x7f
	v_cmp_gt_i16_sdwa s[6:7], v13, s4 src0_sel:BYTE_0 src1_sel:DWORD
	s_mov_b64 s[4:5], 0
                                        ; implicit-def: $sgpr10
	s_and_saveexec_b64 s[8:9], s[6:7]
	s_xor_b64 s[6:7], exec, s[8:9]
	s_cbranch_execz .LBB1_1129
; %bb.11121:
	s_getpc_b64 s[14:15]
.Lpost_getpc1464:
	s_add_u32 s14, s14, (.LBB1_5225-.Lpost_getpc1464)&4294967295
	s_addc_u32 s15, s15, (.LBB1_5225-.Lpost_getpc1464)>>32
	s_setpc_b64 s[14:15]
.LBB1_1129:
	s_or_saveexec_b64 s[6:7], s[6:7]
	v_mov_b32_e32 v12, s10
	s_xor_b64 exec, exec, s[6:7]
	s_cbranch_execz .LBB1_1130
; %bb.11123:
	s_getpc_b64 s[14:15]
.Lpost_getpc1465:
	s_add_u32 s14, s14, (.LBB1_5228-.Lpost_getpc1465)&4294967295
	s_addc_u32 s15, s15, (.LBB1_5228-.Lpost_getpc1465)>>32
	s_setpc_b64 s[14:15]
.LBB1_1130:
	s_or_b64 exec, exec, s[6:7]
	s_and_saveexec_b64 s[6:7], s[4:5]
	s_cbranch_execz .LBB1_1132
.LBB1_1131:
	v_bfe_u32 v12, v19, 8, 3
	v_ffbh_u32_e32 v16, v12
	v_min_u32_e32 v16, 32, v16
	v_lshrrev_b16_e32 v14, 3, v13
	v_subrev_u32_e32 v17, 28, v16
	v_and_b32_e32 v14, 15, v14
	v_lshlrev_b32_e32 v13, v17, v13
	v_sub_u32_e32 v16, 29, v16
	v_and_b32_e32 v13, 7, v13
	v_cmp_eq_u16_e32 vcc, 0, v14
	v_cndmask_b32_e32 v12, v12, v13, vcc
	v_cndmask_b32_e32 v13, v14, v16, vcc
	v_lshlrev_b32_e32 v14, 16, v19
	v_mov_b32_e32 v16, 0x3b800000
	v_lshlrev_b32_e32 v12, 20, v12
	v_and_b32_e32 v14, 0x80000000, v14
	v_lshl_add_u32 v13, v13, 23, v16
	v_or3_b32 v12, v14, v13, v12
.LBB1_1132:
	s_or_b64 exec, exec, s[6:7]
	v_lshrrev_b32_e32 v13, 8, v15
	s_movk_i32 s4, 0x7f
	v_cmp_gt_i16_sdwa s[6:7], v13, s4 src0_sel:BYTE_0 src1_sel:DWORD
	s_mov_b64 s[4:5], 0
                                        ; implicit-def: $sgpr10
	s_and_saveexec_b64 s[8:9], s[6:7]
	s_xor_b64 s[6:7], exec, s[8:9]
	s_cbranch_execz .LBB1_1133
; %bb.11125:
	s_getpc_b64 s[14:15]
.Lpost_getpc1466:
	s_add_u32 s14, s14, (.LBB1_5229-.Lpost_getpc1466)&4294967295
	s_addc_u32 s15, s15, (.LBB1_5229-.Lpost_getpc1466)>>32
	s_setpc_b64 s[14:15]
.LBB1_1133:
	s_or_saveexec_b64 s[6:7], s[6:7]
	v_mov_b32_e32 v14, s10
	s_xor_b64 exec, exec, s[6:7]
	s_cbranch_execz .LBB1_1134
; %bb.11127:
	s_getpc_b64 s[14:15]
.Lpost_getpc1467:
	s_add_u32 s14, s14, (.LBB1_5232-.Lpost_getpc1467)&4294967295
	s_addc_u32 s15, s15, (.LBB1_5232-.Lpost_getpc1467)>>32
	s_setpc_b64 s[14:15]
.LBB1_1134:
	s_or_b64 exec, exec, s[6:7]
	s_and_saveexec_b64 s[6:7], s[4:5]
	s_cbranch_execz .LBB1_1136
.LBB1_1135:
	v_bfe_u32 v14, v15, 8, 2
	v_ffbh_u32_e32 v17, v14
	v_min_u32_e32 v17, 32, v17
	v_lshrrev_b16_e32 v16, 2, v13
	v_subrev_u32_e32 v18, 29, v17
	v_and_b32_e32 v16, 31, v16
	v_lshlrev_b32_e32 v13, v18, v13
	v_sub_u32_e32 v17, 30, v17
	v_and_b32_e32 v13, 3, v13
	v_cmp_eq_u16_e32 vcc, 0, v16
	v_cndmask_b32_e32 v13, v14, v13, vcc
	v_cndmask_b32_e32 v14, v16, v17, vcc
	v_lshlrev_b32_e32 v16, 16, v15
	v_mov_b32_e32 v17, 0x37800000
	v_lshlrev_b32_e32 v13, 21, v13
	v_and_b32_e32 v16, 0x80000000, v16
	v_lshl_add_u32 v14, v14, 23, v17
	v_or3_b32 v14, v16, v14, v13
.LBB1_1136:
	s_or_b64 exec, exec, s[6:7]
	s_nop 0
	v_mfma_f32_16x16x4f32 a[0:3], v12, v14, a[0:3]
	s_movk_i32 s4, 0xff
	v_and_b32_sdwa v13, v19, s4 dst_sel:DWORD dst_unused:UNUSED_PAD src0_sel:WORD_1 src1_sel:DWORD
	s_movk_i32 s4, 0x7f
	v_cmp_lt_i16_e32 vcc, s4, v13
	s_mov_b64 s[4:5], 0
                                        ; implicit-def: $sgpr10
	s_and_saveexec_b64 s[6:7], vcc
	s_xor_b64 s[6:7], exec, s[6:7]
	s_cbranch_execz .LBB1_1137
; %bb.11129:
	s_getpc_b64 s[14:15]
.Lpost_getpc1468:
	s_add_u32 s14, s14, (.LBB1_5233-.Lpost_getpc1468)&4294967295
	s_addc_u32 s15, s15, (.LBB1_5233-.Lpost_getpc1468)>>32
	s_setpc_b64 s[14:15]
.LBB1_1137:
	s_or_saveexec_b64 s[6:7], s[6:7]
	v_mov_b32_e32 v12, s10
	s_xor_b64 exec, exec, s[6:7]
	s_cbranch_execz .LBB1_1138
; %bb.11131:
	s_getpc_b64 s[14:15]
.Lpost_getpc1469:
	s_add_u32 s14, s14, (.LBB1_5236-.Lpost_getpc1469)&4294967295
	s_addc_u32 s15, s15, (.LBB1_5236-.Lpost_getpc1469)>>32
	s_setpc_b64 s[14:15]
.LBB1_1138:
	s_or_b64 exec, exec, s[6:7]
	s_and_saveexec_b64 s[6:7], s[4:5]
	s_cbranch_execz .LBB1_1140
.LBB1_1139:
	v_bfe_u32 v12, v19, 16, 3
	v_ffbh_u32_e32 v16, v12
	v_min_u32_e32 v16, 32, v16
	v_lshrrev_b32_e32 v13, 19, v19
	v_subrev_u32_e32 v17, 28, v16
	v_and_b32_e32 v13, 15, v13
	v_lshlrev_b32_sdwa v17, v17, v19 dst_sel:DWORD dst_unused:UNUSED_PAD src0_sel:DWORD src1_sel:WORD_1
	v_bfe_u32 v14, v19, 19, 4
	v_sub_u32_e32 v16, 29, v16
	v_and_b32_e32 v17, 7, v17
	v_cmp_eq_u16_e32 vcc, 0, v13
	v_cndmask_b32_e32 v12, v12, v17, vcc
	v_cndmask_b32_e32 v13, v14, v16, vcc
	v_lshlrev_b32_e32 v14, 8, v19
	v_mov_b32_e32 v16, 0x3b800000
	v_lshlrev_b32_e32 v12, 20, v12
	v_and_b32_e32 v14, 0x80000000, v14
	v_lshl_add_u32 v13, v13, 23, v16
	v_or3_b32 v12, v14, v13, v12
.LBB1_1140:
	s_or_b64 exec, exec, s[6:7]
	s_movk_i32 s4, 0xff
	v_and_b32_sdwa v13, v15, s4 dst_sel:DWORD dst_unused:UNUSED_PAD src0_sel:WORD_1 src1_sel:DWORD
	s_movk_i32 s4, 0x7f
	v_cmp_lt_i16_e32 vcc, s4, v13
	s_mov_b64 s[4:5], 0
                                        ; implicit-def: $sgpr10
	s_and_saveexec_b64 s[6:7], vcc
	s_xor_b64 s[6:7], exec, s[6:7]
	s_cbranch_execz .LBB1_1141
; %bb.11133:
	s_getpc_b64 s[14:15]
.Lpost_getpc1470:
	s_add_u32 s14, s14, (.LBB1_5237-.Lpost_getpc1470)&4294967295
	s_addc_u32 s15, s15, (.LBB1_5237-.Lpost_getpc1470)>>32
	s_setpc_b64 s[14:15]
.LBB1_1141:
	s_or_saveexec_b64 s[6:7], s[6:7]
	v_mov_b32_e32 v14, s10
	s_xor_b64 exec, exec, s[6:7]
	s_cbranch_execz .LBB1_1142
; %bb.11135:
	s_getpc_b64 s[14:15]
.Lpost_getpc1471:
	s_add_u32 s14, s14, (.LBB1_5240-.Lpost_getpc1471)&4294967295
	s_addc_u32 s15, s15, (.LBB1_5240-.Lpost_getpc1471)>>32
	s_setpc_b64 s[14:15]
.LBB1_1142:
	s_or_b64 exec, exec, s[6:7]
	s_and_saveexec_b64 s[6:7], s[4:5]
	s_cbranch_execz .LBB1_1144
.LBB1_1143:
	v_bfe_u32 v13, v15, 16, 2
	v_ffbh_u32_e32 v17, v13
	v_min_u32_e32 v17, 32, v17
	v_lshrrev_b32_e32 v14, 18, v15
	v_subrev_u32_e32 v18, 29, v17
	v_and_b32_e32 v14, 31, v14
	v_lshlrev_b32_sdwa v18, v18, v15 dst_sel:DWORD dst_unused:UNUSED_PAD src0_sel:DWORD src1_sel:WORD_1
	v_bfe_u32 v16, v15, 18, 5
	v_sub_u32_e32 v17, 30, v17
	v_and_b32_e32 v18, 3, v18
	v_cmp_eq_u16_e32 vcc, 0, v14
	v_cndmask_b32_e32 v13, v13, v18, vcc
	v_cndmask_b32_e32 v14, v16, v17, vcc
	v_lshlrev_b32_e32 v16, 8, v15
	v_mov_b32_e32 v17, 0x37800000
	v_lshlrev_b32_e32 v13, 21, v13
	v_and_b32_e32 v16, 0x80000000, v16
	v_lshl_add_u32 v14, v14, 23, v17
	v_or3_b32 v14, v16, v14, v13
.LBB1_1144:
	s_or_b64 exec, exec, s[6:7]
	s_nop 0
	v_mfma_f32_16x16x4f32 a[0:3], v12, v14, a[0:3]
	s_movk_i32 s4, 0x7f
	v_cmp_gt_i16_sdwa s[6:7], v19, s4 src0_sel:BYTE_3 src1_sel:DWORD
	s_mov_b64 s[4:5], 0
                                        ; implicit-def: $sgpr10
	s_and_saveexec_b64 s[8:9], s[6:7]
	s_xor_b64 s[6:7], exec, s[8:9]
	s_cbranch_execz .LBB1_1145
; %bb.11137:
	s_getpc_b64 s[14:15]
.Lpost_getpc1472:
	s_add_u32 s14, s14, (.LBB1_5241-.Lpost_getpc1472)&4294967295
	s_addc_u32 s15, s15, (.LBB1_5241-.Lpost_getpc1472)>>32
	s_setpc_b64 s[14:15]
.LBB1_1145:
	s_or_saveexec_b64 s[6:7], s[6:7]
	v_mov_b32_e32 v12, s10
	s_xor_b64 exec, exec, s[6:7]
	s_cbranch_execz .LBB1_1146
; %bb.11139:
	s_getpc_b64 s[14:15]
.Lpost_getpc1473:
	s_add_u32 s14, s14, (.LBB1_5244-.Lpost_getpc1473)&4294967295
	s_addc_u32 s15, s15, (.LBB1_5244-.Lpost_getpc1473)>>32
	s_setpc_b64 s[14:15]
.LBB1_1146:
	s_or_b64 exec, exec, s[6:7]
	s_and_saveexec_b64 s[6:7], s[4:5]
	s_cbranch_execz .LBB1_1148
.LBB1_1147:
	v_bfe_u32 v12, v19, 24, 3
	v_ffbh_u32_e32 v17, v12
	v_min_u32_e32 v17, 32, v17
	v_lshrrev_b32_e32 v14, 27, v19
	v_subrev_u32_e32 v18, 28, v17
	v_and_b32_e32 v14, 15, v14
	v_lshlrev_b32_sdwa v18, v18, v19 dst_sel:DWORD dst_unused:UNUSED_PAD src0_sel:DWORD src1_sel:BYTE_3
	v_bfe_u32 v16, v19, 27, 4
	v_sub_u32_e32 v17, 29, v17
	v_and_b32_e32 v18, 7, v18
	v_cmp_eq_u16_e32 vcc, 0, v14
	v_cndmask_b32_e32 v12, v12, v18, vcc
	v_cndmask_b32_e32 v14, v16, v17, vcc
	v_mov_b32_e32 v16, 0x3b800000
	v_and_b32_e32 v13, 0x80000000, v19
	v_lshlrev_b32_e32 v12, 20, v12
	v_lshl_add_u32 v14, v14, 23, v16
	v_or3_b32 v12, v13, v14, v12
.LBB1_1148:
	s_or_b64 exec, exec, s[6:7]
	s_movk_i32 s4, 0x7f
	v_cmp_gt_i16_sdwa s[6:7], v15, s4 src0_sel:BYTE_3 src1_sel:DWORD
	s_mov_b64 s[4:5], 0
                                        ; implicit-def: $sgpr10
	s_and_saveexec_b64 s[8:9], s[6:7]
	s_xor_b64 s[6:7], exec, s[8:9]
	s_cbranch_execz .LBB1_1149
; %bb.11141:
	s_getpc_b64 s[14:15]
.Lpost_getpc1474:
	s_add_u32 s14, s14, (.LBB1_5245-.Lpost_getpc1474)&4294967295
	s_addc_u32 s15, s15, (.LBB1_5245-.Lpost_getpc1474)>>32
	s_setpc_b64 s[14:15]
.LBB1_1149:
	s_or_saveexec_b64 s[6:7], s[6:7]
	v_mov_b32_e32 v13, s10
	s_xor_b64 exec, exec, s[6:7]
	s_cbranch_execz .LBB1_1150
; %bb.11143:
	s_getpc_b64 s[14:15]
.Lpost_getpc1475:
	s_add_u32 s14, s14, (.LBB1_5248-.Lpost_getpc1475)&4294967295
	s_addc_u32 s15, s15, (.LBB1_5248-.Lpost_getpc1475)>>32
	s_setpc_b64 s[14:15]
.LBB1_1150:
	s_or_b64 exec, exec, s[6:7]
	s_and_saveexec_b64 s[6:7], s[4:5]
	s_cbranch_execz .LBB1_1152
.LBB1_1151:
	v_bfe_u32 v13, v15, 24, 2
	v_ffbh_u32_e32 v18, v13
	v_min_u32_e32 v18, 32, v18
	v_lshrrev_b32_e32 v16, 26, v15
	v_subrev_u32_e32 v19, 29, v18
	v_and_b32_e32 v14, 0x80000000, v15
	v_and_b32_e32 v16, 31, v16
	v_bfe_u32 v17, v15, 26, 5
	v_lshlrev_b32_sdwa v15, v19, v15 dst_sel:DWORD dst_unused:UNUSED_PAD src0_sel:DWORD src1_sel:BYTE_3
	v_sub_u32_e32 v18, 30, v18
	v_and_b32_e32 v15, 3, v15
	v_cmp_eq_u16_e32 vcc, 0, v16
	v_cndmask_b32_e32 v13, v13, v15, vcc
	v_cndmask_b32_e32 v15, v17, v18, vcc
	v_mov_b32_e32 v16, 0x37800000
	v_lshlrev_b32_e32 v13, 21, v13
	v_lshl_add_u32 v15, v15, 23, v16
	v_or3_b32 v13, v14, v15, v13
.LBB1_1152:
	s_or_b64 exec, exec, s[6:7]
	s_nop 0
	v_mfma_f32_16x16x4f32 a[0:3], v12, v13, a[0:3]
	v_mov_b32_e32 v16, 8
	s_movk_i32 s4, 0x7f
                                        ; implicit-def: $sgpr10
	s_nop 7
	s_nop 0
	flat_store_dwordx4 v[10:11], a[0:3] offset:128
	flat_load_dword v14, v[0:1] offset:544
	flat_load_dwordx2 v[12:13], v[6:7]
	s_waitcnt vmcnt(0) lgkmcnt(0)
	v_ashrrev_i32_e32 v15, 31, v14
	v_add_co_u32_e32 v12, vcc, v12, v14
	v_addc_co_u32_e32 v13, vcc, v13, v15, vcc
	flat_load_dwordx4 v[12:15], v[12:13] offset:512
	s_waitcnt vmcnt(0) lgkmcnt(0)
	v_lshrrev_b32_sdwa v20, v16, v14 dst_sel:BYTE_1 dst_unused:UNUSED_PAD src0_sel:DWORD src1_sel:DWORD
	flat_store_dwordx4 v[8:9], v[12:15]
	flat_load_dwordx4 v[16:19], v[4:5]
	s_waitcnt vmcnt(0) lgkmcnt(0)
	v_cmp_gt_i16_sdwa s[6:7], v16, s4 src0_sel:BYTE_0 src1_sel:DWORD
	s_mov_b64 s[4:5], 0
	s_and_saveexec_b64 s[8:9], s[6:7]
	s_xor_b64 s[6:7], exec, s[8:9]
	s_cbranch_execz .LBB1_1153
; %bb.11145:
	s_getpc_b64 s[14:15]
.Lpost_getpc1476:
	s_add_u32 s14, s14, (.LBB1_5249-.Lpost_getpc1476)&4294967295
	s_addc_u32 s15, s15, (.LBB1_5249-.Lpost_getpc1476)>>32
	s_setpc_b64 s[14:15]
.LBB1_1153:
	s_or_saveexec_b64 s[6:7], s[6:7]
	v_mov_b32_e32 v21, s10
	s_xor_b64 exec, exec, s[6:7]
	s_cbranch_execz .LBB1_1154
; %bb.11147:
	s_getpc_b64 s[14:15]
.Lpost_getpc1477:
	s_add_u32 s14, s14, (.LBB1_5252-.Lpost_getpc1477)&4294967295
	s_addc_u32 s15, s15, (.LBB1_5252-.Lpost_getpc1477)>>32
	s_setpc_b64 s[14:15]
.LBB1_1154:
	s_or_b64 exec, exec, s[6:7]
	s_and_saveexec_b64 s[6:7], s[4:5]
	s_cbranch_execz .LBB1_1156
.LBB1_1155:
	v_and_b32_e32 v21, 7, v16
	v_ffbh_u32_e32 v23, v21
	v_min_u32_e32 v23, 32, v23
	v_lshrrev_b16_e32 v22, 3, v16
	v_subrev_u32_e32 v24, 28, v23
	v_and_b32_e32 v22, 15, v22
	v_lshlrev_b32_e32 v24, v24, v16
	v_sub_u32_e32 v23, 29, v23
	v_and_b32_e32 v24, 7, v24
	v_cmp_eq_u16_e32 vcc, 0, v22
	v_cndmask_b32_e32 v21, v21, v24, vcc
	v_cndmask_b32_e32 v22, v22, v23, vcc
	v_lshlrev_b32_e32 v23, 24, v16
	v_mov_b32_e32 v24, 0x3b800000
	v_lshlrev_b32_e32 v21, 20, v21
	v_and_b32_e32 v23, 0x80000000, v23
	v_lshl_add_u32 v22, v22, 23, v24
	v_or3_b32 v21, v23, v22, v21
.LBB1_1156:
	s_or_b64 exec, exec, s[6:7]
	s_movk_i32 s4, 0x7f
	v_cmp_gt_i16_sdwa s[6:7], v12, s4 src0_sel:BYTE_0 src1_sel:DWORD
	s_mov_b64 s[4:5], 0
                                        ; implicit-def: $sgpr10
	s_and_saveexec_b64 s[8:9], s[6:7]
	s_xor_b64 s[6:7], exec, s[8:9]
	s_cbranch_execz .LBB1_1157
; %bb.11149:
	s_getpc_b64 s[14:15]
.Lpost_getpc1478:
	s_add_u32 s14, s14, (.LBB1_5253-.Lpost_getpc1478)&4294967295
	s_addc_u32 s15, s15, (.LBB1_5253-.Lpost_getpc1478)>>32
	s_setpc_b64 s[14:15]
.LBB1_1157:
	s_or_saveexec_b64 s[6:7], s[6:7]
	v_mov_b32_e32 v22, s10
	s_xor_b64 exec, exec, s[6:7]
	s_cbranch_execz .LBB1_1158
; %bb.11151:
	s_getpc_b64 s[14:15]
.Lpost_getpc1479:
	s_add_u32 s14, s14, (.LBB1_5256-.Lpost_getpc1479)&4294967295
	s_addc_u32 s15, s15, (.LBB1_5256-.Lpost_getpc1479)>>32
	s_setpc_b64 s[14:15]
.LBB1_1158:
	s_or_b64 exec, exec, s[6:7]
	s_and_saveexec_b64 s[6:7], s[4:5]
	s_cbranch_execz .LBB1_1160
.LBB1_1159:
	v_and_b32_e32 v22, 3, v12
	v_ffbh_u32_e32 v24, v22
	v_min_u32_e32 v24, 32, v24
	v_lshrrev_b16_e32 v23, 2, v12
	v_subrev_u32_e32 v25, 29, v24
	v_and_b32_e32 v23, 31, v23
	v_lshlrev_b32_e32 v25, v25, v12
	v_sub_u32_e32 v24, 30, v24
	v_and_b32_e32 v25, 3, v25
	v_cmp_eq_u16_e32 vcc, 0, v23
	v_cndmask_b32_e32 v22, v22, v25, vcc
	v_cndmask_b32_e32 v23, v23, v24, vcc
	v_lshlrev_b32_e32 v24, 24, v12
	v_mov_b32_e32 v25, 0x37800000
	v_lshlrev_b32_e32 v22, 21, v22
	v_and_b32_e32 v24, 0x80000000, v24
	v_lshl_add_u32 v23, v23, 23, v25
	v_or3_b32 v22, v24, v23, v22
.LBB1_1160:
	s_or_b64 exec, exec, s[6:7]
	flat_load_dwordx4 a[0:3], v[10:11] offset:144
	s_movk_i32 s4, 0x7f
                                        ; implicit-def: $sgpr10
	s_waitcnt vmcnt(0) lgkmcnt(0)
	v_mfma_f32_16x16x4f32 a[0:3], v21, v22, a[0:3]
	v_lshrrev_b32_e32 v22, 8, v16
	v_cmp_gt_i16_sdwa s[6:7], v22, s4 src0_sel:BYTE_0 src1_sel:DWORD
	s_mov_b64 s[4:5], 0
	s_and_saveexec_b64 s[8:9], s[6:7]
	s_xor_b64 s[6:7], exec, s[8:9]
	s_cbranch_execz .LBB1_1161
; %bb.11153:
	s_getpc_b64 s[14:15]
.Lpost_getpc1480:
	s_add_u32 s14, s14, (.LBB1_5257-.Lpost_getpc1480)&4294967295
	s_addc_u32 s15, s15, (.LBB1_5257-.Lpost_getpc1480)>>32
	s_setpc_b64 s[14:15]
.LBB1_1161:
	s_or_saveexec_b64 s[6:7], s[6:7]
	v_mov_b32_e32 v21, s10
	s_xor_b64 exec, exec, s[6:7]
	s_cbranch_execz .LBB1_1162
; %bb.11155:
	s_getpc_b64 s[14:15]
.Lpost_getpc1481:
	s_add_u32 s14, s14, (.LBB1_5260-.Lpost_getpc1481)&4294967295
	s_addc_u32 s15, s15, (.LBB1_5260-.Lpost_getpc1481)>>32
	s_setpc_b64 s[14:15]
.LBB1_1162:
	s_or_b64 exec, exec, s[6:7]
	s_and_saveexec_b64 s[6:7], s[4:5]
	s_cbranch_execz .LBB1_1164
.LBB1_1163:
	v_bfe_u32 v21, v16, 8, 3
	v_ffbh_u32_e32 v24, v21
	v_min_u32_e32 v24, 32, v24
	v_lshrrev_b16_e32 v23, 3, v22
	v_subrev_u32_e32 v25, 28, v24
	v_and_b32_e32 v23, 15, v23
	v_lshlrev_b32_e32 v22, v25, v22
	v_sub_u32_e32 v24, 29, v24
	v_and_b32_e32 v22, 7, v22
	v_cmp_eq_u16_e32 vcc, 0, v23
	v_cndmask_b32_e32 v21, v21, v22, vcc
	v_cndmask_b32_e32 v22, v23, v24, vcc
	v_lshlrev_b32_e32 v23, 16, v16
	v_mov_b32_e32 v24, 0x3b800000
	v_lshlrev_b32_e32 v21, 20, v21
	v_and_b32_e32 v23, 0x80000000, v23
	v_lshl_add_u32 v22, v22, 23, v24
	v_or3_b32 v21, v23, v22, v21
.LBB1_1164:
	s_or_b64 exec, exec, s[6:7]
	v_lshrrev_b32_e32 v22, 8, v12
	s_movk_i32 s4, 0x7f
	v_cmp_gt_i16_sdwa s[6:7], v22, s4 src0_sel:BYTE_0 src1_sel:DWORD
	s_mov_b64 s[4:5], 0
                                        ; implicit-def: $sgpr10
	s_and_saveexec_b64 s[8:9], s[6:7]
	s_xor_b64 s[6:7], exec, s[8:9]
	s_cbranch_execz .LBB1_1165
; %bb.11157:
	s_getpc_b64 s[14:15]
.Lpost_getpc1482:
	s_add_u32 s14, s14, (.LBB1_5261-.Lpost_getpc1482)&4294967295
	s_addc_u32 s15, s15, (.LBB1_5261-.Lpost_getpc1482)>>32
	s_setpc_b64 s[14:15]
.LBB1_1165:
	s_or_saveexec_b64 s[6:7], s[6:7]
	v_mov_b32_e32 v23, s10
	s_xor_b64 exec, exec, s[6:7]
	s_cbranch_execz .LBB1_1166
; %bb.11159:
	s_getpc_b64 s[14:15]
.Lpost_getpc1483:
	s_add_u32 s14, s14, (.LBB1_5264-.Lpost_getpc1483)&4294967295
	s_addc_u32 s15, s15, (.LBB1_5264-.Lpost_getpc1483)>>32
	s_setpc_b64 s[14:15]
.LBB1_1166:
	s_or_b64 exec, exec, s[6:7]
	s_and_saveexec_b64 s[6:7], s[4:5]
	s_cbranch_execz .LBB1_1168
.LBB1_1167:
	v_bfe_u32 v23, v12, 8, 2
	v_ffbh_u32_e32 v25, v23
	v_min_u32_e32 v25, 32, v25
	v_lshrrev_b16_e32 v24, 2, v22
	v_subrev_u32_e32 v26, 29, v25
	v_and_b32_e32 v24, 31, v24
	v_lshlrev_b32_e32 v22, v26, v22
	v_sub_u32_e32 v25, 30, v25
	v_and_b32_e32 v22, 3, v22
	v_cmp_eq_u16_e32 vcc, 0, v24
	v_cndmask_b32_e32 v22, v23, v22, vcc
	v_cndmask_b32_e32 v23, v24, v25, vcc
	v_lshlrev_b32_e32 v24, 16, v12
	v_mov_b32_e32 v25, 0x37800000
	v_lshlrev_b32_e32 v22, 21, v22
	v_and_b32_e32 v24, 0x80000000, v24
	v_lshl_add_u32 v23, v23, 23, v25
	v_or3_b32 v23, v24, v23, v22
.LBB1_1168:
	s_or_b64 exec, exec, s[6:7]
	s_nop 0
	v_mfma_f32_16x16x4f32 a[0:3], v21, v23, a[0:3]
	s_movk_i32 s4, 0xff
	v_and_b32_sdwa v22, v16, s4 dst_sel:DWORD dst_unused:UNUSED_PAD src0_sel:WORD_1 src1_sel:DWORD
	s_movk_i32 s4, 0x7f
	v_cmp_lt_i16_e32 vcc, s4, v22
	s_mov_b64 s[4:5], 0
                                        ; implicit-def: $sgpr10
	s_and_saveexec_b64 s[6:7], vcc
	s_xor_b64 s[6:7], exec, s[6:7]
	s_cbranch_execz .LBB1_1169
; %bb.11161:
	s_getpc_b64 s[14:15]
.Lpost_getpc1484:
	s_add_u32 s14, s14, (.LBB1_5265-.Lpost_getpc1484)&4294967295
	s_addc_u32 s15, s15, (.LBB1_5265-.Lpost_getpc1484)>>32
	s_setpc_b64 s[14:15]
.LBB1_1169:
	s_or_saveexec_b64 s[6:7], s[6:7]
	v_mov_b32_e32 v21, s10
	s_xor_b64 exec, exec, s[6:7]
	s_cbranch_execz .LBB1_1170
; %bb.11163:
	s_getpc_b64 s[14:15]
.Lpost_getpc1485:
	s_add_u32 s14, s14, (.LBB1_5268-.Lpost_getpc1485)&4294967295
	s_addc_u32 s15, s15, (.LBB1_5268-.Lpost_getpc1485)>>32
	s_setpc_b64 s[14:15]
.LBB1_1170:
	s_or_b64 exec, exec, s[6:7]
	s_and_saveexec_b64 s[6:7], s[4:5]
	s_cbranch_execz .LBB1_1172
.LBB1_1171:
	v_bfe_u32 v21, v16, 16, 3
	v_ffbh_u32_e32 v24, v21
	v_min_u32_e32 v24, 32, v24
	v_lshrrev_b32_e32 v22, 19, v16
	v_subrev_u32_e32 v25, 28, v24
	v_and_b32_e32 v22, 15, v22
	v_lshlrev_b32_sdwa v25, v25, v16 dst_sel:DWORD dst_unused:UNUSED_PAD src0_sel:DWORD src1_sel:WORD_1
	v_bfe_u32 v23, v16, 19, 4
	v_sub_u32_e32 v24, 29, v24
	v_and_b32_e32 v25, 7, v25
	v_cmp_eq_u16_e32 vcc, 0, v22
	v_cndmask_b32_e32 v21, v21, v25, vcc
	v_cndmask_b32_e32 v22, v23, v24, vcc
	v_lshlrev_b32_e32 v23, 8, v16
	v_mov_b32_e32 v24, 0x3b800000
	v_lshlrev_b32_e32 v21, 20, v21
	v_and_b32_e32 v23, 0x80000000, v23
	v_lshl_add_u32 v22, v22, 23, v24
	v_or3_b32 v21, v23, v22, v21
.LBB1_1172:
	s_or_b64 exec, exec, s[6:7]
	s_movk_i32 s4, 0xff
	v_and_b32_sdwa v22, v12, s4 dst_sel:DWORD dst_unused:UNUSED_PAD src0_sel:WORD_1 src1_sel:DWORD
	s_movk_i32 s4, 0x7f
	v_cmp_lt_i16_e32 vcc, s4, v22
	s_mov_b64 s[4:5], 0
                                        ; implicit-def: $sgpr10
	s_and_saveexec_b64 s[6:7], vcc
	s_xor_b64 s[6:7], exec, s[6:7]
	s_cbranch_execz .LBB1_1173
; %bb.11165:
	s_getpc_b64 s[14:15]
.Lpost_getpc1486:
	s_add_u32 s14, s14, (.LBB1_5269-.Lpost_getpc1486)&4294967295
	s_addc_u32 s15, s15, (.LBB1_5269-.Lpost_getpc1486)>>32
	s_setpc_b64 s[14:15]
.LBB1_1173:
	s_or_saveexec_b64 s[6:7], s[6:7]
	v_mov_b32_e32 v23, s10
	s_xor_b64 exec, exec, s[6:7]
	s_cbranch_execz .LBB1_1174
; %bb.11167:
	s_getpc_b64 s[14:15]
.Lpost_getpc1487:
	s_add_u32 s14, s14, (.LBB1_5272-.Lpost_getpc1487)&4294967295
	s_addc_u32 s15, s15, (.LBB1_5272-.Lpost_getpc1487)>>32
	s_setpc_b64 s[14:15]
.LBB1_1174:
	s_or_b64 exec, exec, s[6:7]
	s_and_saveexec_b64 s[6:7], s[4:5]
	s_cbranch_execz .LBB1_1176
.LBB1_1175:
	v_bfe_u32 v22, v12, 16, 2
	v_ffbh_u32_e32 v25, v22
	v_min_u32_e32 v25, 32, v25
	v_lshrrev_b32_e32 v23, 18, v12
	v_subrev_u32_e32 v26, 29, v25
	v_and_b32_e32 v23, 31, v23
	v_lshlrev_b32_sdwa v26, v26, v12 dst_sel:DWORD dst_unused:UNUSED_PAD src0_sel:DWORD src1_sel:WORD_1
	v_bfe_u32 v24, v12, 18, 5
	v_sub_u32_e32 v25, 30, v25
	v_and_b32_e32 v26, 3, v26
	v_cmp_eq_u16_e32 vcc, 0, v23
	v_cndmask_b32_e32 v22, v22, v26, vcc
	v_cndmask_b32_e32 v23, v24, v25, vcc
	v_lshlrev_b32_e32 v24, 8, v12
	v_mov_b32_e32 v25, 0x37800000
	v_lshlrev_b32_e32 v22, 21, v22
	v_and_b32_e32 v24, 0x80000000, v24
	v_lshl_add_u32 v23, v23, 23, v25
	v_or3_b32 v23, v24, v23, v22
.LBB1_1176:
	s_or_b64 exec, exec, s[6:7]
	s_nop 0
	v_mfma_f32_16x16x4f32 a[0:3], v21, v23, a[0:3]
	s_movk_i32 s4, 0x7f
	v_cmp_gt_i16_sdwa s[6:7], v16, s4 src0_sel:BYTE_3 src1_sel:DWORD
	s_mov_b64 s[4:5], 0
                                        ; implicit-def: $sgpr10
	s_and_saveexec_b64 s[8:9], s[6:7]
	s_xor_b64 s[6:7], exec, s[8:9]
	s_cbranch_execz .LBB1_1177
; %bb.11169:
	s_getpc_b64 s[14:15]
.Lpost_getpc1488:
	s_add_u32 s14, s14, (.LBB1_5273-.Lpost_getpc1488)&4294967295
	s_addc_u32 s15, s15, (.LBB1_5273-.Lpost_getpc1488)>>32
	s_setpc_b64 s[14:15]
.LBB1_1177:
	s_or_saveexec_b64 s[6:7], s[6:7]
	v_mov_b32_e32 v21, s10
	s_xor_b64 exec, exec, s[6:7]
	s_cbranch_execz .LBB1_1178
; %bb.11171:
	s_getpc_b64 s[14:15]
.Lpost_getpc1489:
	s_add_u32 s14, s14, (.LBB1_5276-.Lpost_getpc1489)&4294967295
	s_addc_u32 s15, s15, (.LBB1_5276-.Lpost_getpc1489)>>32
	s_setpc_b64 s[14:15]
.LBB1_1178:
	s_or_b64 exec, exec, s[6:7]
	s_and_saveexec_b64 s[6:7], s[4:5]
	s_cbranch_execz .LBB1_1180
.LBB1_1179:
	v_bfe_u32 v21, v16, 24, 3
	v_ffbh_u32_e32 v25, v21
	v_min_u32_e32 v25, 32, v25
	v_lshrrev_b32_e32 v23, 27, v16
	v_subrev_u32_e32 v26, 28, v25
	v_and_b32_e32 v22, 0x80000000, v16
	v_and_b32_e32 v23, 15, v23
	v_bfe_u32 v24, v16, 27, 4
	v_lshlrev_b32_sdwa v16, v26, v16 dst_sel:DWORD dst_unused:UNUSED_PAD src0_sel:DWORD src1_sel:BYTE_3
	v_sub_u32_e32 v25, 29, v25
	v_and_b32_e32 v16, 7, v16
	v_cmp_eq_u16_e32 vcc, 0, v23
	v_cndmask_b32_e32 v16, v21, v16, vcc
	v_cndmask_b32_e32 v21, v24, v25, vcc
	v_mov_b32_e32 v23, 0x3b800000
	v_lshlrev_b32_e32 v16, 20, v16
	v_lshl_add_u32 v21, v21, 23, v23
	v_or3_b32 v21, v22, v21, v16
.LBB1_1180:
	s_or_b64 exec, exec, s[6:7]
	s_movk_i32 s4, 0x7f
	v_cmp_gt_i16_sdwa s[6:7], v12, s4 src0_sel:BYTE_3 src1_sel:DWORD
	s_mov_b64 s[4:5], 0
                                        ; implicit-def: $sgpr10
	s_and_saveexec_b64 s[8:9], s[6:7]
	s_xor_b64 s[6:7], exec, s[8:9]
	s_cbranch_execz .LBB1_1181
; %bb.11173:
	s_getpc_b64 s[14:15]
.Lpost_getpc1490:
	s_add_u32 s14, s14, (.LBB1_5277-.Lpost_getpc1490)&4294967295
	s_addc_u32 s15, s15, (.LBB1_5277-.Lpost_getpc1490)>>32
	s_setpc_b64 s[14:15]
.LBB1_1181:
	s_or_saveexec_b64 s[6:7], s[6:7]
	v_mov_b32_e32 v16, s10
	s_xor_b64 exec, exec, s[6:7]
	s_cbranch_execz .LBB1_1182
; %bb.11175:
	s_getpc_b64 s[14:15]
.Lpost_getpc1491:
	s_add_u32 s14, s14, (.LBB1_5280-.Lpost_getpc1491)&4294967295
	s_addc_u32 s15, s15, (.LBB1_5280-.Lpost_getpc1491)>>32
	s_setpc_b64 s[14:15]
.LBB1_1182:
	s_or_b64 exec, exec, s[6:7]
	s_and_saveexec_b64 s[6:7], s[4:5]
	s_cbranch_execz .LBB1_1184
.LBB1_1183:
	v_bfe_u32 v16, v12, 24, 2
	v_ffbh_u32_e32 v25, v16
	v_min_u32_e32 v25, 32, v25
	v_lshrrev_b32_e32 v23, 26, v12
	v_subrev_u32_e32 v26, 29, v25
	v_and_b32_e32 v22, 0x80000000, v12
	v_and_b32_e32 v23, 31, v23
	v_bfe_u32 v24, v12, 26, 5
	v_lshlrev_b32_sdwa v12, v26, v12 dst_sel:DWORD dst_unused:UNUSED_PAD src0_sel:DWORD src1_sel:BYTE_3
	v_sub_u32_e32 v25, 30, v25
	v_and_b32_e32 v12, 3, v12
	v_cmp_eq_u16_e32 vcc, 0, v23
	v_cndmask_b32_e32 v12, v16, v12, vcc
	v_cndmask_b32_e32 v16, v24, v25, vcc
	v_mov_b32_e32 v23, 0x37800000
	v_lshlrev_b32_e32 v12, 21, v12
	v_lshl_add_u32 v16, v16, 23, v23
	v_or3_b32 v16, v22, v16, v12
.LBB1_1184:
	s_or_b64 exec, exec, s[6:7]
	s_nop 0
	v_mfma_f32_16x16x4f32 a[0:3], v21, v16, a[0:3]
	s_movk_i32 s4, 0x7f
	v_cmp_gt_i16_sdwa s[6:7], v17, s4 src0_sel:BYTE_0 src1_sel:DWORD
	s_mov_b64 s[4:5], 0
                                        ; implicit-def: $sgpr10
	s_and_saveexec_b64 s[8:9], s[6:7]
	s_xor_b64 s[6:7], exec, s[8:9]
	s_cbranch_execz .LBB1_1185
; %bb.11177:
	s_getpc_b64 s[14:15]
.Lpost_getpc1492:
	s_add_u32 s14, s14, (.LBB1_5281-.Lpost_getpc1492)&4294967295
	s_addc_u32 s15, s15, (.LBB1_5281-.Lpost_getpc1492)>>32
	s_setpc_b64 s[14:15]
.LBB1_1185:
	s_or_saveexec_b64 s[6:7], s[6:7]
	v_mov_b32_e32 v12, s10
	s_xor_b64 exec, exec, s[6:7]
	s_cbranch_execz .LBB1_1186
; %bb.11179:
	s_getpc_b64 s[14:15]
.Lpost_getpc1493:
	s_add_u32 s14, s14, (.LBB1_5284-.Lpost_getpc1493)&4294967295
	s_addc_u32 s15, s15, (.LBB1_5284-.Lpost_getpc1493)>>32
	s_setpc_b64 s[14:15]
.LBB1_1186:
	s_or_b64 exec, exec, s[6:7]
	s_and_saveexec_b64 s[6:7], s[4:5]
	s_cbranch_execz .LBB1_1188
.LBB1_1187:
	v_and_b32_e32 v12, 7, v17
	v_ffbh_u32_e32 v21, v12
	v_min_u32_e32 v21, 32, v21
	v_lshrrev_b16_e32 v16, 3, v17
	v_subrev_u32_e32 v22, 28, v21
	v_and_b32_e32 v16, 15, v16
	v_lshlrev_b32_e32 v22, v22, v17
	v_sub_u32_e32 v21, 29, v21
	v_and_b32_e32 v22, 7, v22
	v_cmp_eq_u16_e32 vcc, 0, v16
	v_cndmask_b32_e32 v12, v12, v22, vcc
	v_cndmask_b32_e32 v16, v16, v21, vcc
	v_lshlrev_b32_e32 v21, 24, v17
	v_mov_b32_e32 v22, 0x3b800000
	v_lshlrev_b32_e32 v12, 20, v12
	v_and_b32_e32 v21, 0x80000000, v21
	v_lshl_add_u32 v16, v16, 23, v22
	v_or3_b32 v12, v21, v16, v12
.LBB1_1188:
	s_or_b64 exec, exec, s[6:7]
	s_movk_i32 s4, 0x7f
	v_cmp_gt_i16_sdwa s[6:7], v13, s4 src0_sel:BYTE_0 src1_sel:DWORD
	s_mov_b64 s[4:5], 0
                                        ; implicit-def: $sgpr10
	s_and_saveexec_b64 s[8:9], s[6:7]
	s_xor_b64 s[6:7], exec, s[8:9]
	s_cbranch_execz .LBB1_1189
; %bb.11181:
	s_getpc_b64 s[14:15]
.Lpost_getpc1494:
	s_add_u32 s14, s14, (.LBB1_5285-.Lpost_getpc1494)&4294967295
	s_addc_u32 s15, s15, (.LBB1_5285-.Lpost_getpc1494)>>32
	s_setpc_b64 s[14:15]
.LBB1_1189:
	s_or_saveexec_b64 s[6:7], s[6:7]
	v_mov_b32_e32 v16, s10
	s_xor_b64 exec, exec, s[6:7]
	s_cbranch_execz .LBB1_1190
; %bb.11183:
	s_getpc_b64 s[14:15]
.Lpost_getpc1495:
	s_add_u32 s14, s14, (.LBB1_5288-.Lpost_getpc1495)&4294967295
	s_addc_u32 s15, s15, (.LBB1_5288-.Lpost_getpc1495)>>32
	s_setpc_b64 s[14:15]
.LBB1_1190:
	s_or_b64 exec, exec, s[6:7]
	s_and_saveexec_b64 s[6:7], s[4:5]
	s_cbranch_execz .LBB1_1192
.LBB1_1191:
	v_and_b32_e32 v16, 3, v13
	v_ffbh_u32_e32 v22, v16
	v_min_u32_e32 v22, 32, v22
	v_lshrrev_b16_e32 v21, 2, v13
	v_subrev_u32_e32 v23, 29, v22
	v_and_b32_e32 v21, 31, v21
	v_lshlrev_b32_e32 v23, v23, v13
	v_sub_u32_e32 v22, 30, v22
	v_and_b32_e32 v23, 3, v23
	v_cmp_eq_u16_e32 vcc, 0, v21
	v_cndmask_b32_e32 v16, v16, v23, vcc
	v_cndmask_b32_e32 v21, v21, v22, vcc
	v_lshlrev_b32_e32 v22, 24, v13
	v_mov_b32_e32 v23, 0x37800000
	v_lshlrev_b32_e32 v16, 21, v16
	v_and_b32_e32 v22, 0x80000000, v22
	v_lshl_add_u32 v21, v21, 23, v23
	v_or3_b32 v16, v22, v21, v16
.LBB1_1192:
	s_or_b64 exec, exec, s[6:7]
	s_nop 0
	v_mfma_f32_16x16x4f32 a[0:3], v12, v16, a[0:3]
	v_lshrrev_b32_e32 v16, 8, v17
	s_movk_i32 s4, 0x7f
	v_cmp_gt_i16_sdwa s[6:7], v16, s4 src0_sel:BYTE_0 src1_sel:DWORD
	s_mov_b64 s[4:5], 0
                                        ; implicit-def: $sgpr10
	s_and_saveexec_b64 s[8:9], s[6:7]
	s_xor_b64 s[6:7], exec, s[8:9]
	s_cbranch_execz .LBB1_1193
; %bb.11185:
	s_getpc_b64 s[14:15]
.Lpost_getpc1496:
	s_add_u32 s14, s14, (.LBB1_5289-.Lpost_getpc1496)&4294967295
	s_addc_u32 s15, s15, (.LBB1_5289-.Lpost_getpc1496)>>32
	s_setpc_b64 s[14:15]
.LBB1_1193:
	s_or_saveexec_b64 s[6:7], s[6:7]
	v_mov_b32_e32 v12, s10
	s_xor_b64 exec, exec, s[6:7]
	s_cbranch_execz .LBB1_1194
; %bb.11187:
	s_getpc_b64 s[14:15]
.Lpost_getpc1497:
	s_add_u32 s14, s14, (.LBB1_5292-.Lpost_getpc1497)&4294967295
	s_addc_u32 s15, s15, (.LBB1_5292-.Lpost_getpc1497)>>32
	s_setpc_b64 s[14:15]
.LBB1_1194:
	s_or_b64 exec, exec, s[6:7]
	s_and_saveexec_b64 s[6:7], s[4:5]
	s_cbranch_execz .LBB1_1196
.LBB1_1195:
	v_bfe_u32 v12, v17, 8, 3
	v_ffbh_u32_e32 v22, v12
	v_min_u32_e32 v22, 32, v22
	v_lshrrev_b16_e32 v21, 3, v16
	v_subrev_u32_e32 v23, 28, v22
	v_and_b32_e32 v21, 15, v21
	v_lshlrev_b32_e32 v16, v23, v16
	v_sub_u32_e32 v22, 29, v22
	v_and_b32_e32 v16, 7, v16
	v_cmp_eq_u16_e32 vcc, 0, v21
	v_cndmask_b32_e32 v12, v12, v16, vcc
	v_cndmask_b32_e32 v16, v21, v22, vcc
	v_lshlrev_b32_e32 v21, 16, v17
	v_mov_b32_e32 v22, 0x3b800000
	v_lshlrev_b32_e32 v12, 20, v12
	v_and_b32_e32 v21, 0x80000000, v21
	v_lshl_add_u32 v16, v16, 23, v22
	v_or3_b32 v12, v21, v16, v12
.LBB1_1196:
	s_or_b64 exec, exec, s[6:7]
	v_lshrrev_b32_e32 v16, 8, v13
	s_movk_i32 s4, 0x7f
	v_cmp_gt_i16_sdwa s[6:7], v16, s4 src0_sel:BYTE_0 src1_sel:DWORD
	s_mov_b64 s[4:5], 0
                                        ; implicit-def: $sgpr10
	s_and_saveexec_b64 s[8:9], s[6:7]
	s_xor_b64 s[6:7], exec, s[8:9]
	s_cbranch_execz .LBB1_1197
; %bb.11189:
	s_getpc_b64 s[14:15]
.Lpost_getpc1498:
	s_add_u32 s14, s14, (.LBB1_5293-.Lpost_getpc1498)&4294967295
	s_addc_u32 s15, s15, (.LBB1_5293-.Lpost_getpc1498)>>32
	s_setpc_b64 s[14:15]
.LBB1_1197:
	s_or_saveexec_b64 s[6:7], s[6:7]
	v_mov_b32_e32 v21, s10
	s_xor_b64 exec, exec, s[6:7]
	s_cbranch_execz .LBB1_1198
; %bb.11191:
	s_getpc_b64 s[14:15]
.Lpost_getpc1499:
	s_add_u32 s14, s14, (.LBB1_5296-.Lpost_getpc1499)&4294967295
	s_addc_u32 s15, s15, (.LBB1_5296-.Lpost_getpc1499)>>32
	s_setpc_b64 s[14:15]
.LBB1_1198:
	s_or_b64 exec, exec, s[6:7]
	s_and_saveexec_b64 s[6:7], s[4:5]
	s_cbranch_execz .LBB1_1200
.LBB1_1199:
	v_bfe_u32 v21, v13, 8, 2
	v_ffbh_u32_e32 v23, v21
	v_min_u32_e32 v23, 32, v23
	v_lshrrev_b16_e32 v22, 2, v16
	v_subrev_u32_e32 v24, 29, v23
	v_and_b32_e32 v22, 31, v22
	v_lshlrev_b32_e32 v16, v24, v16
	v_sub_u32_e32 v23, 30, v23
	v_and_b32_e32 v16, 3, v16
	v_cmp_eq_u16_e32 vcc, 0, v22
	v_cndmask_b32_e32 v16, v21, v16, vcc
	v_cndmask_b32_e32 v21, v22, v23, vcc
	v_lshlrev_b32_e32 v22, 16, v13
	v_mov_b32_e32 v23, 0x37800000
	v_lshlrev_b32_e32 v16, 21, v16
	v_and_b32_e32 v22, 0x80000000, v22
	v_lshl_add_u32 v21, v21, 23, v23
	v_or3_b32 v21, v22, v21, v16
.LBB1_1200:
	s_or_b64 exec, exec, s[6:7]
	s_nop 0
	v_mfma_f32_16x16x4f32 a[0:3], v12, v21, a[0:3]
	s_movk_i32 s4, 0xff
	v_and_b32_sdwa v16, v17, s4 dst_sel:DWORD dst_unused:UNUSED_PAD src0_sel:WORD_1 src1_sel:DWORD
	s_movk_i32 s4, 0x7f
	v_cmp_lt_i16_e32 vcc, s4, v16
	s_mov_b64 s[4:5], 0
                                        ; implicit-def: $sgpr10
	s_and_saveexec_b64 s[6:7], vcc
	s_xor_b64 s[6:7], exec, s[6:7]
	s_cbranch_execz .LBB1_1201
; %bb.11193:
	s_getpc_b64 s[14:15]
.Lpost_getpc1500:
	s_add_u32 s14, s14, (.LBB1_5297-.Lpost_getpc1500)&4294967295
	s_addc_u32 s15, s15, (.LBB1_5297-.Lpost_getpc1500)>>32
	s_setpc_b64 s[14:15]
.LBB1_1201:
	s_or_saveexec_b64 s[6:7], s[6:7]
	v_mov_b32_e32 v12, s10
	s_xor_b64 exec, exec, s[6:7]
	s_cbranch_execz .LBB1_1202
; %bb.11195:
	s_getpc_b64 s[14:15]
.Lpost_getpc1501:
	s_add_u32 s14, s14, (.LBB1_5300-.Lpost_getpc1501)&4294967295
	s_addc_u32 s15, s15, (.LBB1_5300-.Lpost_getpc1501)>>32
	s_setpc_b64 s[14:15]
.LBB1_1202:
	s_or_b64 exec, exec, s[6:7]
	s_and_saveexec_b64 s[6:7], s[4:5]
	s_cbranch_execz .LBB1_1204
.LBB1_1203:
	v_bfe_u32 v12, v17, 16, 3
	v_ffbh_u32_e32 v22, v12
	v_min_u32_e32 v22, 32, v22
	v_lshrrev_b32_e32 v16, 19, v17
	v_subrev_u32_e32 v23, 28, v22
	v_and_b32_e32 v16, 15, v16
	v_lshlrev_b32_sdwa v23, v23, v17 dst_sel:DWORD dst_unused:UNUSED_PAD src0_sel:DWORD src1_sel:WORD_1
	v_bfe_u32 v21, v17, 19, 4
	v_sub_u32_e32 v22, 29, v22
	v_and_b32_e32 v23, 7, v23
	v_cmp_eq_u16_e32 vcc, 0, v16
	v_cndmask_b32_e32 v12, v12, v23, vcc
	v_cndmask_b32_e32 v16, v21, v22, vcc
	v_lshlrev_b32_e32 v21, 8, v17
	v_mov_b32_e32 v22, 0x3b800000
	v_lshlrev_b32_e32 v12, 20, v12
	v_and_b32_e32 v21, 0x80000000, v21
	v_lshl_add_u32 v16, v16, 23, v22
	v_or3_b32 v12, v21, v16, v12
.LBB1_1204:
	s_or_b64 exec, exec, s[6:7]
	s_movk_i32 s4, 0xff
	v_and_b32_sdwa v16, v13, s4 dst_sel:DWORD dst_unused:UNUSED_PAD src0_sel:WORD_1 src1_sel:DWORD
	s_movk_i32 s4, 0x7f
	v_cmp_lt_i16_e32 vcc, s4, v16
	s_mov_b64 s[4:5], 0
                                        ; implicit-def: $sgpr10
	s_and_saveexec_b64 s[6:7], vcc
	s_xor_b64 s[6:7], exec, s[6:7]
	s_cbranch_execz .LBB1_1205
; %bb.11197:
	s_getpc_b64 s[14:15]
.Lpost_getpc1502:
	s_add_u32 s14, s14, (.LBB1_5301-.Lpost_getpc1502)&4294967295
	s_addc_u32 s15, s15, (.LBB1_5301-.Lpost_getpc1502)>>32
	s_setpc_b64 s[14:15]
.LBB1_1205:
	s_or_saveexec_b64 s[6:7], s[6:7]
	v_mov_b32_e32 v21, s10
	s_xor_b64 exec, exec, s[6:7]
	s_cbranch_execz .LBB1_1206
; %bb.11199:
	s_getpc_b64 s[14:15]
.Lpost_getpc1503:
	s_add_u32 s14, s14, (.LBB1_5304-.Lpost_getpc1503)&4294967295
	s_addc_u32 s15, s15, (.LBB1_5304-.Lpost_getpc1503)>>32
	s_setpc_b64 s[14:15]
.LBB1_1206:
	s_or_b64 exec, exec, s[6:7]
	s_and_saveexec_b64 s[6:7], s[4:5]
	s_cbranch_execz .LBB1_1208
.LBB1_1207:
	v_bfe_u32 v16, v13, 16, 2
	v_ffbh_u32_e32 v23, v16
	v_min_u32_e32 v23, 32, v23
	v_lshrrev_b32_e32 v21, 18, v13
	v_subrev_u32_e32 v24, 29, v23
	v_and_b32_e32 v21, 31, v21
	v_lshlrev_b32_sdwa v24, v24, v13 dst_sel:DWORD dst_unused:UNUSED_PAD src0_sel:DWORD src1_sel:WORD_1
	v_bfe_u32 v22, v13, 18, 5
	v_sub_u32_e32 v23, 30, v23
	v_and_b32_e32 v24, 3, v24
	v_cmp_eq_u16_e32 vcc, 0, v21
	v_cndmask_b32_e32 v16, v16, v24, vcc
	v_cndmask_b32_e32 v21, v22, v23, vcc
	v_lshlrev_b32_e32 v22, 8, v13
	v_mov_b32_e32 v23, 0x37800000
	v_lshlrev_b32_e32 v16, 21, v16
	v_and_b32_e32 v22, 0x80000000, v22
	v_lshl_add_u32 v21, v21, 23, v23
	v_or3_b32 v21, v22, v21, v16
.LBB1_1208:
	s_or_b64 exec, exec, s[6:7]
	s_nop 0
	v_mfma_f32_16x16x4f32 a[0:3], v12, v21, a[0:3]
	s_movk_i32 s4, 0x7f
	v_cmp_gt_i16_sdwa s[6:7], v17, s4 src0_sel:BYTE_3 src1_sel:DWORD
	s_mov_b64 s[4:5], 0
                                        ; implicit-def: $sgpr10
	s_and_saveexec_b64 s[8:9], s[6:7]
	s_xor_b64 s[6:7], exec, s[8:9]
	s_cbranch_execz .LBB1_1209
; %bb.11201:
	s_getpc_b64 s[14:15]
.Lpost_getpc1504:
	s_add_u32 s14, s14, (.LBB1_5305-.Lpost_getpc1504)&4294967295
	s_addc_u32 s15, s15, (.LBB1_5305-.Lpost_getpc1504)>>32
	s_setpc_b64 s[14:15]
.LBB1_1209:
	s_or_saveexec_b64 s[6:7], s[6:7]
	v_mov_b32_e32 v12, s10
	s_xor_b64 exec, exec, s[6:7]
	s_cbranch_execz .LBB1_1210
; %bb.11203:
	s_getpc_b64 s[14:15]
.Lpost_getpc1505:
	s_add_u32 s14, s14, (.LBB1_5308-.Lpost_getpc1505)&4294967295
	s_addc_u32 s15, s15, (.LBB1_5308-.Lpost_getpc1505)>>32
	s_setpc_b64 s[14:15]
.LBB1_1210:
	s_or_b64 exec, exec, s[6:7]
	s_and_saveexec_b64 s[6:7], s[4:5]
	s_cbranch_execz .LBB1_1212
.LBB1_1211:
	v_bfe_u32 v12, v17, 24, 3
	v_ffbh_u32_e32 v23, v12
	v_min_u32_e32 v23, 32, v23
	v_lshrrev_b32_e32 v21, 27, v17
	v_subrev_u32_e32 v24, 28, v23
	v_and_b32_e32 v16, 0x80000000, v17
	v_and_b32_e32 v21, 15, v21
	v_bfe_u32 v22, v17, 27, 4
	v_lshlrev_b32_sdwa v17, v24, v17 dst_sel:DWORD dst_unused:UNUSED_PAD src0_sel:DWORD src1_sel:BYTE_3
	v_sub_u32_e32 v23, 29, v23
	v_and_b32_e32 v17, 7, v17
	v_cmp_eq_u16_e32 vcc, 0, v21
	v_cndmask_b32_e32 v12, v12, v17, vcc
	v_cndmask_b32_e32 v17, v22, v23, vcc
	v_mov_b32_e32 v21, 0x3b800000
	v_lshlrev_b32_e32 v12, 20, v12
	v_lshl_add_u32 v17, v17, 23, v21
	v_or3_b32 v12, v16, v17, v12
.LBB1_1212:
	s_or_b64 exec, exec, s[6:7]
	s_movk_i32 s4, 0x7f
	v_cmp_gt_i16_sdwa s[6:7], v13, s4 src0_sel:BYTE_3 src1_sel:DWORD
	s_mov_b64 s[4:5], 0
                                        ; implicit-def: $sgpr10
	s_and_saveexec_b64 s[8:9], s[6:7]
	s_xor_b64 s[6:7], exec, s[8:9]
	s_cbranch_execz .LBB1_1213
; %bb.11205:
	s_getpc_b64 s[14:15]
.Lpost_getpc1506:
	s_add_u32 s14, s14, (.LBB1_5309-.Lpost_getpc1506)&4294967295
	s_addc_u32 s15, s15, (.LBB1_5309-.Lpost_getpc1506)>>32
	s_setpc_b64 s[14:15]
.LBB1_1213:
	s_or_saveexec_b64 s[6:7], s[6:7]
	v_mov_b32_e32 v16, s10
	s_xor_b64 exec, exec, s[6:7]
	s_cbranch_execz .LBB1_1214
; %bb.11207:
	s_getpc_b64 s[14:15]
.Lpost_getpc1507:
	s_add_u32 s14, s14, (.LBB1_5312-.Lpost_getpc1507)&4294967295
	s_addc_u32 s15, s15, (.LBB1_5312-.Lpost_getpc1507)>>32
	s_setpc_b64 s[14:15]
.LBB1_1214:
	s_or_b64 exec, exec, s[6:7]
	s_and_saveexec_b64 s[6:7], s[4:5]
	s_cbranch_execz .LBB1_1216
.LBB1_1215:
	v_bfe_u32 v16, v13, 24, 2
	v_ffbh_u32_e32 v23, v16
	v_min_u32_e32 v23, 32, v23
	v_lshrrev_b32_e32 v21, 26, v13
	v_subrev_u32_e32 v24, 29, v23
	v_and_b32_e32 v17, 0x80000000, v13
	v_and_b32_e32 v21, 31, v21
	v_bfe_u32 v22, v13, 26, 5
	v_lshlrev_b32_sdwa v13, v24, v13 dst_sel:DWORD dst_unused:UNUSED_PAD src0_sel:DWORD src1_sel:BYTE_3
	v_sub_u32_e32 v23, 30, v23
	v_and_b32_e32 v13, 3, v13
	v_cmp_eq_u16_e32 vcc, 0, v21
	v_cndmask_b32_e32 v13, v16, v13, vcc
	v_cndmask_b32_e32 v16, v22, v23, vcc
	v_mov_b32_e32 v21, 0x37800000
	v_lshlrev_b32_e32 v13, 21, v13
	v_lshl_add_u32 v16, v16, 23, v21
	v_or3_b32 v16, v17, v16, v13
.LBB1_1216:
	s_or_b64 exec, exec, s[6:7]
	s_nop 0
	v_mfma_f32_16x16x4f32 a[0:3], v12, v16, a[0:3]
	s_movk_i32 s4, 0x7f
	v_cmp_gt_i16_sdwa s[6:7], v18, s4 src0_sel:BYTE_0 src1_sel:DWORD
	s_mov_b64 s[4:5], 0
                                        ; implicit-def: $sgpr10
	s_and_saveexec_b64 s[8:9], s[6:7]
	s_xor_b64 s[6:7], exec, s[8:9]
	s_cbranch_execz .LBB1_1217
; %bb.11209:
	s_getpc_b64 s[14:15]
.Lpost_getpc1508:
	s_add_u32 s14, s14, (.LBB1_5313-.Lpost_getpc1508)&4294967295
	s_addc_u32 s15, s15, (.LBB1_5313-.Lpost_getpc1508)>>32
	s_setpc_b64 s[14:15]
.LBB1_1217:
	s_or_saveexec_b64 s[6:7], s[6:7]
	v_mov_b32_e32 v13, s10
	s_xor_b64 exec, exec, s[6:7]
	s_cbranch_execz .LBB1_1218
; %bb.11211:
	s_getpc_b64 s[14:15]
.Lpost_getpc1509:
	s_add_u32 s14, s14, (.LBB1_5316-.Lpost_getpc1509)&4294967295
	s_addc_u32 s15, s15, (.LBB1_5316-.Lpost_getpc1509)>>32
	s_setpc_b64 s[14:15]
.LBB1_1218:
	s_or_b64 exec, exec, s[6:7]
	s_and_saveexec_b64 s[6:7], s[4:5]
	s_cbranch_execz .LBB1_1220
.LBB1_1219:
	v_and_b32_e32 v12, 7, v18
	v_ffbh_u32_e32 v16, v12
	v_min_u32_e32 v16, 32, v16
	v_lshrrev_b16_e32 v13, 3, v18
	v_subrev_u32_e32 v17, 28, v16
	v_and_b32_e32 v13, 15, v13
	v_lshlrev_b32_e32 v17, v17, v18
	v_sub_u32_e32 v16, 29, v16
	v_and_b32_e32 v17, 7, v17
	v_cmp_eq_u16_e32 vcc, 0, v13
	v_cndmask_b32_e32 v12, v12, v17, vcc
	v_cndmask_b32_e32 v13, v13, v16, vcc
	v_lshlrev_b32_e32 v16, 24, v18
	v_mov_b32_e32 v17, 0x3b800000
	v_lshlrev_b32_e32 v12, 20, v12
	v_and_b32_e32 v16, 0x80000000, v16
	v_lshl_add_u32 v13, v13, 23, v17
	v_or3_b32 v13, v16, v13, v12
.LBB1_1220:
	s_or_b64 exec, exec, s[6:7]
	s_movk_i32 s4, 0xff
	v_mov_b32_e32 v12, 8
	v_or_b32_sdwa v16, v14, v20 dst_sel:DWORD dst_unused:UNUSED_PAD src0_sel:BYTE_0 src1_sel:DWORD
	v_lshlrev_b16_sdwa v12, v12, v14 dst_sel:DWORD dst_unused:UNUSED_PAD src0_sel:DWORD src1_sel:BYTE_3
	v_and_b32_sdwa v14, v14, s4 dst_sel:DWORD dst_unused:UNUSED_PAD src0_sel:WORD_1 src1_sel:DWORD
	s_movk_i32 s4, 0x7f
	v_or_b32_sdwa v12, v14, v12 dst_sel:WORD_1 dst_unused:UNUSED_PAD src0_sel:DWORD src1_sel:DWORD
	v_cmp_gt_i16_sdwa s[6:7], v16, s4 src0_sel:BYTE_0 src1_sel:DWORD
	s_mov_b64 s[4:5], 0
                                        ; implicit-def: $sgpr10
	s_and_saveexec_b64 s[8:9], s[6:7]
	s_xor_b64 s[6:7], exec, s[8:9]
	s_cbranch_execz .LBB1_1221
; %bb.11213:
	s_getpc_b64 s[14:15]
.Lpost_getpc1510:
	s_add_u32 s14, s14, (.LBB1_5317-.Lpost_getpc1510)&4294967295
	s_addc_u32 s15, s15, (.LBB1_5317-.Lpost_getpc1510)>>32
	s_setpc_b64 s[14:15]
.LBB1_1221:
	s_or_saveexec_b64 s[6:7], s[6:7]
	v_mov_b32_e32 v14, s10
	s_xor_b64 exec, exec, s[6:7]
	s_cbranch_execz .LBB1_1222
; %bb.11215:
	s_getpc_b64 s[14:15]
.Lpost_getpc1511:
	s_add_u32 s14, s14, (.LBB1_5320-.Lpost_getpc1511)&4294967295
	s_addc_u32 s15, s15, (.LBB1_5320-.Lpost_getpc1511)>>32
	s_setpc_b64 s[14:15]
.LBB1_1222:
	s_or_b64 exec, exec, s[6:7]
	v_or_b32_sdwa v12, v16, v12 dst_sel:DWORD dst_unused:UNUSED_PAD src0_sel:WORD_0 src1_sel:DWORD
	s_and_saveexec_b64 s[6:7], s[4:5]
	s_cbranch_execz .LBB1_1224
.LBB1_1223:
	v_and_b32_e32 v14, 3, v12
	v_ffbh_u32_e32 v17, v14
	v_min_u32_e32 v17, 32, v17
	v_lshrrev_b16_e32 v16, 2, v16
	v_subrev_u32_e32 v20, 29, v17
	v_and_b32_e32 v16, 31, v16
	v_lshlrev_b32_e32 v20, v20, v12
	v_sub_u32_e32 v17, 30, v17
	v_and_b32_e32 v20, 3, v20
	v_cmp_eq_u16_e32 vcc, 0, v16
	v_cndmask_b32_e32 v14, v14, v20, vcc
	v_cndmask_b32_e32 v16, v16, v17, vcc
	v_lshlrev_b32_e32 v17, 24, v12
	v_mov_b32_e32 v20, 0x37800000
	v_lshlrev_b32_e32 v14, 21, v14
	v_and_b32_e32 v17, 0x80000000, v17
	v_lshl_add_u32 v16, v16, 23, v20
	v_or3_b32 v14, v17, v16, v14
.LBB1_1224:
	s_or_b64 exec, exec, s[6:7]
	s_nop 0
	v_mfma_f32_16x16x4f32 a[0:3], v13, v14, a[0:3]
	v_lshrrev_b32_e32 v14, 8, v18
	s_movk_i32 s4, 0x7f
	v_cmp_gt_i16_sdwa s[6:7], v14, s4 src0_sel:BYTE_0 src1_sel:DWORD
	s_mov_b64 s[4:5], 0
                                        ; implicit-def: $sgpr10
	s_and_saveexec_b64 s[8:9], s[6:7]
	s_xor_b64 s[6:7], exec, s[8:9]
	s_cbranch_execz .LBB1_1225
; %bb.11217:
	s_getpc_b64 s[14:15]
.Lpost_getpc1512:
	s_add_u32 s14, s14, (.LBB1_5321-.Lpost_getpc1512)&4294967295
	s_addc_u32 s15, s15, (.LBB1_5321-.Lpost_getpc1512)>>32
	s_setpc_b64 s[14:15]
.LBB1_1225:
	s_or_saveexec_b64 s[6:7], s[6:7]
	v_mov_b32_e32 v13, s10
	s_xor_b64 exec, exec, s[6:7]
	s_cbranch_execz .LBB1_1226
; %bb.11219:
	s_getpc_b64 s[14:15]
.Lpost_getpc1513:
	s_add_u32 s14, s14, (.LBB1_5324-.Lpost_getpc1513)&4294967295
	s_addc_u32 s15, s15, (.LBB1_5324-.Lpost_getpc1513)>>32
	s_setpc_b64 s[14:15]
.LBB1_1226:
	s_or_b64 exec, exec, s[6:7]
	s_and_saveexec_b64 s[6:7], s[4:5]
	s_cbranch_execz .LBB1_1228
.LBB1_1227:
	v_bfe_u32 v13, v18, 8, 3
	v_ffbh_u32_e32 v17, v13
	v_min_u32_e32 v17, 32, v17
	v_lshrrev_b16_e32 v16, 3, v14
	v_subrev_u32_e32 v20, 28, v17
	v_and_b32_e32 v16, 15, v16
	v_lshlrev_b32_e32 v14, v20, v14
	v_sub_u32_e32 v17, 29, v17
	v_and_b32_e32 v14, 7, v14
	v_cmp_eq_u16_e32 vcc, 0, v16
	v_cndmask_b32_e32 v13, v13, v14, vcc
	v_cndmask_b32_e32 v14, v16, v17, vcc
	v_lshlrev_b32_e32 v16, 16, v18
	v_mov_b32_e32 v17, 0x3b800000
	v_lshlrev_b32_e32 v13, 20, v13
	v_and_b32_e32 v16, 0x80000000, v16
	v_lshl_add_u32 v14, v14, 23, v17
	v_or3_b32 v13, v16, v14, v13
.LBB1_1228:
	s_or_b64 exec, exec, s[6:7]
	v_lshrrev_b32_e32 v14, 8, v12
	s_movk_i32 s4, 0x7f
	v_cmp_gt_i16_sdwa s[6:7], v14, s4 src0_sel:BYTE_0 src1_sel:DWORD
	s_mov_b64 s[4:5], 0
                                        ; implicit-def: $sgpr10
	s_and_saveexec_b64 s[8:9], s[6:7]
	s_xor_b64 s[6:7], exec, s[8:9]
	s_cbranch_execz .LBB1_1229
; %bb.11221:
	s_getpc_b64 s[14:15]
.Lpost_getpc1514:
	s_add_u32 s14, s14, (.LBB1_5325-.Lpost_getpc1514)&4294967295
	s_addc_u32 s15, s15, (.LBB1_5325-.Lpost_getpc1514)>>32
	s_setpc_b64 s[14:15]
.LBB1_1229:
	s_or_saveexec_b64 s[6:7], s[6:7]
	v_mov_b32_e32 v16, s10
	s_xor_b64 exec, exec, s[6:7]
	s_cbranch_execz .LBB1_1230
; %bb.11223:
	s_getpc_b64 s[14:15]
.Lpost_getpc1515:
	s_add_u32 s14, s14, (.LBB1_5328-.Lpost_getpc1515)&4294967295
	s_addc_u32 s15, s15, (.LBB1_5328-.Lpost_getpc1515)>>32
	s_setpc_b64 s[14:15]
.LBB1_1230:
	s_or_b64 exec, exec, s[6:7]
	s_and_saveexec_b64 s[6:7], s[4:5]
	s_cbranch_execz .LBB1_1232
.LBB1_1231:
	v_bfe_u32 v16, v12, 8, 2
	v_ffbh_u32_e32 v20, v16
	v_min_u32_e32 v20, 32, v20
	v_lshrrev_b16_e32 v17, 2, v14
	v_subrev_u32_e32 v21, 29, v20
	v_and_b32_e32 v17, 31, v17
	v_lshlrev_b32_e32 v14, v21, v14
	v_sub_u32_e32 v20, 30, v20
	v_and_b32_e32 v14, 3, v14
	v_cmp_eq_u16_e32 vcc, 0, v17
	v_cndmask_b32_e32 v14, v16, v14, vcc
	v_cndmask_b32_e32 v16, v17, v20, vcc
	v_lshlrev_b32_e32 v17, 16, v12
	v_mov_b32_e32 v20, 0x37800000
	v_lshlrev_b32_e32 v14, 21, v14
	v_and_b32_e32 v17, 0x80000000, v17
	v_lshl_add_u32 v16, v16, 23, v20
	v_or3_b32 v16, v17, v16, v14
.LBB1_1232:
	s_or_b64 exec, exec, s[6:7]
	s_nop 0
	v_mfma_f32_16x16x4f32 a[0:3], v13, v16, a[0:3]
	s_movk_i32 s4, 0xff
	v_and_b32_sdwa v14, v18, s4 dst_sel:DWORD dst_unused:UNUSED_PAD src0_sel:WORD_1 src1_sel:DWORD
	s_movk_i32 s4, 0x7f
	v_cmp_lt_i16_e32 vcc, s4, v14
	s_mov_b64 s[4:5], 0
                                        ; implicit-def: $sgpr10
	s_and_saveexec_b64 s[6:7], vcc
	s_xor_b64 s[6:7], exec, s[6:7]
	s_cbranch_execz .LBB1_1233
; %bb.11225:
	s_getpc_b64 s[14:15]
.Lpost_getpc1516:
	s_add_u32 s14, s14, (.LBB1_5329-.Lpost_getpc1516)&4294967295
	s_addc_u32 s15, s15, (.LBB1_5329-.Lpost_getpc1516)>>32
	s_setpc_b64 s[14:15]
.LBB1_1233:
	s_or_saveexec_b64 s[6:7], s[6:7]
	v_mov_b32_e32 v13, s10
	s_xor_b64 exec, exec, s[6:7]
	s_cbranch_execz .LBB1_1234
; %bb.11227:
	s_getpc_b64 s[14:15]
.Lpost_getpc1517:
	s_add_u32 s14, s14, (.LBB1_5332-.Lpost_getpc1517)&4294967295
	s_addc_u32 s15, s15, (.LBB1_5332-.Lpost_getpc1517)>>32
	s_setpc_b64 s[14:15]
.LBB1_1234:
	s_or_b64 exec, exec, s[6:7]
	s_and_saveexec_b64 s[6:7], s[4:5]
	s_cbranch_execz .LBB1_1236
.LBB1_1235:
	v_bfe_u32 v13, v18, 16, 3
	v_ffbh_u32_e32 v17, v13
	v_min_u32_e32 v17, 32, v17
	v_lshrrev_b32_e32 v14, 19, v18
	v_subrev_u32_e32 v20, 28, v17
	v_and_b32_e32 v14, 15, v14
	v_lshlrev_b32_sdwa v20, v20, v18 dst_sel:DWORD dst_unused:UNUSED_PAD src0_sel:DWORD src1_sel:WORD_1
	v_bfe_u32 v16, v18, 19, 4
	v_sub_u32_e32 v17, 29, v17
	v_and_b32_e32 v20, 7, v20
	v_cmp_eq_u16_e32 vcc, 0, v14
	v_cndmask_b32_e32 v13, v13, v20, vcc
	v_cndmask_b32_e32 v14, v16, v17, vcc
	v_lshlrev_b32_e32 v16, 8, v18
	v_mov_b32_e32 v17, 0x3b800000
	v_lshlrev_b32_e32 v13, 20, v13
	v_and_b32_e32 v16, 0x80000000, v16
	v_lshl_add_u32 v14, v14, 23, v17
	v_or3_b32 v13, v16, v14, v13
.LBB1_1236:
	s_or_b64 exec, exec, s[6:7]
	s_movk_i32 s4, 0xff
	v_and_b32_sdwa v14, v12, s4 dst_sel:DWORD dst_unused:UNUSED_PAD src0_sel:WORD_1 src1_sel:DWORD
	s_movk_i32 s4, 0x7f
	v_cmp_lt_i16_e32 vcc, s4, v14
	s_mov_b64 s[4:5], 0
                                        ; implicit-def: $sgpr10
	s_and_saveexec_b64 s[6:7], vcc
	s_xor_b64 s[6:7], exec, s[6:7]
	s_cbranch_execz .LBB1_1237
; %bb.11229:
	s_getpc_b64 s[14:15]
.Lpost_getpc1518:
	s_add_u32 s14, s14, (.LBB1_5333-.Lpost_getpc1518)&4294967295
	s_addc_u32 s15, s15, (.LBB1_5333-.Lpost_getpc1518)>>32
	s_setpc_b64 s[14:15]
.LBB1_1237:
	s_or_saveexec_b64 s[6:7], s[6:7]
	v_mov_b32_e32 v16, s10
	s_xor_b64 exec, exec, s[6:7]
	s_cbranch_execz .LBB1_1238
; %bb.11231:
	s_getpc_b64 s[14:15]
.Lpost_getpc1519:
	s_add_u32 s14, s14, (.LBB1_5336-.Lpost_getpc1519)&4294967295
	s_addc_u32 s15, s15, (.LBB1_5336-.Lpost_getpc1519)>>32
	s_setpc_b64 s[14:15]
.LBB1_1238:
	s_or_b64 exec, exec, s[6:7]
	s_and_saveexec_b64 s[6:7], s[4:5]
	s_cbranch_execz .LBB1_1240
.LBB1_1239:
	v_bfe_u32 v14, v12, 16, 2
	v_ffbh_u32_e32 v20, v14
	v_min_u32_e32 v20, 32, v20
	v_lshrrev_b32_e32 v16, 18, v12
	v_subrev_u32_e32 v21, 29, v20
	v_and_b32_e32 v16, 31, v16
	v_lshlrev_b32_sdwa v21, v21, v12 dst_sel:DWORD dst_unused:UNUSED_PAD src0_sel:DWORD src1_sel:WORD_1
	v_bfe_u32 v17, v12, 18, 5
	v_sub_u32_e32 v20, 30, v20
	v_and_b32_e32 v21, 3, v21
	v_cmp_eq_u16_e32 vcc, 0, v16
	v_cndmask_b32_e32 v14, v14, v21, vcc
	v_cndmask_b32_e32 v16, v17, v20, vcc
	v_lshlrev_b32_e32 v17, 8, v12
	v_mov_b32_e32 v20, 0x37800000
	v_lshlrev_b32_e32 v14, 21, v14
	v_and_b32_e32 v17, 0x80000000, v17
	v_lshl_add_u32 v16, v16, 23, v20
	v_or3_b32 v16, v17, v16, v14
.LBB1_1240:
	s_or_b64 exec, exec, s[6:7]
	s_nop 0
	v_mfma_f32_16x16x4f32 a[0:3], v13, v16, a[0:3]
	s_movk_i32 s4, 0x7f
	v_cmp_gt_i16_sdwa s[6:7], v18, s4 src0_sel:BYTE_3 src1_sel:DWORD
	s_mov_b64 s[4:5], 0
                                        ; implicit-def: $sgpr10
	s_and_saveexec_b64 s[8:9], s[6:7]
	s_xor_b64 s[6:7], exec, s[8:9]
	s_cbranch_execz .LBB1_1241
; %bb.11233:
	s_getpc_b64 s[14:15]
.Lpost_getpc1520:
	s_add_u32 s14, s14, (.LBB1_5337-.Lpost_getpc1520)&4294967295
	s_addc_u32 s15, s15, (.LBB1_5337-.Lpost_getpc1520)>>32
	s_setpc_b64 s[14:15]
.LBB1_1241:
	s_or_saveexec_b64 s[6:7], s[6:7]
	v_mov_b32_e32 v13, s10
	s_xor_b64 exec, exec, s[6:7]
	s_cbranch_execz .LBB1_1242
; %bb.11235:
	s_getpc_b64 s[14:15]
.Lpost_getpc1521:
	s_add_u32 s14, s14, (.LBB1_5340-.Lpost_getpc1521)&4294967295
	s_addc_u32 s15, s15, (.LBB1_5340-.Lpost_getpc1521)>>32
	s_setpc_b64 s[14:15]
.LBB1_1242:
	s_or_b64 exec, exec, s[6:7]
	s_and_saveexec_b64 s[6:7], s[4:5]
	s_cbranch_execz .LBB1_1244
.LBB1_1243:
	v_bfe_u32 v13, v18, 24, 3
	v_ffbh_u32_e32 v20, v13
	v_min_u32_e32 v20, 32, v20
	v_lshrrev_b32_e32 v16, 27, v18
	v_subrev_u32_e32 v21, 28, v20
	v_and_b32_e32 v14, 0x80000000, v18
	v_and_b32_e32 v16, 15, v16
	v_bfe_u32 v17, v18, 27, 4
	v_lshlrev_b32_sdwa v18, v21, v18 dst_sel:DWORD dst_unused:UNUSED_PAD src0_sel:DWORD src1_sel:BYTE_3
	v_sub_u32_e32 v20, 29, v20
	v_and_b32_e32 v18, 7, v18
	v_cmp_eq_u16_e32 vcc, 0, v16
	v_cndmask_b32_e32 v13, v13, v18, vcc
	v_cndmask_b32_e32 v16, v17, v20, vcc
	v_mov_b32_e32 v17, 0x3b800000
	v_lshlrev_b32_e32 v13, 20, v13
	v_lshl_add_u32 v16, v16, 23, v17
	v_or3_b32 v13, v14, v16, v13
.LBB1_1244:
	s_or_b64 exec, exec, s[6:7]
	s_movk_i32 s4, 0x7f
	v_cmp_gt_i16_sdwa s[6:7], v12, s4 src0_sel:BYTE_3 src1_sel:DWORD
	s_mov_b64 s[4:5], 0
                                        ; implicit-def: $sgpr10
	s_and_saveexec_b64 s[8:9], s[6:7]
	s_xor_b64 s[6:7], exec, s[8:9]
	s_cbranch_execz .LBB1_1245
; %bb.11237:
	s_getpc_b64 s[14:15]
.Lpost_getpc1522:
	s_add_u32 s14, s14, (.LBB1_5341-.Lpost_getpc1522)&4294967295
	s_addc_u32 s15, s15, (.LBB1_5341-.Lpost_getpc1522)>>32
	s_setpc_b64 s[14:15]
.LBB1_1245:
	s_or_saveexec_b64 s[6:7], s[6:7]
	v_mov_b32_e32 v14, s10
	s_xor_b64 exec, exec, s[6:7]
	s_cbranch_execz .LBB1_1246
; %bb.11239:
	s_getpc_b64 s[14:15]
.Lpost_getpc1523:
	s_add_u32 s14, s14, (.LBB1_5344-.Lpost_getpc1523)&4294967295
	s_addc_u32 s15, s15, (.LBB1_5344-.Lpost_getpc1523)>>32
	s_setpc_b64 s[14:15]
.LBB1_1246:
	s_or_b64 exec, exec, s[6:7]
	s_and_saveexec_b64 s[6:7], s[4:5]
	s_cbranch_execz .LBB1_1248
.LBB1_1247:
	v_bfe_u32 v14, v12, 24, 2
	v_ffbh_u32_e32 v20, v14
	v_min_u32_e32 v20, 32, v20
	v_lshrrev_b32_e32 v17, 26, v12
	v_subrev_u32_e32 v21, 29, v20
	v_and_b32_e32 v16, 0x80000000, v12
	v_and_b32_e32 v17, 31, v17
	v_bfe_u32 v18, v12, 26, 5
	v_lshlrev_b32_sdwa v12, v21, v12 dst_sel:DWORD dst_unused:UNUSED_PAD src0_sel:DWORD src1_sel:BYTE_3
	v_sub_u32_e32 v20, 30, v20
	v_and_b32_e32 v12, 3, v12
	v_cmp_eq_u16_e32 vcc, 0, v17
	v_cndmask_b32_e32 v12, v14, v12, vcc
	v_cndmask_b32_e32 v14, v18, v20, vcc
	v_mov_b32_e32 v17, 0x37800000
	v_lshlrev_b32_e32 v12, 21, v12
	v_lshl_add_u32 v14, v14, 23, v17
	v_or3_b32 v14, v16, v14, v12
.LBB1_1248:
	s_or_b64 exec, exec, s[6:7]
	s_nop 0
	v_mfma_f32_16x16x4f32 a[0:3], v13, v14, a[0:3]
	s_movk_i32 s4, 0x7f
	v_cmp_gt_i16_sdwa s[6:7], v19, s4 src0_sel:BYTE_0 src1_sel:DWORD
	s_mov_b64 s[4:5], 0
                                        ; implicit-def: $sgpr10
	s_and_saveexec_b64 s[8:9], s[6:7]
	s_xor_b64 s[6:7], exec, s[8:9]
	s_cbranch_execz .LBB1_1249
; %bb.11241:
	s_getpc_b64 s[14:15]
.Lpost_getpc1524:
	s_add_u32 s14, s14, (.LBB1_5345-.Lpost_getpc1524)&4294967295
	s_addc_u32 s15, s15, (.LBB1_5345-.Lpost_getpc1524)>>32
	s_setpc_b64 s[14:15]
.LBB1_1249:
	s_or_saveexec_b64 s[6:7], s[6:7]
	v_mov_b32_e32 v12, s10
	s_xor_b64 exec, exec, s[6:7]
	s_cbranch_execz .LBB1_1250
; %bb.11243:
	s_getpc_b64 s[14:15]
.Lpost_getpc1525:
	s_add_u32 s14, s14, (.LBB1_5348-.Lpost_getpc1525)&4294967295
	s_addc_u32 s15, s15, (.LBB1_5348-.Lpost_getpc1525)>>32
	s_setpc_b64 s[14:15]
.LBB1_1250:
	s_or_b64 exec, exec, s[6:7]
	s_and_saveexec_b64 s[6:7], s[4:5]
	s_cbranch_execz .LBB1_1252
.LBB1_1251:
	v_mov_b32_e32 v12, 8
	v_and_b32_e32 v13, 7, v19
	v_lshrrev_b32_sdwa v12, v12, v19 dst_sel:BYTE_1 dst_unused:UNUSED_PAD src0_sel:DWORD src1_sel:DWORD
	v_ffbh_u32_e32 v14, v13
	v_or_b32_sdwa v12, v19, v12 dst_sel:DWORD dst_unused:UNUSED_PAD src0_sel:BYTE_0 src1_sel:DWORD
	v_min_u32_e32 v14, 32, v14
	v_lshrrev_b16_e32 v12, 3, v12
	v_subrev_u32_e32 v16, 28, v14
	v_and_b32_e32 v12, 15, v12
	v_lshlrev_b32_e32 v16, v16, v19
	v_sub_u32_e32 v14, 29, v14
	v_and_b32_e32 v16, 7, v16
	v_cmp_eq_u16_e32 vcc, 0, v12
	v_cndmask_b32_e32 v13, v13, v16, vcc
	v_cndmask_b32_e32 v12, v12, v14, vcc
	v_lshlrev_b32_e32 v14, 24, v19
	v_mov_b32_e32 v16, 0x3b800000
	v_lshlrev_b32_e32 v13, 20, v13
	v_and_b32_e32 v14, 0x80000000, v14
	v_lshl_add_u32 v12, v12, 23, v16
	v_or3_b32 v12, v14, v12, v13
.LBB1_1252:
	s_or_b64 exec, exec, s[6:7]
	s_movk_i32 s4, 0x7f
	v_cmp_gt_i16_sdwa s[6:7], v15, s4 src0_sel:BYTE_0 src1_sel:DWORD
	s_mov_b64 s[4:5], 0
                                        ; implicit-def: $sgpr10
	s_and_saveexec_b64 s[8:9], s[6:7]
	s_xor_b64 s[6:7], exec, s[8:9]
	s_cbranch_execz .LBB1_1253
; %bb.11245:
	s_getpc_b64 s[14:15]
.Lpost_getpc1526:
	s_add_u32 s14, s14, (.LBB1_5349-.Lpost_getpc1526)&4294967295
	s_addc_u32 s15, s15, (.LBB1_5349-.Lpost_getpc1526)>>32
	s_setpc_b64 s[14:15]
.LBB1_1253:
	s_or_saveexec_b64 s[6:7], s[6:7]
	v_mov_b32_e32 v13, s10
	s_xor_b64 exec, exec, s[6:7]
	s_cbranch_execz .LBB1_1254
; %bb.11247:
	s_getpc_b64 s[14:15]
.Lpost_getpc1527:
	s_add_u32 s14, s14, (.LBB1_5352-.Lpost_getpc1527)&4294967295
	s_addc_u32 s15, s15, (.LBB1_5352-.Lpost_getpc1527)>>32
	s_setpc_b64 s[14:15]
.LBB1_1254:
	s_or_b64 exec, exec, s[6:7]
	s_and_saveexec_b64 s[6:7], s[4:5]
	s_cbranch_execz .LBB1_1256
.LBB1_1255:
	v_and_b32_e32 v13, 3, v15
	v_ffbh_u32_e32 v16, v13
	v_min_u32_e32 v16, 32, v16
	v_lshrrev_b16_e32 v14, 2, v15
	v_subrev_u32_e32 v17, 29, v16
	v_and_b32_e32 v14, 31, v14
	v_lshlrev_b32_e32 v17, v17, v15
	v_sub_u32_e32 v16, 30, v16
	v_and_b32_e32 v17, 3, v17
	v_cmp_eq_u16_e32 vcc, 0, v14
	v_cndmask_b32_e32 v13, v13, v17, vcc
	v_cndmask_b32_e32 v14, v14, v16, vcc
	v_lshlrev_b32_e32 v16, 24, v15
	v_mov_b32_e32 v17, 0x37800000
	v_lshlrev_b32_e32 v13, 21, v13
	v_and_b32_e32 v16, 0x80000000, v16
	v_lshl_add_u32 v14, v14, 23, v17
	v_or3_b32 v13, v16, v14, v13
.LBB1_1256:
	s_or_b64 exec, exec, s[6:7]
	s_nop 0
	v_mfma_f32_16x16x4f32 a[0:3], v12, v13, a[0:3]
	v_lshrrev_b32_e32 v13, 8, v19
	s_movk_i32 s4, 0x7f
	v_cmp_gt_i16_sdwa s[6:7], v13, s4 src0_sel:BYTE_0 src1_sel:DWORD
	s_mov_b64 s[4:5], 0
                                        ; implicit-def: $sgpr10
	s_and_saveexec_b64 s[8:9], s[6:7]
	s_xor_b64 s[6:7], exec, s[8:9]
	s_cbranch_execz .LBB1_1257
; %bb.11249:
	s_getpc_b64 s[14:15]
.Lpost_getpc1528:
	s_add_u32 s14, s14, (.LBB1_5353-.Lpost_getpc1528)&4294967295
	s_addc_u32 s15, s15, (.LBB1_5353-.Lpost_getpc1528)>>32
	s_setpc_b64 s[14:15]
.LBB1_1257:
	s_or_saveexec_b64 s[6:7], s[6:7]
	v_mov_b32_e32 v12, s10
	s_xor_b64 exec, exec, s[6:7]
	s_cbranch_execz .LBB1_1258
; %bb.11251:
	s_getpc_b64 s[14:15]
.Lpost_getpc1529:
	s_add_u32 s14, s14, (.LBB1_5356-.Lpost_getpc1529)&4294967295
	s_addc_u32 s15, s15, (.LBB1_5356-.Lpost_getpc1529)>>32
	s_setpc_b64 s[14:15]
.LBB1_1258:
	s_or_b64 exec, exec, s[6:7]
	s_and_saveexec_b64 s[6:7], s[4:5]
	s_cbranch_execz .LBB1_1260
.LBB1_1259:
	v_bfe_u32 v12, v19, 8, 3
	v_ffbh_u32_e32 v16, v12
	v_min_u32_e32 v16, 32, v16
	v_lshrrev_b16_e32 v14, 3, v13
	v_subrev_u32_e32 v17, 28, v16
	v_and_b32_e32 v14, 15, v14
	v_lshlrev_b32_e32 v13, v17, v13
	v_sub_u32_e32 v16, 29, v16
	v_and_b32_e32 v13, 7, v13
	v_cmp_eq_u16_e32 vcc, 0, v14
	v_cndmask_b32_e32 v12, v12, v13, vcc
	v_cndmask_b32_e32 v13, v14, v16, vcc
	v_lshlrev_b32_e32 v14, 16, v19
	v_mov_b32_e32 v16, 0x3b800000
	v_lshlrev_b32_e32 v12, 20, v12
	v_and_b32_e32 v14, 0x80000000, v14
	v_lshl_add_u32 v13, v13, 23, v16
	v_or3_b32 v12, v14, v13, v12
.LBB1_1260:
	s_or_b64 exec, exec, s[6:7]
	v_lshrrev_b32_e32 v13, 8, v15
	s_movk_i32 s4, 0x7f
	v_cmp_gt_i16_sdwa s[6:7], v13, s4 src0_sel:BYTE_0 src1_sel:DWORD
	s_mov_b64 s[4:5], 0
                                        ; implicit-def: $sgpr10
	s_and_saveexec_b64 s[8:9], s[6:7]
	s_xor_b64 s[6:7], exec, s[8:9]
	s_cbranch_execz .LBB1_1261
; %bb.11253:
	s_getpc_b64 s[14:15]
.Lpost_getpc1530:
	s_add_u32 s14, s14, (.LBB1_5357-.Lpost_getpc1530)&4294967295
	s_addc_u32 s15, s15, (.LBB1_5357-.Lpost_getpc1530)>>32
	s_setpc_b64 s[14:15]
.LBB1_1261:
	s_or_saveexec_b64 s[6:7], s[6:7]
	v_mov_b32_e32 v14, s10
	s_xor_b64 exec, exec, s[6:7]
	s_cbranch_execz .LBB1_1262
; %bb.11255:
	s_getpc_b64 s[14:15]
.Lpost_getpc1531:
	s_add_u32 s14, s14, (.LBB1_5360-.Lpost_getpc1531)&4294967295
	s_addc_u32 s15, s15, (.LBB1_5360-.Lpost_getpc1531)>>32
	s_setpc_b64 s[14:15]
.LBB1_1262:
	s_or_b64 exec, exec, s[6:7]
	s_and_saveexec_b64 s[6:7], s[4:5]
	s_cbranch_execz .LBB1_1264
.LBB1_1263:
	v_bfe_u32 v14, v15, 8, 2
	v_ffbh_u32_e32 v17, v14
	v_min_u32_e32 v17, 32, v17
	v_lshrrev_b16_e32 v16, 2, v13
	v_subrev_u32_e32 v18, 29, v17
	v_and_b32_e32 v16, 31, v16
	v_lshlrev_b32_e32 v13, v18, v13
	v_sub_u32_e32 v17, 30, v17
	v_and_b32_e32 v13, 3, v13
	v_cmp_eq_u16_e32 vcc, 0, v16
	v_cndmask_b32_e32 v13, v14, v13, vcc
	v_cndmask_b32_e32 v14, v16, v17, vcc
	v_lshlrev_b32_e32 v16, 16, v15
	v_mov_b32_e32 v17, 0x37800000
	v_lshlrev_b32_e32 v13, 21, v13
	v_and_b32_e32 v16, 0x80000000, v16
	v_lshl_add_u32 v14, v14, 23, v17
	v_or3_b32 v14, v16, v14, v13
.LBB1_1264:
	s_or_b64 exec, exec, s[6:7]
	s_nop 0
	v_mfma_f32_16x16x4f32 a[0:3], v12, v14, a[0:3]
	s_movk_i32 s4, 0xff
	v_and_b32_sdwa v13, v19, s4 dst_sel:DWORD dst_unused:UNUSED_PAD src0_sel:WORD_1 src1_sel:DWORD
	s_movk_i32 s4, 0x7f
	v_cmp_lt_i16_e32 vcc, s4, v13
	s_mov_b64 s[4:5], 0
                                        ; implicit-def: $sgpr10
	s_and_saveexec_b64 s[6:7], vcc
	s_xor_b64 s[6:7], exec, s[6:7]
	s_cbranch_execz .LBB1_1265
; %bb.11257:
	s_getpc_b64 s[14:15]
.Lpost_getpc1532:
	s_add_u32 s14, s14, (.LBB1_5361-.Lpost_getpc1532)&4294967295
	s_addc_u32 s15, s15, (.LBB1_5361-.Lpost_getpc1532)>>32
	s_setpc_b64 s[14:15]
.LBB1_1265:
	s_or_saveexec_b64 s[6:7], s[6:7]
	v_mov_b32_e32 v12, s10
	s_xor_b64 exec, exec, s[6:7]
	s_cbranch_execz .LBB1_1266
; %bb.11259:
	s_getpc_b64 s[14:15]
.Lpost_getpc1533:
	s_add_u32 s14, s14, (.LBB1_5364-.Lpost_getpc1533)&4294967295
	s_addc_u32 s15, s15, (.LBB1_5364-.Lpost_getpc1533)>>32
	s_setpc_b64 s[14:15]
.LBB1_1266:
	s_or_b64 exec, exec, s[6:7]
	s_and_saveexec_b64 s[6:7], s[4:5]
	s_cbranch_execz .LBB1_1268
.LBB1_1267:
	v_bfe_u32 v12, v19, 16, 3
	v_ffbh_u32_e32 v16, v12
	v_min_u32_e32 v16, 32, v16
	v_lshrrev_b32_e32 v13, 19, v19
	v_subrev_u32_e32 v17, 28, v16
	v_and_b32_e32 v13, 15, v13
	v_lshlrev_b32_sdwa v17, v17, v19 dst_sel:DWORD dst_unused:UNUSED_PAD src0_sel:DWORD src1_sel:WORD_1
	v_bfe_u32 v14, v19, 19, 4
	v_sub_u32_e32 v16, 29, v16
	v_and_b32_e32 v17, 7, v17
	v_cmp_eq_u16_e32 vcc, 0, v13
	v_cndmask_b32_e32 v12, v12, v17, vcc
	v_cndmask_b32_e32 v13, v14, v16, vcc
	v_lshlrev_b32_e32 v14, 8, v19
	v_mov_b32_e32 v16, 0x3b800000
	v_lshlrev_b32_e32 v12, 20, v12
	v_and_b32_e32 v14, 0x80000000, v14
	v_lshl_add_u32 v13, v13, 23, v16
	v_or3_b32 v12, v14, v13, v12
.LBB1_1268:
	s_or_b64 exec, exec, s[6:7]
	s_movk_i32 s4, 0xff
	v_and_b32_sdwa v13, v15, s4 dst_sel:DWORD dst_unused:UNUSED_PAD src0_sel:WORD_1 src1_sel:DWORD
	s_movk_i32 s4, 0x7f
	v_cmp_lt_i16_e32 vcc, s4, v13
	s_mov_b64 s[4:5], 0
                                        ; implicit-def: $sgpr10
	s_and_saveexec_b64 s[6:7], vcc
	s_xor_b64 s[6:7], exec, s[6:7]
	s_cbranch_execz .LBB1_1269
; %bb.11261:
	s_getpc_b64 s[14:15]
.Lpost_getpc1534:
	s_add_u32 s14, s14, (.LBB1_5365-.Lpost_getpc1534)&4294967295
	s_addc_u32 s15, s15, (.LBB1_5365-.Lpost_getpc1534)>>32
	s_setpc_b64 s[14:15]
.LBB1_1269:
	s_or_saveexec_b64 s[6:7], s[6:7]
	v_mov_b32_e32 v14, s10
	s_xor_b64 exec, exec, s[6:7]
	s_cbranch_execz .LBB1_1270
; %bb.11263:
	s_getpc_b64 s[14:15]
.Lpost_getpc1535:
	s_add_u32 s14, s14, (.LBB1_5368-.Lpost_getpc1535)&4294967295
	s_addc_u32 s15, s15, (.LBB1_5368-.Lpost_getpc1535)>>32
	s_setpc_b64 s[14:15]
.LBB1_1270:
	s_or_b64 exec, exec, s[6:7]
	s_and_saveexec_b64 s[6:7], s[4:5]
	s_cbranch_execz .LBB1_1272
.LBB1_1271:
	v_bfe_u32 v13, v15, 16, 2
	v_ffbh_u32_e32 v17, v13
	v_min_u32_e32 v17, 32, v17
	v_lshrrev_b32_e32 v14, 18, v15
	v_subrev_u32_e32 v18, 29, v17
	v_and_b32_e32 v14, 31, v14
	v_lshlrev_b32_sdwa v18, v18, v15 dst_sel:DWORD dst_unused:UNUSED_PAD src0_sel:DWORD src1_sel:WORD_1
	v_bfe_u32 v16, v15, 18, 5
	v_sub_u32_e32 v17, 30, v17
	v_and_b32_e32 v18, 3, v18
	v_cmp_eq_u16_e32 vcc, 0, v14
	v_cndmask_b32_e32 v13, v13, v18, vcc
	v_cndmask_b32_e32 v14, v16, v17, vcc
	v_lshlrev_b32_e32 v16, 8, v15
	v_mov_b32_e32 v17, 0x37800000
	v_lshlrev_b32_e32 v13, 21, v13
	v_and_b32_e32 v16, 0x80000000, v16
	v_lshl_add_u32 v14, v14, 23, v17
	v_or3_b32 v14, v16, v14, v13
.LBB1_1272:
	s_or_b64 exec, exec, s[6:7]
	s_nop 0
	v_mfma_f32_16x16x4f32 a[0:3], v12, v14, a[0:3]
	s_movk_i32 s4, 0x7f
	v_cmp_gt_i16_sdwa s[6:7], v19, s4 src0_sel:BYTE_3 src1_sel:DWORD
	s_mov_b64 s[4:5], 0
                                        ; implicit-def: $sgpr10
	s_and_saveexec_b64 s[8:9], s[6:7]
	s_xor_b64 s[6:7], exec, s[8:9]
	s_cbranch_execz .LBB1_1273
; %bb.11265:
	s_getpc_b64 s[14:15]
.Lpost_getpc1536:
	s_add_u32 s14, s14, (.LBB1_5369-.Lpost_getpc1536)&4294967295
	s_addc_u32 s15, s15, (.LBB1_5369-.Lpost_getpc1536)>>32
	s_setpc_b64 s[14:15]
.LBB1_1273:
	s_or_saveexec_b64 s[6:7], s[6:7]
	v_mov_b32_e32 v12, s10
	s_xor_b64 exec, exec, s[6:7]
	s_cbranch_execz .LBB1_1274
; %bb.11267:
	s_getpc_b64 s[14:15]
.Lpost_getpc1537:
	s_add_u32 s14, s14, (.LBB1_5372-.Lpost_getpc1537)&4294967295
	s_addc_u32 s15, s15, (.LBB1_5372-.Lpost_getpc1537)>>32
	s_setpc_b64 s[14:15]
.LBB1_1274:
	s_or_b64 exec, exec, s[6:7]
	s_and_saveexec_b64 s[6:7], s[4:5]
	s_cbranch_execz .LBB1_1276
.LBB1_1275:
	v_bfe_u32 v12, v19, 24, 3
	v_ffbh_u32_e32 v17, v12
	v_min_u32_e32 v17, 32, v17
	v_lshrrev_b32_e32 v14, 27, v19
	v_subrev_u32_e32 v18, 28, v17
	v_and_b32_e32 v14, 15, v14
	v_lshlrev_b32_sdwa v18, v18, v19 dst_sel:DWORD dst_unused:UNUSED_PAD src0_sel:DWORD src1_sel:BYTE_3
	v_bfe_u32 v16, v19, 27, 4
	v_sub_u32_e32 v17, 29, v17
	v_and_b32_e32 v18, 7, v18
	v_cmp_eq_u16_e32 vcc, 0, v14
	v_cndmask_b32_e32 v12, v12, v18, vcc
	v_cndmask_b32_e32 v14, v16, v17, vcc
	v_mov_b32_e32 v16, 0x3b800000
	v_and_b32_e32 v13, 0x80000000, v19
	v_lshlrev_b32_e32 v12, 20, v12
	v_lshl_add_u32 v14, v14, 23, v16
	v_or3_b32 v12, v13, v14, v12
.LBB1_1276:
	s_or_b64 exec, exec, s[6:7]
	s_movk_i32 s4, 0x7f
	v_cmp_gt_i16_sdwa s[6:7], v15, s4 src0_sel:BYTE_3 src1_sel:DWORD
	s_mov_b64 s[4:5], 0
                                        ; implicit-def: $sgpr10
	s_and_saveexec_b64 s[8:9], s[6:7]
	s_xor_b64 s[6:7], exec, s[8:9]
	s_cbranch_execz .LBB1_1277
; %bb.11269:
	s_getpc_b64 s[14:15]
.Lpost_getpc1538:
	s_add_u32 s14, s14, (.LBB1_5373-.Lpost_getpc1538)&4294967295
	s_addc_u32 s15, s15, (.LBB1_5373-.Lpost_getpc1538)>>32
	s_setpc_b64 s[14:15]
.LBB1_1277:
	s_or_saveexec_b64 s[6:7], s[6:7]
	v_mov_b32_e32 v13, s10
	s_xor_b64 exec, exec, s[6:7]
	s_cbranch_execz .LBB1_1278
; %bb.11271:
	s_getpc_b64 s[14:15]
.Lpost_getpc1539:
	s_add_u32 s14, s14, (.LBB1_5376-.Lpost_getpc1539)&4294967295
	s_addc_u32 s15, s15, (.LBB1_5376-.Lpost_getpc1539)>>32
	s_setpc_b64 s[14:15]
.LBB1_1278:
	s_or_b64 exec, exec, s[6:7]
	s_and_saveexec_b64 s[6:7], s[4:5]
	s_cbranch_execz .LBB1_1280
.LBB1_1279:
	v_bfe_u32 v13, v15, 24, 2
	v_ffbh_u32_e32 v18, v13
	v_min_u32_e32 v18, 32, v18
	v_lshrrev_b32_e32 v16, 26, v15
	v_subrev_u32_e32 v19, 29, v18
	v_and_b32_e32 v14, 0x80000000, v15
	v_and_b32_e32 v16, 31, v16
	v_bfe_u32 v17, v15, 26, 5
	v_lshlrev_b32_sdwa v15, v19, v15 dst_sel:DWORD dst_unused:UNUSED_PAD src0_sel:DWORD src1_sel:BYTE_3
	v_sub_u32_e32 v18, 30, v18
	v_and_b32_e32 v15, 3, v15
	v_cmp_eq_u16_e32 vcc, 0, v16
	v_cndmask_b32_e32 v13, v13, v15, vcc
	v_cndmask_b32_e32 v15, v17, v18, vcc
	v_mov_b32_e32 v16, 0x37800000
	v_lshlrev_b32_e32 v13, 21, v13
	v_lshl_add_u32 v15, v15, 23, v16
	v_or3_b32 v13, v14, v15, v13
.LBB1_1280:
	s_or_b64 exec, exec, s[6:7]
	s_nop 0
	v_mfma_f32_16x16x4f32 a[0:3], v12, v13, a[0:3]
	v_mov_b32_e32 v16, 8
	s_movk_i32 s4, 0x7f
                                        ; implicit-def: $sgpr10
	s_nop 7
	s_nop 0
	flat_store_dwordx4 v[10:11], a[0:3] offset:144
	flat_load_dword v14, v[0:1] offset:544
	flat_load_dwordx2 v[12:13], v[6:7]
	s_waitcnt vmcnt(0) lgkmcnt(0)
	v_ashrrev_i32_e32 v15, 31, v14
	v_add_co_u32_e32 v12, vcc, v12, v14
	v_addc_co_u32_e32 v13, vcc, v13, v15, vcc
	flat_load_dwordx4 v[12:15], v[12:13] offset:1024
	s_waitcnt vmcnt(0) lgkmcnt(0)
	v_lshrrev_b32_sdwa v20, v16, v14 dst_sel:BYTE_1 dst_unused:UNUSED_PAD src0_sel:DWORD src1_sel:DWORD
	flat_store_dwordx4 v[8:9], v[12:15]
	flat_load_dwordx4 v[16:19], v[4:5]
	s_waitcnt vmcnt(0) lgkmcnt(0)
	v_cmp_gt_i16_sdwa s[6:7], v16, s4 src0_sel:BYTE_0 src1_sel:DWORD
	s_mov_b64 s[4:5], 0
	s_and_saveexec_b64 s[8:9], s[6:7]
	s_xor_b64 s[6:7], exec, s[8:9]
	s_cbranch_execz .LBB1_1281
; %bb.11273:
	s_getpc_b64 s[14:15]
.Lpost_getpc1540:
	s_add_u32 s14, s14, (.LBB1_5377-.Lpost_getpc1540)&4294967295
	s_addc_u32 s15, s15, (.LBB1_5377-.Lpost_getpc1540)>>32
	s_setpc_b64 s[14:15]
.LBB1_1281:
	s_or_saveexec_b64 s[6:7], s[6:7]
	v_mov_b32_e32 v21, s10
	s_xor_b64 exec, exec, s[6:7]
	s_cbranch_execz .LBB1_1282
; %bb.11275:
	s_getpc_b64 s[14:15]
.Lpost_getpc1541:
	s_add_u32 s14, s14, (.LBB1_5380-.Lpost_getpc1541)&4294967295
	s_addc_u32 s15, s15, (.LBB1_5380-.Lpost_getpc1541)>>32
	s_setpc_b64 s[14:15]
.LBB1_1282:
	s_or_b64 exec, exec, s[6:7]
	s_and_saveexec_b64 s[6:7], s[4:5]
	s_cbranch_execz .LBB1_1284
.LBB1_1283:
	v_and_b32_e32 v21, 7, v16
	v_ffbh_u32_e32 v23, v21
	v_min_u32_e32 v23, 32, v23
	v_lshrrev_b16_e32 v22, 3, v16
	v_subrev_u32_e32 v24, 28, v23
	v_and_b32_e32 v22, 15, v22
	v_lshlrev_b32_e32 v24, v24, v16
	v_sub_u32_e32 v23, 29, v23
	v_and_b32_e32 v24, 7, v24
	v_cmp_eq_u16_e32 vcc, 0, v22
	v_cndmask_b32_e32 v21, v21, v24, vcc
	v_cndmask_b32_e32 v22, v22, v23, vcc
	v_lshlrev_b32_e32 v23, 24, v16
	v_mov_b32_e32 v24, 0x3b800000
	v_lshlrev_b32_e32 v21, 20, v21
	v_and_b32_e32 v23, 0x80000000, v23
	v_lshl_add_u32 v22, v22, 23, v24
	v_or3_b32 v21, v23, v22, v21
.LBB1_1284:
	s_or_b64 exec, exec, s[6:7]
	s_movk_i32 s4, 0x7f
	v_cmp_gt_i16_sdwa s[6:7], v12, s4 src0_sel:BYTE_0 src1_sel:DWORD
	s_mov_b64 s[4:5], 0
                                        ; implicit-def: $sgpr10
	s_and_saveexec_b64 s[8:9], s[6:7]
	s_xor_b64 s[6:7], exec, s[8:9]
	s_cbranch_execz .LBB1_1285
; %bb.11277:
	s_getpc_b64 s[14:15]
.Lpost_getpc1542:
	s_add_u32 s14, s14, (.LBB1_5381-.Lpost_getpc1542)&4294967295
	s_addc_u32 s15, s15, (.LBB1_5381-.Lpost_getpc1542)>>32
	s_setpc_b64 s[14:15]
.LBB1_1285:
	s_or_saveexec_b64 s[6:7], s[6:7]
	v_mov_b32_e32 v22, s10
	s_xor_b64 exec, exec, s[6:7]
	s_cbranch_execz .LBB1_1286
; %bb.11279:
	s_getpc_b64 s[14:15]
.Lpost_getpc1543:
	s_add_u32 s14, s14, (.LBB1_5384-.Lpost_getpc1543)&4294967295
	s_addc_u32 s15, s15, (.LBB1_5384-.Lpost_getpc1543)>>32
	s_setpc_b64 s[14:15]
.LBB1_1286:
	s_or_b64 exec, exec, s[6:7]
	s_and_saveexec_b64 s[6:7], s[4:5]
	s_cbranch_execz .LBB1_1288
.LBB1_1287:
	v_and_b32_e32 v22, 3, v12
	v_ffbh_u32_e32 v24, v22
	v_min_u32_e32 v24, 32, v24
	v_lshrrev_b16_e32 v23, 2, v12
	v_subrev_u32_e32 v25, 29, v24
	v_and_b32_e32 v23, 31, v23
	v_lshlrev_b32_e32 v25, v25, v12
	v_sub_u32_e32 v24, 30, v24
	v_and_b32_e32 v25, 3, v25
	v_cmp_eq_u16_e32 vcc, 0, v23
	v_cndmask_b32_e32 v22, v22, v25, vcc
	v_cndmask_b32_e32 v23, v23, v24, vcc
	v_lshlrev_b32_e32 v24, 24, v12
	v_mov_b32_e32 v25, 0x37800000
	v_lshlrev_b32_e32 v22, 21, v22
	v_and_b32_e32 v24, 0x80000000, v24
	v_lshl_add_u32 v23, v23, 23, v25
	v_or3_b32 v22, v24, v23, v22
.LBB1_1288:
	s_or_b64 exec, exec, s[6:7]
	flat_load_dwordx4 a[0:3], v[10:11] offset:160
	s_movk_i32 s4, 0x7f
                                        ; implicit-def: $sgpr10
	s_waitcnt vmcnt(0) lgkmcnt(0)
	v_mfma_f32_16x16x4f32 a[0:3], v21, v22, a[0:3]
	v_lshrrev_b32_e32 v22, 8, v16
	v_cmp_gt_i16_sdwa s[6:7], v22, s4 src0_sel:BYTE_0 src1_sel:DWORD
	s_mov_b64 s[4:5], 0
	s_and_saveexec_b64 s[8:9], s[6:7]
	s_xor_b64 s[6:7], exec, s[8:9]
	s_cbranch_execz .LBB1_1289
; %bb.11281:
	s_getpc_b64 s[14:15]
.Lpost_getpc1544:
	s_add_u32 s14, s14, (.LBB1_5385-.Lpost_getpc1544)&4294967295
	s_addc_u32 s15, s15, (.LBB1_5385-.Lpost_getpc1544)>>32
	s_setpc_b64 s[14:15]
.LBB1_1289:
	s_or_saveexec_b64 s[6:7], s[6:7]
	v_mov_b32_e32 v21, s10
	s_xor_b64 exec, exec, s[6:7]
	s_cbranch_execz .LBB1_1290
; %bb.11283:
	s_getpc_b64 s[14:15]
.Lpost_getpc1545:
	s_add_u32 s14, s14, (.LBB1_5388-.Lpost_getpc1545)&4294967295
	s_addc_u32 s15, s15, (.LBB1_5388-.Lpost_getpc1545)>>32
	s_setpc_b64 s[14:15]
.LBB1_1290:
	s_or_b64 exec, exec, s[6:7]
	s_and_saveexec_b64 s[6:7], s[4:5]
	s_cbranch_execz .LBB1_1292
.LBB1_1291:
	v_bfe_u32 v21, v16, 8, 3
	v_ffbh_u32_e32 v24, v21
	v_min_u32_e32 v24, 32, v24
	v_lshrrev_b16_e32 v23, 3, v22
	v_subrev_u32_e32 v25, 28, v24
	v_and_b32_e32 v23, 15, v23
	v_lshlrev_b32_e32 v22, v25, v22
	v_sub_u32_e32 v24, 29, v24
	v_and_b32_e32 v22, 7, v22
	v_cmp_eq_u16_e32 vcc, 0, v23
	v_cndmask_b32_e32 v21, v21, v22, vcc
	v_cndmask_b32_e32 v22, v23, v24, vcc
	v_lshlrev_b32_e32 v23, 16, v16
	v_mov_b32_e32 v24, 0x3b800000
	v_lshlrev_b32_e32 v21, 20, v21
	v_and_b32_e32 v23, 0x80000000, v23
	v_lshl_add_u32 v22, v22, 23, v24
	v_or3_b32 v21, v23, v22, v21
.LBB1_1292:
	s_or_b64 exec, exec, s[6:7]
	v_lshrrev_b32_e32 v22, 8, v12
	s_movk_i32 s4, 0x7f
	v_cmp_gt_i16_sdwa s[6:7], v22, s4 src0_sel:BYTE_0 src1_sel:DWORD
	s_mov_b64 s[4:5], 0
                                        ; implicit-def: $sgpr10
	s_and_saveexec_b64 s[8:9], s[6:7]
	s_xor_b64 s[6:7], exec, s[8:9]
	s_cbranch_execz .LBB1_1293
; %bb.11285:
	s_getpc_b64 s[14:15]
.Lpost_getpc1546:
	s_add_u32 s14, s14, (.LBB1_5389-.Lpost_getpc1546)&4294967295
	s_addc_u32 s15, s15, (.LBB1_5389-.Lpost_getpc1546)>>32
	s_setpc_b64 s[14:15]
.LBB1_1293:
	s_or_saveexec_b64 s[6:7], s[6:7]
	v_mov_b32_e32 v23, s10
	s_xor_b64 exec, exec, s[6:7]
	s_cbranch_execz .LBB1_1294
; %bb.11287:
	s_getpc_b64 s[14:15]
.Lpost_getpc1547:
	s_add_u32 s14, s14, (.LBB1_5392-.Lpost_getpc1547)&4294967295
	s_addc_u32 s15, s15, (.LBB1_5392-.Lpost_getpc1547)>>32
	s_setpc_b64 s[14:15]
.LBB1_1294:
	s_or_b64 exec, exec, s[6:7]
	s_and_saveexec_b64 s[6:7], s[4:5]
	s_cbranch_execz .LBB1_1296
.LBB1_1295:
	v_bfe_u32 v23, v12, 8, 2
	v_ffbh_u32_e32 v25, v23
	v_min_u32_e32 v25, 32, v25
	v_lshrrev_b16_e32 v24, 2, v22
	v_subrev_u32_e32 v26, 29, v25
	v_and_b32_e32 v24, 31, v24
	v_lshlrev_b32_e32 v22, v26, v22
	v_sub_u32_e32 v25, 30, v25
	v_and_b32_e32 v22, 3, v22
	v_cmp_eq_u16_e32 vcc, 0, v24
	v_cndmask_b32_e32 v22, v23, v22, vcc
	v_cndmask_b32_e32 v23, v24, v25, vcc
	v_lshlrev_b32_e32 v24, 16, v12
	v_mov_b32_e32 v25, 0x37800000
	v_lshlrev_b32_e32 v22, 21, v22
	v_and_b32_e32 v24, 0x80000000, v24
	v_lshl_add_u32 v23, v23, 23, v25
	v_or3_b32 v23, v24, v23, v22
.LBB1_1296:
	s_or_b64 exec, exec, s[6:7]
	s_nop 0
	v_mfma_f32_16x16x4f32 a[0:3], v21, v23, a[0:3]
	s_movk_i32 s4, 0xff
	v_and_b32_sdwa v22, v16, s4 dst_sel:DWORD dst_unused:UNUSED_PAD src0_sel:WORD_1 src1_sel:DWORD
	s_movk_i32 s4, 0x7f
	v_cmp_lt_i16_e32 vcc, s4, v22
	s_mov_b64 s[4:5], 0
                                        ; implicit-def: $sgpr10
	s_and_saveexec_b64 s[6:7], vcc
	s_xor_b64 s[6:7], exec, s[6:7]
	s_cbranch_execz .LBB1_1297
; %bb.11289:
	s_getpc_b64 s[14:15]
.Lpost_getpc1548:
	s_add_u32 s14, s14, (.LBB1_5393-.Lpost_getpc1548)&4294967295
	s_addc_u32 s15, s15, (.LBB1_5393-.Lpost_getpc1548)>>32
	s_setpc_b64 s[14:15]
.LBB1_1297:
	s_or_saveexec_b64 s[6:7], s[6:7]
	v_mov_b32_e32 v21, s10
	s_xor_b64 exec, exec, s[6:7]
	s_cbranch_execz .LBB1_1298
; %bb.11291:
	s_getpc_b64 s[14:15]
.Lpost_getpc1549:
	s_add_u32 s14, s14, (.LBB1_5396-.Lpost_getpc1549)&4294967295
	s_addc_u32 s15, s15, (.LBB1_5396-.Lpost_getpc1549)>>32
	s_setpc_b64 s[14:15]
.LBB1_1298:
	s_or_b64 exec, exec, s[6:7]
	s_and_saveexec_b64 s[6:7], s[4:5]
	s_cbranch_execz .LBB1_1300
.LBB1_1299:
	v_bfe_u32 v21, v16, 16, 3
	v_ffbh_u32_e32 v24, v21
	v_min_u32_e32 v24, 32, v24
	v_lshrrev_b32_e32 v22, 19, v16
	v_subrev_u32_e32 v25, 28, v24
	v_and_b32_e32 v22, 15, v22
	v_lshlrev_b32_sdwa v25, v25, v16 dst_sel:DWORD dst_unused:UNUSED_PAD src0_sel:DWORD src1_sel:WORD_1
	v_bfe_u32 v23, v16, 19, 4
	v_sub_u32_e32 v24, 29, v24
	v_and_b32_e32 v25, 7, v25
	v_cmp_eq_u16_e32 vcc, 0, v22
	v_cndmask_b32_e32 v21, v21, v25, vcc
	v_cndmask_b32_e32 v22, v23, v24, vcc
	v_lshlrev_b32_e32 v23, 8, v16
	v_mov_b32_e32 v24, 0x3b800000
	v_lshlrev_b32_e32 v21, 20, v21
	v_and_b32_e32 v23, 0x80000000, v23
	v_lshl_add_u32 v22, v22, 23, v24
	v_or3_b32 v21, v23, v22, v21
.LBB1_1300:
	s_or_b64 exec, exec, s[6:7]
	s_movk_i32 s4, 0xff
	v_and_b32_sdwa v22, v12, s4 dst_sel:DWORD dst_unused:UNUSED_PAD src0_sel:WORD_1 src1_sel:DWORD
	s_movk_i32 s4, 0x7f
	v_cmp_lt_i16_e32 vcc, s4, v22
	s_mov_b64 s[4:5], 0
                                        ; implicit-def: $sgpr10
	s_and_saveexec_b64 s[6:7], vcc
	s_xor_b64 s[6:7], exec, s[6:7]
	s_cbranch_execz .LBB1_1301
; %bb.11293:
	s_getpc_b64 s[14:15]
.Lpost_getpc1550:
	s_add_u32 s14, s14, (.LBB1_5397-.Lpost_getpc1550)&4294967295
	s_addc_u32 s15, s15, (.LBB1_5397-.Lpost_getpc1550)>>32
	s_setpc_b64 s[14:15]
.LBB1_1301:
	s_or_saveexec_b64 s[6:7], s[6:7]
	v_mov_b32_e32 v23, s10
	s_xor_b64 exec, exec, s[6:7]
	s_cbranch_execz .LBB1_1302
; %bb.11295:
	s_getpc_b64 s[14:15]
.Lpost_getpc1551:
	s_add_u32 s14, s14, (.LBB1_5400-.Lpost_getpc1551)&4294967295
	s_addc_u32 s15, s15, (.LBB1_5400-.Lpost_getpc1551)>>32
	s_setpc_b64 s[14:15]
.LBB1_1302:
	s_or_b64 exec, exec, s[6:7]
	s_and_saveexec_b64 s[6:7], s[4:5]
	s_cbranch_execz .LBB1_1304
.LBB1_1303:
	v_bfe_u32 v22, v12, 16, 2
	v_ffbh_u32_e32 v25, v22
	v_min_u32_e32 v25, 32, v25
	v_lshrrev_b32_e32 v23, 18, v12
	v_subrev_u32_e32 v26, 29, v25
	v_and_b32_e32 v23, 31, v23
	v_lshlrev_b32_sdwa v26, v26, v12 dst_sel:DWORD dst_unused:UNUSED_PAD src0_sel:DWORD src1_sel:WORD_1
	v_bfe_u32 v24, v12, 18, 5
	v_sub_u32_e32 v25, 30, v25
	v_and_b32_e32 v26, 3, v26
	v_cmp_eq_u16_e32 vcc, 0, v23
	v_cndmask_b32_e32 v22, v22, v26, vcc
	v_cndmask_b32_e32 v23, v24, v25, vcc
	v_lshlrev_b32_e32 v24, 8, v12
	v_mov_b32_e32 v25, 0x37800000
	v_lshlrev_b32_e32 v22, 21, v22
	v_and_b32_e32 v24, 0x80000000, v24
	v_lshl_add_u32 v23, v23, 23, v25
	v_or3_b32 v23, v24, v23, v22
.LBB1_1304:
	s_or_b64 exec, exec, s[6:7]
	s_nop 0
	v_mfma_f32_16x16x4f32 a[0:3], v21, v23, a[0:3]
	s_movk_i32 s4, 0x7f
	v_cmp_gt_i16_sdwa s[6:7], v16, s4 src0_sel:BYTE_3 src1_sel:DWORD
	s_mov_b64 s[4:5], 0
                                        ; implicit-def: $sgpr10
	s_and_saveexec_b64 s[8:9], s[6:7]
	s_xor_b64 s[6:7], exec, s[8:9]
	s_cbranch_execz .LBB1_1305
; %bb.11297:
	s_getpc_b64 s[14:15]
.Lpost_getpc1552:
	s_add_u32 s14, s14, (.LBB1_5401-.Lpost_getpc1552)&4294967295
	s_addc_u32 s15, s15, (.LBB1_5401-.Lpost_getpc1552)>>32
	s_setpc_b64 s[14:15]
.LBB1_1305:
	s_or_saveexec_b64 s[6:7], s[6:7]
	v_mov_b32_e32 v21, s10
	s_xor_b64 exec, exec, s[6:7]
	s_cbranch_execz .LBB1_1306
; %bb.11299:
	s_getpc_b64 s[14:15]
.Lpost_getpc1553:
	s_add_u32 s14, s14, (.LBB1_5404-.Lpost_getpc1553)&4294967295
	s_addc_u32 s15, s15, (.LBB1_5404-.Lpost_getpc1553)>>32
	s_setpc_b64 s[14:15]
.LBB1_1306:
	s_or_b64 exec, exec, s[6:7]
	s_and_saveexec_b64 s[6:7], s[4:5]
	s_cbranch_execz .LBB1_1308
.LBB1_1307:
	v_bfe_u32 v21, v16, 24, 3
	v_ffbh_u32_e32 v25, v21
	v_min_u32_e32 v25, 32, v25
	v_lshrrev_b32_e32 v23, 27, v16
	v_subrev_u32_e32 v26, 28, v25
	v_and_b32_e32 v22, 0x80000000, v16
	v_and_b32_e32 v23, 15, v23
	v_bfe_u32 v24, v16, 27, 4
	v_lshlrev_b32_sdwa v16, v26, v16 dst_sel:DWORD dst_unused:UNUSED_PAD src0_sel:DWORD src1_sel:BYTE_3
	v_sub_u32_e32 v25, 29, v25
	v_and_b32_e32 v16, 7, v16
	v_cmp_eq_u16_e32 vcc, 0, v23
	v_cndmask_b32_e32 v16, v21, v16, vcc
	v_cndmask_b32_e32 v21, v24, v25, vcc
	v_mov_b32_e32 v23, 0x3b800000
	v_lshlrev_b32_e32 v16, 20, v16
	v_lshl_add_u32 v21, v21, 23, v23
	v_or3_b32 v21, v22, v21, v16
.LBB1_1308:
	s_or_b64 exec, exec, s[6:7]
	s_movk_i32 s4, 0x7f
	v_cmp_gt_i16_sdwa s[6:7], v12, s4 src0_sel:BYTE_3 src1_sel:DWORD
	s_mov_b64 s[4:5], 0
                                        ; implicit-def: $sgpr10
	s_and_saveexec_b64 s[8:9], s[6:7]
	s_xor_b64 s[6:7], exec, s[8:9]
	s_cbranch_execz .LBB1_1309
; %bb.11301:
	s_getpc_b64 s[14:15]
.Lpost_getpc1554:
	s_add_u32 s14, s14, (.LBB1_5405-.Lpost_getpc1554)&4294967295
	s_addc_u32 s15, s15, (.LBB1_5405-.Lpost_getpc1554)>>32
	s_setpc_b64 s[14:15]
.LBB1_1309:
	s_or_saveexec_b64 s[6:7], s[6:7]
	v_mov_b32_e32 v16, s10
	s_xor_b64 exec, exec, s[6:7]
	s_cbranch_execz .LBB1_1310
; %bb.11303:
	s_getpc_b64 s[14:15]
.Lpost_getpc1555:
	s_add_u32 s14, s14, (.LBB1_5408-.Lpost_getpc1555)&4294967295
	s_addc_u32 s15, s15, (.LBB1_5408-.Lpost_getpc1555)>>32
	s_setpc_b64 s[14:15]
.LBB1_1310:
	s_or_b64 exec, exec, s[6:7]
	s_and_saveexec_b64 s[6:7], s[4:5]
	s_cbranch_execz .LBB1_1312
.LBB1_1311:
	v_bfe_u32 v16, v12, 24, 2
	v_ffbh_u32_e32 v25, v16
	v_min_u32_e32 v25, 32, v25
	v_lshrrev_b32_e32 v23, 26, v12
	v_subrev_u32_e32 v26, 29, v25
	v_and_b32_e32 v22, 0x80000000, v12
	v_and_b32_e32 v23, 31, v23
	v_bfe_u32 v24, v12, 26, 5
	v_lshlrev_b32_sdwa v12, v26, v12 dst_sel:DWORD dst_unused:UNUSED_PAD src0_sel:DWORD src1_sel:BYTE_3
	v_sub_u32_e32 v25, 30, v25
	v_and_b32_e32 v12, 3, v12
	v_cmp_eq_u16_e32 vcc, 0, v23
	v_cndmask_b32_e32 v12, v16, v12, vcc
	v_cndmask_b32_e32 v16, v24, v25, vcc
	v_mov_b32_e32 v23, 0x37800000
	v_lshlrev_b32_e32 v12, 21, v12
	v_lshl_add_u32 v16, v16, 23, v23
	v_or3_b32 v16, v22, v16, v12
.LBB1_1312:
	s_or_b64 exec, exec, s[6:7]
	s_nop 0
	v_mfma_f32_16x16x4f32 a[0:3], v21, v16, a[0:3]
	s_movk_i32 s4, 0x7f
	v_cmp_gt_i16_sdwa s[6:7], v17, s4 src0_sel:BYTE_0 src1_sel:DWORD
	s_mov_b64 s[4:5], 0
                                        ; implicit-def: $sgpr10
	s_and_saveexec_b64 s[8:9], s[6:7]
	s_xor_b64 s[6:7], exec, s[8:9]
	s_cbranch_execz .LBB1_1313
; %bb.11305:
	s_getpc_b64 s[14:15]
.Lpost_getpc1556:
	s_add_u32 s14, s14, (.LBB1_5409-.Lpost_getpc1556)&4294967295
	s_addc_u32 s15, s15, (.LBB1_5409-.Lpost_getpc1556)>>32
	s_setpc_b64 s[14:15]
.LBB1_1313:
	s_or_saveexec_b64 s[6:7], s[6:7]
	v_mov_b32_e32 v12, s10
	s_xor_b64 exec, exec, s[6:7]
	s_cbranch_execz .LBB1_1314
; %bb.11307:
	s_getpc_b64 s[14:15]
.Lpost_getpc1557:
	s_add_u32 s14, s14, (.LBB1_5412-.Lpost_getpc1557)&4294967295
	s_addc_u32 s15, s15, (.LBB1_5412-.Lpost_getpc1557)>>32
	s_setpc_b64 s[14:15]
.LBB1_1314:
	s_or_b64 exec, exec, s[6:7]
	s_and_saveexec_b64 s[6:7], s[4:5]
	s_cbranch_execz .LBB1_1316
.LBB1_1315:
	v_and_b32_e32 v12, 7, v17
	v_ffbh_u32_e32 v21, v12
	v_min_u32_e32 v21, 32, v21
	v_lshrrev_b16_e32 v16, 3, v17
	v_subrev_u32_e32 v22, 28, v21
	v_and_b32_e32 v16, 15, v16
	v_lshlrev_b32_e32 v22, v22, v17
	v_sub_u32_e32 v21, 29, v21
	v_and_b32_e32 v22, 7, v22
	v_cmp_eq_u16_e32 vcc, 0, v16
	v_cndmask_b32_e32 v12, v12, v22, vcc
	v_cndmask_b32_e32 v16, v16, v21, vcc
	v_lshlrev_b32_e32 v21, 24, v17
	v_mov_b32_e32 v22, 0x3b800000
	v_lshlrev_b32_e32 v12, 20, v12
	v_and_b32_e32 v21, 0x80000000, v21
	v_lshl_add_u32 v16, v16, 23, v22
	v_or3_b32 v12, v21, v16, v12
.LBB1_1316:
	s_or_b64 exec, exec, s[6:7]
	s_movk_i32 s4, 0x7f
	v_cmp_gt_i16_sdwa s[6:7], v13, s4 src0_sel:BYTE_0 src1_sel:DWORD
	s_mov_b64 s[4:5], 0
                                        ; implicit-def: $sgpr10
	s_and_saveexec_b64 s[8:9], s[6:7]
	s_xor_b64 s[6:7], exec, s[8:9]
	s_cbranch_execz .LBB1_1317
; %bb.11309:
	s_getpc_b64 s[14:15]
.Lpost_getpc1558:
	s_add_u32 s14, s14, (.LBB1_5413-.Lpost_getpc1558)&4294967295
	s_addc_u32 s15, s15, (.LBB1_5413-.Lpost_getpc1558)>>32
	s_setpc_b64 s[14:15]
.LBB1_1317:
	s_or_saveexec_b64 s[6:7], s[6:7]
	v_mov_b32_e32 v16, s10
	s_xor_b64 exec, exec, s[6:7]
	s_cbranch_execz .LBB1_1318
; %bb.11311:
	s_getpc_b64 s[14:15]
.Lpost_getpc1559:
	s_add_u32 s14, s14, (.LBB1_5416-.Lpost_getpc1559)&4294967295
	s_addc_u32 s15, s15, (.LBB1_5416-.Lpost_getpc1559)>>32
	s_setpc_b64 s[14:15]
.LBB1_1318:
	s_or_b64 exec, exec, s[6:7]
	s_and_saveexec_b64 s[6:7], s[4:5]
	s_cbranch_execz .LBB1_1320
.LBB1_1319:
	v_and_b32_e32 v16, 3, v13
	v_ffbh_u32_e32 v22, v16
	v_min_u32_e32 v22, 32, v22
	v_lshrrev_b16_e32 v21, 2, v13
	v_subrev_u32_e32 v23, 29, v22
	v_and_b32_e32 v21, 31, v21
	v_lshlrev_b32_e32 v23, v23, v13
	v_sub_u32_e32 v22, 30, v22
	v_and_b32_e32 v23, 3, v23
	v_cmp_eq_u16_e32 vcc, 0, v21
	v_cndmask_b32_e32 v16, v16, v23, vcc
	v_cndmask_b32_e32 v21, v21, v22, vcc
	v_lshlrev_b32_e32 v22, 24, v13
	v_mov_b32_e32 v23, 0x37800000
	v_lshlrev_b32_e32 v16, 21, v16
	v_and_b32_e32 v22, 0x80000000, v22
	v_lshl_add_u32 v21, v21, 23, v23
	v_or3_b32 v16, v22, v21, v16
.LBB1_1320:
	s_or_b64 exec, exec, s[6:7]
	s_nop 0
	v_mfma_f32_16x16x4f32 a[0:3], v12, v16, a[0:3]
	v_lshrrev_b32_e32 v16, 8, v17
	s_movk_i32 s4, 0x7f
	v_cmp_gt_i16_sdwa s[6:7], v16, s4 src0_sel:BYTE_0 src1_sel:DWORD
	s_mov_b64 s[4:5], 0
                                        ; implicit-def: $sgpr10
	s_and_saveexec_b64 s[8:9], s[6:7]
	s_xor_b64 s[6:7], exec, s[8:9]
	s_cbranch_execz .LBB1_1321
; %bb.11313:
	s_getpc_b64 s[14:15]
.Lpost_getpc1560:
	s_add_u32 s14, s14, (.LBB1_5417-.Lpost_getpc1560)&4294967295
	s_addc_u32 s15, s15, (.LBB1_5417-.Lpost_getpc1560)>>32
	s_setpc_b64 s[14:15]
.LBB1_1321:
	s_or_saveexec_b64 s[6:7], s[6:7]
	v_mov_b32_e32 v12, s10
	s_xor_b64 exec, exec, s[6:7]
	s_cbranch_execz .LBB1_1322
; %bb.11315:
	s_getpc_b64 s[14:15]
.Lpost_getpc1561:
	s_add_u32 s14, s14, (.LBB1_5420-.Lpost_getpc1561)&4294967295
	s_addc_u32 s15, s15, (.LBB1_5420-.Lpost_getpc1561)>>32
	s_setpc_b64 s[14:15]
.LBB1_1322:
	s_or_b64 exec, exec, s[6:7]
	s_and_saveexec_b64 s[6:7], s[4:5]
	s_cbranch_execz .LBB1_1324
.LBB1_1323:
	v_bfe_u32 v12, v17, 8, 3
	v_ffbh_u32_e32 v22, v12
	v_min_u32_e32 v22, 32, v22
	v_lshrrev_b16_e32 v21, 3, v16
	v_subrev_u32_e32 v23, 28, v22
	v_and_b32_e32 v21, 15, v21
	v_lshlrev_b32_e32 v16, v23, v16
	v_sub_u32_e32 v22, 29, v22
	v_and_b32_e32 v16, 7, v16
	v_cmp_eq_u16_e32 vcc, 0, v21
	v_cndmask_b32_e32 v12, v12, v16, vcc
	v_cndmask_b32_e32 v16, v21, v22, vcc
	v_lshlrev_b32_e32 v21, 16, v17
	v_mov_b32_e32 v22, 0x3b800000
	v_lshlrev_b32_e32 v12, 20, v12
	v_and_b32_e32 v21, 0x80000000, v21
	v_lshl_add_u32 v16, v16, 23, v22
	v_or3_b32 v12, v21, v16, v12
.LBB1_1324:
	s_or_b64 exec, exec, s[6:7]
	v_lshrrev_b32_e32 v16, 8, v13
	s_movk_i32 s4, 0x7f
	v_cmp_gt_i16_sdwa s[6:7], v16, s4 src0_sel:BYTE_0 src1_sel:DWORD
	s_mov_b64 s[4:5], 0
                                        ; implicit-def: $sgpr10
	s_and_saveexec_b64 s[8:9], s[6:7]
	s_xor_b64 s[6:7], exec, s[8:9]
	s_cbranch_execz .LBB1_1325
; %bb.11317:
	s_getpc_b64 s[14:15]
.Lpost_getpc1562:
	s_add_u32 s14, s14, (.LBB1_5421-.Lpost_getpc1562)&4294967295
	s_addc_u32 s15, s15, (.LBB1_5421-.Lpost_getpc1562)>>32
	s_setpc_b64 s[14:15]
.LBB1_1325:
	s_or_saveexec_b64 s[6:7], s[6:7]
	v_mov_b32_e32 v21, s10
	s_xor_b64 exec, exec, s[6:7]
	s_cbranch_execz .LBB1_1326
; %bb.11319:
	s_getpc_b64 s[14:15]
.Lpost_getpc1563:
	s_add_u32 s14, s14, (.LBB1_5424-.Lpost_getpc1563)&4294967295
	s_addc_u32 s15, s15, (.LBB1_5424-.Lpost_getpc1563)>>32
	s_setpc_b64 s[14:15]
.LBB1_1326:
	s_or_b64 exec, exec, s[6:7]
	s_and_saveexec_b64 s[6:7], s[4:5]
	s_cbranch_execz .LBB1_1328
.LBB1_1327:
	v_bfe_u32 v21, v13, 8, 2
	v_ffbh_u32_e32 v23, v21
	v_min_u32_e32 v23, 32, v23
	v_lshrrev_b16_e32 v22, 2, v16
	v_subrev_u32_e32 v24, 29, v23
	v_and_b32_e32 v22, 31, v22
	v_lshlrev_b32_e32 v16, v24, v16
	v_sub_u32_e32 v23, 30, v23
	v_and_b32_e32 v16, 3, v16
	v_cmp_eq_u16_e32 vcc, 0, v22
	v_cndmask_b32_e32 v16, v21, v16, vcc
	v_cndmask_b32_e32 v21, v22, v23, vcc
	v_lshlrev_b32_e32 v22, 16, v13
	v_mov_b32_e32 v23, 0x37800000
	v_lshlrev_b32_e32 v16, 21, v16
	v_and_b32_e32 v22, 0x80000000, v22
	v_lshl_add_u32 v21, v21, 23, v23
	v_or3_b32 v21, v22, v21, v16
.LBB1_1328:
	s_or_b64 exec, exec, s[6:7]
	s_nop 0
	v_mfma_f32_16x16x4f32 a[0:3], v12, v21, a[0:3]
	s_movk_i32 s4, 0xff
	v_and_b32_sdwa v16, v17, s4 dst_sel:DWORD dst_unused:UNUSED_PAD src0_sel:WORD_1 src1_sel:DWORD
	s_movk_i32 s4, 0x7f
	v_cmp_lt_i16_e32 vcc, s4, v16
	s_mov_b64 s[4:5], 0
                                        ; implicit-def: $sgpr10
	s_and_saveexec_b64 s[6:7], vcc
	s_xor_b64 s[6:7], exec, s[6:7]
	s_cbranch_execz .LBB1_1329
; %bb.11321:
	s_getpc_b64 s[14:15]
.Lpost_getpc1564:
	s_add_u32 s14, s14, (.LBB1_5425-.Lpost_getpc1564)&4294967295
	s_addc_u32 s15, s15, (.LBB1_5425-.Lpost_getpc1564)>>32
	s_setpc_b64 s[14:15]
.LBB1_1329:
	s_or_saveexec_b64 s[6:7], s[6:7]
	v_mov_b32_e32 v12, s10
	s_xor_b64 exec, exec, s[6:7]
	s_cbranch_execz .LBB1_1330
; %bb.11323:
	s_getpc_b64 s[14:15]
.Lpost_getpc1565:
	s_add_u32 s14, s14, (.LBB1_5428-.Lpost_getpc1565)&4294967295
	s_addc_u32 s15, s15, (.LBB1_5428-.Lpost_getpc1565)>>32
	s_setpc_b64 s[14:15]
.LBB1_1330:
	s_or_b64 exec, exec, s[6:7]
	s_and_saveexec_b64 s[6:7], s[4:5]
	s_cbranch_execz .LBB1_1332
.LBB1_1331:
	v_bfe_u32 v12, v17, 16, 3
	v_ffbh_u32_e32 v22, v12
	v_min_u32_e32 v22, 32, v22
	v_lshrrev_b32_e32 v16, 19, v17
	v_subrev_u32_e32 v23, 28, v22
	v_and_b32_e32 v16, 15, v16
	v_lshlrev_b32_sdwa v23, v23, v17 dst_sel:DWORD dst_unused:UNUSED_PAD src0_sel:DWORD src1_sel:WORD_1
	v_bfe_u32 v21, v17, 19, 4
	v_sub_u32_e32 v22, 29, v22
	v_and_b32_e32 v23, 7, v23
	v_cmp_eq_u16_e32 vcc, 0, v16
	v_cndmask_b32_e32 v12, v12, v23, vcc
	v_cndmask_b32_e32 v16, v21, v22, vcc
	v_lshlrev_b32_e32 v21, 8, v17
	v_mov_b32_e32 v22, 0x3b800000
	v_lshlrev_b32_e32 v12, 20, v12
	v_and_b32_e32 v21, 0x80000000, v21
	v_lshl_add_u32 v16, v16, 23, v22
	v_or3_b32 v12, v21, v16, v12
.LBB1_1332:
	s_or_b64 exec, exec, s[6:7]
	s_movk_i32 s4, 0xff
	v_and_b32_sdwa v16, v13, s4 dst_sel:DWORD dst_unused:UNUSED_PAD src0_sel:WORD_1 src1_sel:DWORD
	s_movk_i32 s4, 0x7f
	v_cmp_lt_i16_e32 vcc, s4, v16
	s_mov_b64 s[4:5], 0
                                        ; implicit-def: $sgpr10
	s_and_saveexec_b64 s[6:7], vcc
	s_xor_b64 s[6:7], exec, s[6:7]
	s_cbranch_execz .LBB1_1333
; %bb.11325:
	s_getpc_b64 s[14:15]
.Lpost_getpc1566:
	s_add_u32 s14, s14, (.LBB1_5429-.Lpost_getpc1566)&4294967295
	s_addc_u32 s15, s15, (.LBB1_5429-.Lpost_getpc1566)>>32
	s_setpc_b64 s[14:15]
.LBB1_1333:
	s_or_saveexec_b64 s[6:7], s[6:7]
	v_mov_b32_e32 v21, s10
	s_xor_b64 exec, exec, s[6:7]
	s_cbranch_execz .LBB1_1334
; %bb.11327:
	s_getpc_b64 s[14:15]
.Lpost_getpc1567:
	s_add_u32 s14, s14, (.LBB1_5432-.Lpost_getpc1567)&4294967295
	s_addc_u32 s15, s15, (.LBB1_5432-.Lpost_getpc1567)>>32
	s_setpc_b64 s[14:15]
.LBB1_1334:
	s_or_b64 exec, exec, s[6:7]
	s_and_saveexec_b64 s[6:7], s[4:5]
	s_cbranch_execz .LBB1_1336
.LBB1_1335:
	v_bfe_u32 v16, v13, 16, 2
	v_ffbh_u32_e32 v23, v16
	v_min_u32_e32 v23, 32, v23
	v_lshrrev_b32_e32 v21, 18, v13
	v_subrev_u32_e32 v24, 29, v23
	v_and_b32_e32 v21, 31, v21
	v_lshlrev_b32_sdwa v24, v24, v13 dst_sel:DWORD dst_unused:UNUSED_PAD src0_sel:DWORD src1_sel:WORD_1
	v_bfe_u32 v22, v13, 18, 5
	v_sub_u32_e32 v23, 30, v23
	v_and_b32_e32 v24, 3, v24
	v_cmp_eq_u16_e32 vcc, 0, v21
	v_cndmask_b32_e32 v16, v16, v24, vcc
	v_cndmask_b32_e32 v21, v22, v23, vcc
	v_lshlrev_b32_e32 v22, 8, v13
	v_mov_b32_e32 v23, 0x37800000
	v_lshlrev_b32_e32 v16, 21, v16
	v_and_b32_e32 v22, 0x80000000, v22
	v_lshl_add_u32 v21, v21, 23, v23
	v_or3_b32 v21, v22, v21, v16
.LBB1_1336:
	s_or_b64 exec, exec, s[6:7]
	s_nop 0
	v_mfma_f32_16x16x4f32 a[0:3], v12, v21, a[0:3]
	s_movk_i32 s4, 0x7f
	v_cmp_gt_i16_sdwa s[6:7], v17, s4 src0_sel:BYTE_3 src1_sel:DWORD
	s_mov_b64 s[4:5], 0
                                        ; implicit-def: $sgpr10
	s_and_saveexec_b64 s[8:9], s[6:7]
	s_xor_b64 s[6:7], exec, s[8:9]
	s_cbranch_execz .LBB1_1337
; %bb.11329:
	s_getpc_b64 s[14:15]
.Lpost_getpc1568:
	s_add_u32 s14, s14, (.LBB1_5433-.Lpost_getpc1568)&4294967295
	s_addc_u32 s15, s15, (.LBB1_5433-.Lpost_getpc1568)>>32
	s_setpc_b64 s[14:15]
.LBB1_1337:
	s_or_saveexec_b64 s[6:7], s[6:7]
	v_mov_b32_e32 v12, s10
	s_xor_b64 exec, exec, s[6:7]
	s_cbranch_execz .LBB1_1338
; %bb.11331:
	s_getpc_b64 s[14:15]
.Lpost_getpc1569:
	s_add_u32 s14, s14, (.LBB1_5436-.Lpost_getpc1569)&4294967295
	s_addc_u32 s15, s15, (.LBB1_5436-.Lpost_getpc1569)>>32
	s_setpc_b64 s[14:15]
.LBB1_1338:
	s_or_b64 exec, exec, s[6:7]
	s_and_saveexec_b64 s[6:7], s[4:5]
	s_cbranch_execz .LBB1_1340
.LBB1_1339:
	v_bfe_u32 v12, v17, 24, 3
	v_ffbh_u32_e32 v23, v12
	v_min_u32_e32 v23, 32, v23
	v_lshrrev_b32_e32 v21, 27, v17
	v_subrev_u32_e32 v24, 28, v23
	v_and_b32_e32 v16, 0x80000000, v17
	v_and_b32_e32 v21, 15, v21
	v_bfe_u32 v22, v17, 27, 4
	v_lshlrev_b32_sdwa v17, v24, v17 dst_sel:DWORD dst_unused:UNUSED_PAD src0_sel:DWORD src1_sel:BYTE_3
	v_sub_u32_e32 v23, 29, v23
	v_and_b32_e32 v17, 7, v17
	v_cmp_eq_u16_e32 vcc, 0, v21
	v_cndmask_b32_e32 v12, v12, v17, vcc
	v_cndmask_b32_e32 v17, v22, v23, vcc
	v_mov_b32_e32 v21, 0x3b800000
	v_lshlrev_b32_e32 v12, 20, v12
	v_lshl_add_u32 v17, v17, 23, v21
	v_or3_b32 v12, v16, v17, v12
.LBB1_1340:
	s_or_b64 exec, exec, s[6:7]
	s_movk_i32 s4, 0x7f
	v_cmp_gt_i16_sdwa s[6:7], v13, s4 src0_sel:BYTE_3 src1_sel:DWORD
	s_mov_b64 s[4:5], 0
                                        ; implicit-def: $sgpr10
	s_and_saveexec_b64 s[8:9], s[6:7]
	s_xor_b64 s[6:7], exec, s[8:9]
	s_cbranch_execz .LBB1_1341
; %bb.11333:
	s_getpc_b64 s[14:15]
.Lpost_getpc1570:
	s_add_u32 s14, s14, (.LBB1_5437-.Lpost_getpc1570)&4294967295
	s_addc_u32 s15, s15, (.LBB1_5437-.Lpost_getpc1570)>>32
	s_setpc_b64 s[14:15]
.LBB1_1341:
	s_or_saveexec_b64 s[6:7], s[6:7]
	v_mov_b32_e32 v16, s10
	s_xor_b64 exec, exec, s[6:7]
	s_cbranch_execz .LBB1_1342
; %bb.11335:
	s_getpc_b64 s[14:15]
.Lpost_getpc1571:
	s_add_u32 s14, s14, (.LBB1_5440-.Lpost_getpc1571)&4294967295
	s_addc_u32 s15, s15, (.LBB1_5440-.Lpost_getpc1571)>>32
	s_setpc_b64 s[14:15]
.LBB1_1342:
	s_or_b64 exec, exec, s[6:7]
	s_and_saveexec_b64 s[6:7], s[4:5]
	s_cbranch_execz .LBB1_1344
.LBB1_1343:
	v_bfe_u32 v16, v13, 24, 2
	v_ffbh_u32_e32 v23, v16
	v_min_u32_e32 v23, 32, v23
	v_lshrrev_b32_e32 v21, 26, v13
	v_subrev_u32_e32 v24, 29, v23
	v_and_b32_e32 v17, 0x80000000, v13
	v_and_b32_e32 v21, 31, v21
	v_bfe_u32 v22, v13, 26, 5
	v_lshlrev_b32_sdwa v13, v24, v13 dst_sel:DWORD dst_unused:UNUSED_PAD src0_sel:DWORD src1_sel:BYTE_3
	v_sub_u32_e32 v23, 30, v23
	v_and_b32_e32 v13, 3, v13
	v_cmp_eq_u16_e32 vcc, 0, v21
	v_cndmask_b32_e32 v13, v16, v13, vcc
	v_cndmask_b32_e32 v16, v22, v23, vcc
	v_mov_b32_e32 v21, 0x37800000
	v_lshlrev_b32_e32 v13, 21, v13
	v_lshl_add_u32 v16, v16, 23, v21
	v_or3_b32 v16, v17, v16, v13
.LBB1_1344:
	s_or_b64 exec, exec, s[6:7]
	s_nop 0
	v_mfma_f32_16x16x4f32 a[0:3], v12, v16, a[0:3]
	s_movk_i32 s4, 0x7f
	v_cmp_gt_i16_sdwa s[6:7], v18, s4 src0_sel:BYTE_0 src1_sel:DWORD
	s_mov_b64 s[4:5], 0
                                        ; implicit-def: $sgpr10
	s_and_saveexec_b64 s[8:9], s[6:7]
	s_xor_b64 s[6:7], exec, s[8:9]
	s_cbranch_execz .LBB1_1345
; %bb.11337:
	s_getpc_b64 s[14:15]
.Lpost_getpc1572:
	s_add_u32 s14, s14, (.LBB1_5441-.Lpost_getpc1572)&4294967295
	s_addc_u32 s15, s15, (.LBB1_5441-.Lpost_getpc1572)>>32
	s_setpc_b64 s[14:15]
.LBB1_1345:
	s_or_saveexec_b64 s[6:7], s[6:7]
	v_mov_b32_e32 v13, s10
	s_xor_b64 exec, exec, s[6:7]
	s_cbranch_execz .LBB1_1346
; %bb.11339:
	s_getpc_b64 s[14:15]
.Lpost_getpc1573:
	s_add_u32 s14, s14, (.LBB1_5444-.Lpost_getpc1573)&4294967295
	s_addc_u32 s15, s15, (.LBB1_5444-.Lpost_getpc1573)>>32
	s_setpc_b64 s[14:15]
.LBB1_1346:
	s_or_b64 exec, exec, s[6:7]
	s_and_saveexec_b64 s[6:7], s[4:5]
	s_cbranch_execz .LBB1_1348
.LBB1_1347:
	v_and_b32_e32 v12, 7, v18
	v_ffbh_u32_e32 v16, v12
	v_min_u32_e32 v16, 32, v16
	v_lshrrev_b16_e32 v13, 3, v18
	v_subrev_u32_e32 v17, 28, v16
	v_and_b32_e32 v13, 15, v13
	v_lshlrev_b32_e32 v17, v17, v18
	v_sub_u32_e32 v16, 29, v16
	v_and_b32_e32 v17, 7, v17
	v_cmp_eq_u16_e32 vcc, 0, v13
	v_cndmask_b32_e32 v12, v12, v17, vcc
	v_cndmask_b32_e32 v13, v13, v16, vcc
	v_lshlrev_b32_e32 v16, 24, v18
	v_mov_b32_e32 v17, 0x3b800000
	v_lshlrev_b32_e32 v12, 20, v12
	v_and_b32_e32 v16, 0x80000000, v16
	v_lshl_add_u32 v13, v13, 23, v17
	v_or3_b32 v13, v16, v13, v12
.LBB1_1348:
	s_or_b64 exec, exec, s[6:7]
	s_movk_i32 s4, 0xff
	v_mov_b32_e32 v12, 8
	v_or_b32_sdwa v16, v14, v20 dst_sel:DWORD dst_unused:UNUSED_PAD src0_sel:BYTE_0 src1_sel:DWORD
	v_lshlrev_b16_sdwa v12, v12, v14 dst_sel:DWORD dst_unused:UNUSED_PAD src0_sel:DWORD src1_sel:BYTE_3
	v_and_b32_sdwa v14, v14, s4 dst_sel:DWORD dst_unused:UNUSED_PAD src0_sel:WORD_1 src1_sel:DWORD
	s_movk_i32 s4, 0x7f
	v_or_b32_sdwa v12, v14, v12 dst_sel:WORD_1 dst_unused:UNUSED_PAD src0_sel:DWORD src1_sel:DWORD
	v_cmp_gt_i16_sdwa s[6:7], v16, s4 src0_sel:BYTE_0 src1_sel:DWORD
	s_mov_b64 s[4:5], 0
                                        ; implicit-def: $sgpr10
	s_and_saveexec_b64 s[8:9], s[6:7]
	s_xor_b64 s[6:7], exec, s[8:9]
	s_cbranch_execz .LBB1_1349
; %bb.11341:
	s_getpc_b64 s[14:15]
.Lpost_getpc1574:
	s_add_u32 s14, s14, (.LBB1_5445-.Lpost_getpc1574)&4294967295
	s_addc_u32 s15, s15, (.LBB1_5445-.Lpost_getpc1574)>>32
	s_setpc_b64 s[14:15]
.LBB1_1349:
	s_or_saveexec_b64 s[6:7], s[6:7]
	v_mov_b32_e32 v14, s10
	s_xor_b64 exec, exec, s[6:7]
	s_cbranch_execz .LBB1_1350
; %bb.11343:
	s_getpc_b64 s[14:15]
.Lpost_getpc1575:
	s_add_u32 s14, s14, (.LBB1_5448-.Lpost_getpc1575)&4294967295
	s_addc_u32 s15, s15, (.LBB1_5448-.Lpost_getpc1575)>>32
	s_setpc_b64 s[14:15]
.LBB1_1350:
	s_or_b64 exec, exec, s[6:7]
	v_or_b32_sdwa v12, v16, v12 dst_sel:DWORD dst_unused:UNUSED_PAD src0_sel:WORD_0 src1_sel:DWORD
	s_and_saveexec_b64 s[6:7], s[4:5]
	s_cbranch_execz .LBB1_1352
.LBB1_1351:
	v_and_b32_e32 v14, 3, v12
	v_ffbh_u32_e32 v17, v14
	v_min_u32_e32 v17, 32, v17
	v_lshrrev_b16_e32 v16, 2, v16
	v_subrev_u32_e32 v20, 29, v17
	v_and_b32_e32 v16, 31, v16
	v_lshlrev_b32_e32 v20, v20, v12
	v_sub_u32_e32 v17, 30, v17
	v_and_b32_e32 v20, 3, v20
	v_cmp_eq_u16_e32 vcc, 0, v16
	v_cndmask_b32_e32 v14, v14, v20, vcc
	v_cndmask_b32_e32 v16, v16, v17, vcc
	v_lshlrev_b32_e32 v17, 24, v12
	v_mov_b32_e32 v20, 0x37800000
	v_lshlrev_b32_e32 v14, 21, v14
	v_and_b32_e32 v17, 0x80000000, v17
	v_lshl_add_u32 v16, v16, 23, v20
	v_or3_b32 v14, v17, v16, v14
.LBB1_1352:
	s_or_b64 exec, exec, s[6:7]
	s_nop 0
	v_mfma_f32_16x16x4f32 a[0:3], v13, v14, a[0:3]
	v_lshrrev_b32_e32 v14, 8, v18
	s_movk_i32 s4, 0x7f
	v_cmp_gt_i16_sdwa s[6:7], v14, s4 src0_sel:BYTE_0 src1_sel:DWORD
	s_mov_b64 s[4:5], 0
                                        ; implicit-def: $sgpr10
	s_and_saveexec_b64 s[8:9], s[6:7]
	s_xor_b64 s[6:7], exec, s[8:9]
	s_cbranch_execz .LBB1_1353
; %bb.11345:
	s_getpc_b64 s[14:15]
.Lpost_getpc1576:
	s_add_u32 s14, s14, (.LBB1_5449-.Lpost_getpc1576)&4294967295
	s_addc_u32 s15, s15, (.LBB1_5449-.Lpost_getpc1576)>>32
	s_setpc_b64 s[14:15]
.LBB1_1353:
	s_or_saveexec_b64 s[6:7], s[6:7]
	v_mov_b32_e32 v13, s10
	s_xor_b64 exec, exec, s[6:7]
	s_cbranch_execz .LBB1_1354
; %bb.11347:
	s_getpc_b64 s[14:15]
.Lpost_getpc1577:
	s_add_u32 s14, s14, (.LBB1_5452-.Lpost_getpc1577)&4294967295
	s_addc_u32 s15, s15, (.LBB1_5452-.Lpost_getpc1577)>>32
	s_setpc_b64 s[14:15]
.LBB1_1354:
	s_or_b64 exec, exec, s[6:7]
	s_and_saveexec_b64 s[6:7], s[4:5]
	s_cbranch_execz .LBB1_1356
.LBB1_1355:
	v_bfe_u32 v13, v18, 8, 3
	v_ffbh_u32_e32 v17, v13
	v_min_u32_e32 v17, 32, v17
	v_lshrrev_b16_e32 v16, 3, v14
	v_subrev_u32_e32 v20, 28, v17
	v_and_b32_e32 v16, 15, v16
	v_lshlrev_b32_e32 v14, v20, v14
	v_sub_u32_e32 v17, 29, v17
	v_and_b32_e32 v14, 7, v14
	v_cmp_eq_u16_e32 vcc, 0, v16
	v_cndmask_b32_e32 v13, v13, v14, vcc
	v_cndmask_b32_e32 v14, v16, v17, vcc
	v_lshlrev_b32_e32 v16, 16, v18
	v_mov_b32_e32 v17, 0x3b800000
	v_lshlrev_b32_e32 v13, 20, v13
	v_and_b32_e32 v16, 0x80000000, v16
	v_lshl_add_u32 v14, v14, 23, v17
	v_or3_b32 v13, v16, v14, v13
.LBB1_1356:
	s_or_b64 exec, exec, s[6:7]
	v_lshrrev_b32_e32 v14, 8, v12
	s_movk_i32 s4, 0x7f
	v_cmp_gt_i16_sdwa s[6:7], v14, s4 src0_sel:BYTE_0 src1_sel:DWORD
	s_mov_b64 s[4:5], 0
                                        ; implicit-def: $sgpr10
	s_and_saveexec_b64 s[8:9], s[6:7]
	s_xor_b64 s[6:7], exec, s[8:9]
	s_cbranch_execz .LBB1_1357
; %bb.11349:
	s_getpc_b64 s[14:15]
.Lpost_getpc1578:
	s_add_u32 s14, s14, (.LBB1_5453-.Lpost_getpc1578)&4294967295
	s_addc_u32 s15, s15, (.LBB1_5453-.Lpost_getpc1578)>>32
	s_setpc_b64 s[14:15]
.LBB1_1357:
	s_or_saveexec_b64 s[6:7], s[6:7]
	v_mov_b32_e32 v16, s10
	s_xor_b64 exec, exec, s[6:7]
	s_cbranch_execz .LBB1_1358
; %bb.11351:
	s_getpc_b64 s[14:15]
.Lpost_getpc1579:
	s_add_u32 s14, s14, (.LBB1_5456-.Lpost_getpc1579)&4294967295
	s_addc_u32 s15, s15, (.LBB1_5456-.Lpost_getpc1579)>>32
	s_setpc_b64 s[14:15]
.LBB1_1358:
	s_or_b64 exec, exec, s[6:7]
	s_and_saveexec_b64 s[6:7], s[4:5]
	s_cbranch_execz .LBB1_1360
.LBB1_1359:
	v_bfe_u32 v16, v12, 8, 2
	v_ffbh_u32_e32 v20, v16
	v_min_u32_e32 v20, 32, v20
	v_lshrrev_b16_e32 v17, 2, v14
	v_subrev_u32_e32 v21, 29, v20
	v_and_b32_e32 v17, 31, v17
	v_lshlrev_b32_e32 v14, v21, v14
	v_sub_u32_e32 v20, 30, v20
	v_and_b32_e32 v14, 3, v14
	v_cmp_eq_u16_e32 vcc, 0, v17
	v_cndmask_b32_e32 v14, v16, v14, vcc
	v_cndmask_b32_e32 v16, v17, v20, vcc
	v_lshlrev_b32_e32 v17, 16, v12
	v_mov_b32_e32 v20, 0x37800000
	v_lshlrev_b32_e32 v14, 21, v14
	v_and_b32_e32 v17, 0x80000000, v17
	v_lshl_add_u32 v16, v16, 23, v20
	v_or3_b32 v16, v17, v16, v14
.LBB1_1360:
	s_or_b64 exec, exec, s[6:7]
	s_nop 0
	v_mfma_f32_16x16x4f32 a[0:3], v13, v16, a[0:3]
	s_movk_i32 s4, 0xff
	v_and_b32_sdwa v14, v18, s4 dst_sel:DWORD dst_unused:UNUSED_PAD src0_sel:WORD_1 src1_sel:DWORD
	s_movk_i32 s4, 0x7f
	v_cmp_lt_i16_e32 vcc, s4, v14
	s_mov_b64 s[4:5], 0
                                        ; implicit-def: $sgpr10
	s_and_saveexec_b64 s[6:7], vcc
	s_xor_b64 s[6:7], exec, s[6:7]
	s_cbranch_execz .LBB1_1361
; %bb.11353:
	s_getpc_b64 s[14:15]
.Lpost_getpc1580:
	s_add_u32 s14, s14, (.LBB1_5457-.Lpost_getpc1580)&4294967295
	s_addc_u32 s15, s15, (.LBB1_5457-.Lpost_getpc1580)>>32
	s_setpc_b64 s[14:15]
.LBB1_1361:
	s_or_saveexec_b64 s[6:7], s[6:7]
	v_mov_b32_e32 v13, s10
	s_xor_b64 exec, exec, s[6:7]
	s_cbranch_execz .LBB1_1362
; %bb.11355:
	s_getpc_b64 s[14:15]
.Lpost_getpc1581:
	s_add_u32 s14, s14, (.LBB1_5460-.Lpost_getpc1581)&4294967295
	s_addc_u32 s15, s15, (.LBB1_5460-.Lpost_getpc1581)>>32
	s_setpc_b64 s[14:15]
.LBB1_1362:
	s_or_b64 exec, exec, s[6:7]
	s_and_saveexec_b64 s[6:7], s[4:5]
	s_cbranch_execz .LBB1_1364
.LBB1_1363:
	v_bfe_u32 v13, v18, 16, 3
	v_ffbh_u32_e32 v17, v13
	v_min_u32_e32 v17, 32, v17
	v_lshrrev_b32_e32 v14, 19, v18
	v_subrev_u32_e32 v20, 28, v17
	v_and_b32_e32 v14, 15, v14
	v_lshlrev_b32_sdwa v20, v20, v18 dst_sel:DWORD dst_unused:UNUSED_PAD src0_sel:DWORD src1_sel:WORD_1
	v_bfe_u32 v16, v18, 19, 4
	v_sub_u32_e32 v17, 29, v17
	v_and_b32_e32 v20, 7, v20
	v_cmp_eq_u16_e32 vcc, 0, v14
	v_cndmask_b32_e32 v13, v13, v20, vcc
	v_cndmask_b32_e32 v14, v16, v17, vcc
	v_lshlrev_b32_e32 v16, 8, v18
	v_mov_b32_e32 v17, 0x3b800000
	v_lshlrev_b32_e32 v13, 20, v13
	v_and_b32_e32 v16, 0x80000000, v16
	v_lshl_add_u32 v14, v14, 23, v17
	v_or3_b32 v13, v16, v14, v13
.LBB1_1364:
	s_or_b64 exec, exec, s[6:7]
	s_movk_i32 s4, 0xff
	v_and_b32_sdwa v14, v12, s4 dst_sel:DWORD dst_unused:UNUSED_PAD src0_sel:WORD_1 src1_sel:DWORD
	s_movk_i32 s4, 0x7f
	v_cmp_lt_i16_e32 vcc, s4, v14
	s_mov_b64 s[4:5], 0
                                        ; implicit-def: $sgpr10
	s_and_saveexec_b64 s[6:7], vcc
	s_xor_b64 s[6:7], exec, s[6:7]
	s_cbranch_execz .LBB1_1365
; %bb.11357:
	s_getpc_b64 s[14:15]
.Lpost_getpc1582:
	s_add_u32 s14, s14, (.LBB1_5461-.Lpost_getpc1582)&4294967295
	s_addc_u32 s15, s15, (.LBB1_5461-.Lpost_getpc1582)>>32
	s_setpc_b64 s[14:15]
.LBB1_1365:
	s_or_saveexec_b64 s[6:7], s[6:7]
	v_mov_b32_e32 v16, s10
	s_xor_b64 exec, exec, s[6:7]
	s_cbranch_execz .LBB1_1366
; %bb.11359:
	s_getpc_b64 s[14:15]
.Lpost_getpc1583:
	s_add_u32 s14, s14, (.LBB1_5464-.Lpost_getpc1583)&4294967295
	s_addc_u32 s15, s15, (.LBB1_5464-.Lpost_getpc1583)>>32
	s_setpc_b64 s[14:15]
.LBB1_1366:
	s_or_b64 exec, exec, s[6:7]
	s_and_saveexec_b64 s[6:7], s[4:5]
	s_cbranch_execz .LBB1_1368
.LBB1_1367:
	v_bfe_u32 v14, v12, 16, 2
	v_ffbh_u32_e32 v20, v14
	v_min_u32_e32 v20, 32, v20
	v_lshrrev_b32_e32 v16, 18, v12
	v_subrev_u32_e32 v21, 29, v20
	v_and_b32_e32 v16, 31, v16
	v_lshlrev_b32_sdwa v21, v21, v12 dst_sel:DWORD dst_unused:UNUSED_PAD src0_sel:DWORD src1_sel:WORD_1
	v_bfe_u32 v17, v12, 18, 5
	v_sub_u32_e32 v20, 30, v20
	v_and_b32_e32 v21, 3, v21
	v_cmp_eq_u16_e32 vcc, 0, v16
	v_cndmask_b32_e32 v14, v14, v21, vcc
	v_cndmask_b32_e32 v16, v17, v20, vcc
	v_lshlrev_b32_e32 v17, 8, v12
	v_mov_b32_e32 v20, 0x37800000
	v_lshlrev_b32_e32 v14, 21, v14
	v_and_b32_e32 v17, 0x80000000, v17
	v_lshl_add_u32 v16, v16, 23, v20
	v_or3_b32 v16, v17, v16, v14
.LBB1_1368:
	s_or_b64 exec, exec, s[6:7]
	s_nop 0
	v_mfma_f32_16x16x4f32 a[0:3], v13, v16, a[0:3]
	s_movk_i32 s4, 0x7f
	v_cmp_gt_i16_sdwa s[6:7], v18, s4 src0_sel:BYTE_3 src1_sel:DWORD
	s_mov_b64 s[4:5], 0
                                        ; implicit-def: $sgpr10
	s_and_saveexec_b64 s[8:9], s[6:7]
	s_xor_b64 s[6:7], exec, s[8:9]
	s_cbranch_execz .LBB1_1369
; %bb.11361:
	s_getpc_b64 s[14:15]
.Lpost_getpc1584:
	s_add_u32 s14, s14, (.LBB1_5465-.Lpost_getpc1584)&4294967295
	s_addc_u32 s15, s15, (.LBB1_5465-.Lpost_getpc1584)>>32
	s_setpc_b64 s[14:15]
.LBB1_1369:
	s_or_saveexec_b64 s[6:7], s[6:7]
	v_mov_b32_e32 v13, s10
	s_xor_b64 exec, exec, s[6:7]
	s_cbranch_execz .LBB1_1370
; %bb.11363:
	s_getpc_b64 s[14:15]
.Lpost_getpc1585:
	s_add_u32 s14, s14, (.LBB1_5468-.Lpost_getpc1585)&4294967295
	s_addc_u32 s15, s15, (.LBB1_5468-.Lpost_getpc1585)>>32
	s_setpc_b64 s[14:15]
.LBB1_1370:
	s_or_b64 exec, exec, s[6:7]
	s_and_saveexec_b64 s[6:7], s[4:5]
	s_cbranch_execz .LBB1_1372
.LBB1_1371:
	v_bfe_u32 v13, v18, 24, 3
	v_ffbh_u32_e32 v20, v13
	v_min_u32_e32 v20, 32, v20
	v_lshrrev_b32_e32 v16, 27, v18
	v_subrev_u32_e32 v21, 28, v20
	v_and_b32_e32 v14, 0x80000000, v18
	v_and_b32_e32 v16, 15, v16
	v_bfe_u32 v17, v18, 27, 4
	v_lshlrev_b32_sdwa v18, v21, v18 dst_sel:DWORD dst_unused:UNUSED_PAD src0_sel:DWORD src1_sel:BYTE_3
	v_sub_u32_e32 v20, 29, v20
	v_and_b32_e32 v18, 7, v18
	v_cmp_eq_u16_e32 vcc, 0, v16
	v_cndmask_b32_e32 v13, v13, v18, vcc
	v_cndmask_b32_e32 v16, v17, v20, vcc
	v_mov_b32_e32 v17, 0x3b800000
	v_lshlrev_b32_e32 v13, 20, v13
	v_lshl_add_u32 v16, v16, 23, v17
	v_or3_b32 v13, v14, v16, v13
.LBB1_1372:
	s_or_b64 exec, exec, s[6:7]
	s_movk_i32 s4, 0x7f
	v_cmp_gt_i16_sdwa s[6:7], v12, s4 src0_sel:BYTE_3 src1_sel:DWORD
	s_mov_b64 s[4:5], 0
                                        ; implicit-def: $sgpr10
	s_and_saveexec_b64 s[8:9], s[6:7]
	s_xor_b64 s[6:7], exec, s[8:9]
	s_cbranch_execz .LBB1_1373
; %bb.11365:
	s_getpc_b64 s[14:15]
.Lpost_getpc1586:
	s_add_u32 s14, s14, (.LBB1_5469-.Lpost_getpc1586)&4294967295
	s_addc_u32 s15, s15, (.LBB1_5469-.Lpost_getpc1586)>>32
	s_setpc_b64 s[14:15]
.LBB1_1373:
	s_or_saveexec_b64 s[6:7], s[6:7]
	v_mov_b32_e32 v14, s10
	s_xor_b64 exec, exec, s[6:7]
	s_cbranch_execz .LBB1_1374
; %bb.11367:
	s_getpc_b64 s[14:15]
.Lpost_getpc1587:
	s_add_u32 s14, s14, (.LBB1_5472-.Lpost_getpc1587)&4294967295
	s_addc_u32 s15, s15, (.LBB1_5472-.Lpost_getpc1587)>>32
	s_setpc_b64 s[14:15]
.LBB1_1374:
	s_or_b64 exec, exec, s[6:7]
	s_and_saveexec_b64 s[6:7], s[4:5]
	s_cbranch_execz .LBB1_1376
.LBB1_1375:
	v_bfe_u32 v14, v12, 24, 2
	v_ffbh_u32_e32 v20, v14
	v_min_u32_e32 v20, 32, v20
	v_lshrrev_b32_e32 v17, 26, v12
	v_subrev_u32_e32 v21, 29, v20
	v_and_b32_e32 v16, 0x80000000, v12
	v_and_b32_e32 v17, 31, v17
	v_bfe_u32 v18, v12, 26, 5
	v_lshlrev_b32_sdwa v12, v21, v12 dst_sel:DWORD dst_unused:UNUSED_PAD src0_sel:DWORD src1_sel:BYTE_3
	v_sub_u32_e32 v20, 30, v20
	v_and_b32_e32 v12, 3, v12
	v_cmp_eq_u16_e32 vcc, 0, v17
	v_cndmask_b32_e32 v12, v14, v12, vcc
	v_cndmask_b32_e32 v14, v18, v20, vcc
	v_mov_b32_e32 v17, 0x37800000
	v_lshlrev_b32_e32 v12, 21, v12
	v_lshl_add_u32 v14, v14, 23, v17
	v_or3_b32 v14, v16, v14, v12
.LBB1_1376:
	s_or_b64 exec, exec, s[6:7]
	s_nop 0
	v_mfma_f32_16x16x4f32 a[0:3], v13, v14, a[0:3]
	s_movk_i32 s4, 0x7f
	v_cmp_gt_i16_sdwa s[6:7], v19, s4 src0_sel:BYTE_0 src1_sel:DWORD
	s_mov_b64 s[4:5], 0
                                        ; implicit-def: $sgpr10
	s_and_saveexec_b64 s[8:9], s[6:7]
	s_xor_b64 s[6:7], exec, s[8:9]
	s_cbranch_execz .LBB1_1377
; %bb.11369:
	s_getpc_b64 s[14:15]
.Lpost_getpc1588:
	s_add_u32 s14, s14, (.LBB1_5473-.Lpost_getpc1588)&4294967295
	s_addc_u32 s15, s15, (.LBB1_5473-.Lpost_getpc1588)>>32
	s_setpc_b64 s[14:15]
.LBB1_1377:
	s_or_saveexec_b64 s[6:7], s[6:7]
	v_mov_b32_e32 v12, s10
	s_xor_b64 exec, exec, s[6:7]
	s_cbranch_execz .LBB1_1378
; %bb.11371:
	s_getpc_b64 s[14:15]
.Lpost_getpc1589:
	s_add_u32 s14, s14, (.LBB1_5476-.Lpost_getpc1589)&4294967295
	s_addc_u32 s15, s15, (.LBB1_5476-.Lpost_getpc1589)>>32
	s_setpc_b64 s[14:15]
.LBB1_1378:
	s_or_b64 exec, exec, s[6:7]
	s_and_saveexec_b64 s[6:7], s[4:5]
	s_cbranch_execz .LBB1_1380
.LBB1_1379:
	v_mov_b32_e32 v12, 8
	v_and_b32_e32 v13, 7, v19
	v_lshrrev_b32_sdwa v12, v12, v19 dst_sel:BYTE_1 dst_unused:UNUSED_PAD src0_sel:DWORD src1_sel:DWORD
	v_ffbh_u32_e32 v14, v13
	v_or_b32_sdwa v12, v19, v12 dst_sel:DWORD dst_unused:UNUSED_PAD src0_sel:BYTE_0 src1_sel:DWORD
	v_min_u32_e32 v14, 32, v14
	v_lshrrev_b16_e32 v12, 3, v12
	v_subrev_u32_e32 v16, 28, v14
	v_and_b32_e32 v12, 15, v12
	v_lshlrev_b32_e32 v16, v16, v19
	v_sub_u32_e32 v14, 29, v14
	v_and_b32_e32 v16, 7, v16
	v_cmp_eq_u16_e32 vcc, 0, v12
	v_cndmask_b32_e32 v13, v13, v16, vcc
	v_cndmask_b32_e32 v12, v12, v14, vcc
	v_lshlrev_b32_e32 v14, 24, v19
	v_mov_b32_e32 v16, 0x3b800000
	v_lshlrev_b32_e32 v13, 20, v13
	v_and_b32_e32 v14, 0x80000000, v14
	v_lshl_add_u32 v12, v12, 23, v16
	v_or3_b32 v12, v14, v12, v13
.LBB1_1380:
	s_or_b64 exec, exec, s[6:7]
	s_movk_i32 s4, 0x7f
	v_cmp_gt_i16_sdwa s[6:7], v15, s4 src0_sel:BYTE_0 src1_sel:DWORD
	s_mov_b64 s[4:5], 0
                                        ; implicit-def: $sgpr10
	s_and_saveexec_b64 s[8:9], s[6:7]
	s_xor_b64 s[6:7], exec, s[8:9]
	s_cbranch_execz .LBB1_1381
; %bb.11373:
	s_getpc_b64 s[14:15]
.Lpost_getpc1590:
	s_add_u32 s14, s14, (.LBB1_5477-.Lpost_getpc1590)&4294967295
	s_addc_u32 s15, s15, (.LBB1_5477-.Lpost_getpc1590)>>32
	s_setpc_b64 s[14:15]
.LBB1_1381:
	s_or_saveexec_b64 s[6:7], s[6:7]
	v_mov_b32_e32 v13, s10
	s_xor_b64 exec, exec, s[6:7]
	s_cbranch_execz .LBB1_1382
; %bb.11375:
	s_getpc_b64 s[14:15]
.Lpost_getpc1591:
	s_add_u32 s14, s14, (.LBB1_5480-.Lpost_getpc1591)&4294967295
	s_addc_u32 s15, s15, (.LBB1_5480-.Lpost_getpc1591)>>32
	s_setpc_b64 s[14:15]
.LBB1_1382:
	s_or_b64 exec, exec, s[6:7]
	s_and_saveexec_b64 s[6:7], s[4:5]
	s_cbranch_execz .LBB1_1384
.LBB1_1383:
	v_and_b32_e32 v13, 3, v15
	v_ffbh_u32_e32 v16, v13
	v_min_u32_e32 v16, 32, v16
	v_lshrrev_b16_e32 v14, 2, v15
	v_subrev_u32_e32 v17, 29, v16
	v_and_b32_e32 v14, 31, v14
	v_lshlrev_b32_e32 v17, v17, v15
	v_sub_u32_e32 v16, 30, v16
	v_and_b32_e32 v17, 3, v17
	v_cmp_eq_u16_e32 vcc, 0, v14
	v_cndmask_b32_e32 v13, v13, v17, vcc
	v_cndmask_b32_e32 v14, v14, v16, vcc
	v_lshlrev_b32_e32 v16, 24, v15
	v_mov_b32_e32 v17, 0x37800000
	v_lshlrev_b32_e32 v13, 21, v13
	v_and_b32_e32 v16, 0x80000000, v16
	v_lshl_add_u32 v14, v14, 23, v17
	v_or3_b32 v13, v16, v14, v13
.LBB1_1384:
	s_or_b64 exec, exec, s[6:7]
	s_nop 0
	v_mfma_f32_16x16x4f32 a[0:3], v12, v13, a[0:3]
	v_lshrrev_b32_e32 v13, 8, v19
	s_movk_i32 s4, 0x7f
	v_cmp_gt_i16_sdwa s[6:7], v13, s4 src0_sel:BYTE_0 src1_sel:DWORD
	s_mov_b64 s[4:5], 0
                                        ; implicit-def: $sgpr10
	s_and_saveexec_b64 s[8:9], s[6:7]
	s_xor_b64 s[6:7], exec, s[8:9]
	s_cbranch_execz .LBB1_1385
; %bb.11377:
	s_getpc_b64 s[14:15]
.Lpost_getpc1592:
	s_add_u32 s14, s14, (.LBB1_5481-.Lpost_getpc1592)&4294967295
	s_addc_u32 s15, s15, (.LBB1_5481-.Lpost_getpc1592)>>32
	s_setpc_b64 s[14:15]
.LBB1_1385:
	s_or_saveexec_b64 s[6:7], s[6:7]
	v_mov_b32_e32 v12, s10
	s_xor_b64 exec, exec, s[6:7]
	s_cbranch_execz .LBB1_1386
; %bb.11379:
	s_getpc_b64 s[14:15]
.Lpost_getpc1593:
	s_add_u32 s14, s14, (.LBB1_5484-.Lpost_getpc1593)&4294967295
	s_addc_u32 s15, s15, (.LBB1_5484-.Lpost_getpc1593)>>32
	s_setpc_b64 s[14:15]
.LBB1_1386:
	s_or_b64 exec, exec, s[6:7]
	s_and_saveexec_b64 s[6:7], s[4:5]
	s_cbranch_execz .LBB1_1388
.LBB1_1387:
	v_bfe_u32 v12, v19, 8, 3
	v_ffbh_u32_e32 v16, v12
	v_min_u32_e32 v16, 32, v16
	v_lshrrev_b16_e32 v14, 3, v13
	v_subrev_u32_e32 v17, 28, v16
	v_and_b32_e32 v14, 15, v14
	v_lshlrev_b32_e32 v13, v17, v13
	v_sub_u32_e32 v16, 29, v16
	v_and_b32_e32 v13, 7, v13
	v_cmp_eq_u16_e32 vcc, 0, v14
	v_cndmask_b32_e32 v12, v12, v13, vcc
	v_cndmask_b32_e32 v13, v14, v16, vcc
	v_lshlrev_b32_e32 v14, 16, v19
	v_mov_b32_e32 v16, 0x3b800000
	v_lshlrev_b32_e32 v12, 20, v12
	v_and_b32_e32 v14, 0x80000000, v14
	v_lshl_add_u32 v13, v13, 23, v16
	v_or3_b32 v12, v14, v13, v12
.LBB1_1388:
	s_or_b64 exec, exec, s[6:7]
	v_lshrrev_b32_e32 v13, 8, v15
	s_movk_i32 s4, 0x7f
	v_cmp_gt_i16_sdwa s[6:7], v13, s4 src0_sel:BYTE_0 src1_sel:DWORD
	s_mov_b64 s[4:5], 0
                                        ; implicit-def: $sgpr10
	s_and_saveexec_b64 s[8:9], s[6:7]
	s_xor_b64 s[6:7], exec, s[8:9]
	s_cbranch_execz .LBB1_1389
; %bb.11381:
	s_getpc_b64 s[14:15]
.Lpost_getpc1594:
	s_add_u32 s14, s14, (.LBB1_5485-.Lpost_getpc1594)&4294967295
	s_addc_u32 s15, s15, (.LBB1_5485-.Lpost_getpc1594)>>32
	s_setpc_b64 s[14:15]
.LBB1_1389:
	s_or_saveexec_b64 s[6:7], s[6:7]
	v_mov_b32_e32 v14, s10
	s_xor_b64 exec, exec, s[6:7]
	s_cbranch_execz .LBB1_1390
; %bb.11383:
	s_getpc_b64 s[14:15]
.Lpost_getpc1595:
	s_add_u32 s14, s14, (.LBB1_5488-.Lpost_getpc1595)&4294967295
	s_addc_u32 s15, s15, (.LBB1_5488-.Lpost_getpc1595)>>32
	s_setpc_b64 s[14:15]
.LBB1_1390:
	s_or_b64 exec, exec, s[6:7]
	s_and_saveexec_b64 s[6:7], s[4:5]
	s_cbranch_execz .LBB1_1392
.LBB1_1391:
	v_bfe_u32 v14, v15, 8, 2
	v_ffbh_u32_e32 v17, v14
	v_min_u32_e32 v17, 32, v17
	v_lshrrev_b16_e32 v16, 2, v13
	v_subrev_u32_e32 v18, 29, v17
	v_and_b32_e32 v16, 31, v16
	v_lshlrev_b32_e32 v13, v18, v13
	v_sub_u32_e32 v17, 30, v17
	v_and_b32_e32 v13, 3, v13
	v_cmp_eq_u16_e32 vcc, 0, v16
	v_cndmask_b32_e32 v13, v14, v13, vcc
	v_cndmask_b32_e32 v14, v16, v17, vcc
	v_lshlrev_b32_e32 v16, 16, v15
	v_mov_b32_e32 v17, 0x37800000
	v_lshlrev_b32_e32 v13, 21, v13
	v_and_b32_e32 v16, 0x80000000, v16
	v_lshl_add_u32 v14, v14, 23, v17
	v_or3_b32 v14, v16, v14, v13
.LBB1_1392:
	s_or_b64 exec, exec, s[6:7]
	s_nop 0
	v_mfma_f32_16x16x4f32 a[0:3], v12, v14, a[0:3]
	s_movk_i32 s4, 0xff
	v_and_b32_sdwa v13, v19, s4 dst_sel:DWORD dst_unused:UNUSED_PAD src0_sel:WORD_1 src1_sel:DWORD
	s_movk_i32 s4, 0x7f
	v_cmp_lt_i16_e32 vcc, s4, v13
	s_mov_b64 s[4:5], 0
                                        ; implicit-def: $sgpr10
	s_and_saveexec_b64 s[6:7], vcc
	s_xor_b64 s[6:7], exec, s[6:7]
	s_cbranch_execz .LBB1_1393
; %bb.11385:
	s_getpc_b64 s[14:15]
.Lpost_getpc1596:
	s_add_u32 s14, s14, (.LBB1_5489-.Lpost_getpc1596)&4294967295
	s_addc_u32 s15, s15, (.LBB1_5489-.Lpost_getpc1596)>>32
	s_setpc_b64 s[14:15]
.LBB1_1393:
	s_or_saveexec_b64 s[6:7], s[6:7]
	v_mov_b32_e32 v12, s10
	s_xor_b64 exec, exec, s[6:7]
	s_cbranch_execz .LBB1_1394
; %bb.11387:
	s_getpc_b64 s[14:15]
.Lpost_getpc1597:
	s_add_u32 s14, s14, (.LBB1_5492-.Lpost_getpc1597)&4294967295
	s_addc_u32 s15, s15, (.LBB1_5492-.Lpost_getpc1597)>>32
	s_setpc_b64 s[14:15]
.LBB1_1394:
	s_or_b64 exec, exec, s[6:7]
	s_and_saveexec_b64 s[6:7], s[4:5]
	s_cbranch_execz .LBB1_1396
.LBB1_1395:
	v_bfe_u32 v12, v19, 16, 3
	v_ffbh_u32_e32 v16, v12
	v_min_u32_e32 v16, 32, v16
	v_lshrrev_b32_e32 v13, 19, v19
	v_subrev_u32_e32 v17, 28, v16
	v_and_b32_e32 v13, 15, v13
	v_lshlrev_b32_sdwa v17, v17, v19 dst_sel:DWORD dst_unused:UNUSED_PAD src0_sel:DWORD src1_sel:WORD_1
	v_bfe_u32 v14, v19, 19, 4
	v_sub_u32_e32 v16, 29, v16
	v_and_b32_e32 v17, 7, v17
	v_cmp_eq_u16_e32 vcc, 0, v13
	v_cndmask_b32_e32 v12, v12, v17, vcc
	v_cndmask_b32_e32 v13, v14, v16, vcc
	v_lshlrev_b32_e32 v14, 8, v19
	v_mov_b32_e32 v16, 0x3b800000
	v_lshlrev_b32_e32 v12, 20, v12
	v_and_b32_e32 v14, 0x80000000, v14
	v_lshl_add_u32 v13, v13, 23, v16
	v_or3_b32 v12, v14, v13, v12
.LBB1_1396:
	s_or_b64 exec, exec, s[6:7]
	s_movk_i32 s4, 0xff
	v_and_b32_sdwa v13, v15, s4 dst_sel:DWORD dst_unused:UNUSED_PAD src0_sel:WORD_1 src1_sel:DWORD
	s_movk_i32 s4, 0x7f
	v_cmp_lt_i16_e32 vcc, s4, v13
	s_mov_b64 s[4:5], 0
                                        ; implicit-def: $sgpr10
	s_and_saveexec_b64 s[6:7], vcc
	s_xor_b64 s[6:7], exec, s[6:7]
	s_cbranch_execz .LBB1_1397
; %bb.11389:
	s_getpc_b64 s[14:15]
.Lpost_getpc1598:
	s_add_u32 s14, s14, (.LBB1_5493-.Lpost_getpc1598)&4294967295
	s_addc_u32 s15, s15, (.LBB1_5493-.Lpost_getpc1598)>>32
	s_setpc_b64 s[14:15]
.LBB1_1397:
	s_or_saveexec_b64 s[6:7], s[6:7]
	v_mov_b32_e32 v14, s10
	s_xor_b64 exec, exec, s[6:7]
	s_cbranch_execz .LBB1_1398
; %bb.11391:
	s_getpc_b64 s[14:15]
.Lpost_getpc1599:
	s_add_u32 s14, s14, (.LBB1_5496-.Lpost_getpc1599)&4294967295
	s_addc_u32 s15, s15, (.LBB1_5496-.Lpost_getpc1599)>>32
	s_setpc_b64 s[14:15]
.LBB1_1398:
	s_or_b64 exec, exec, s[6:7]
	s_and_saveexec_b64 s[6:7], s[4:5]
	s_cbranch_execz .LBB1_1400
.LBB1_1399:
	v_bfe_u32 v13, v15, 16, 2
	v_ffbh_u32_e32 v17, v13
	v_min_u32_e32 v17, 32, v17
	v_lshrrev_b32_e32 v14, 18, v15
	v_subrev_u32_e32 v18, 29, v17
	v_and_b32_e32 v14, 31, v14
	v_lshlrev_b32_sdwa v18, v18, v15 dst_sel:DWORD dst_unused:UNUSED_PAD src0_sel:DWORD src1_sel:WORD_1
	v_bfe_u32 v16, v15, 18, 5
	v_sub_u32_e32 v17, 30, v17
	v_and_b32_e32 v18, 3, v18
	v_cmp_eq_u16_e32 vcc, 0, v14
	v_cndmask_b32_e32 v13, v13, v18, vcc
	v_cndmask_b32_e32 v14, v16, v17, vcc
	v_lshlrev_b32_e32 v16, 8, v15
	v_mov_b32_e32 v17, 0x37800000
	v_lshlrev_b32_e32 v13, 21, v13
	v_and_b32_e32 v16, 0x80000000, v16
	v_lshl_add_u32 v14, v14, 23, v17
	v_or3_b32 v14, v16, v14, v13
.LBB1_1400:
	s_or_b64 exec, exec, s[6:7]
	s_nop 0
	v_mfma_f32_16x16x4f32 a[0:3], v12, v14, a[0:3]
	s_movk_i32 s4, 0x7f
	v_cmp_gt_i16_sdwa s[6:7], v19, s4 src0_sel:BYTE_3 src1_sel:DWORD
	s_mov_b64 s[4:5], 0
                                        ; implicit-def: $sgpr10
	s_and_saveexec_b64 s[8:9], s[6:7]
	s_xor_b64 s[6:7], exec, s[8:9]
	s_cbranch_execz .LBB1_1401
; %bb.11393:
	s_getpc_b64 s[14:15]
.Lpost_getpc1600:
	s_add_u32 s14, s14, (.LBB1_5497-.Lpost_getpc1600)&4294967295
	s_addc_u32 s15, s15, (.LBB1_5497-.Lpost_getpc1600)>>32
	s_setpc_b64 s[14:15]
.LBB1_1401:
	s_or_saveexec_b64 s[6:7], s[6:7]
	v_mov_b32_e32 v12, s10
	s_xor_b64 exec, exec, s[6:7]
	s_cbranch_execz .LBB1_1402
; %bb.11395:
	s_getpc_b64 s[14:15]
.Lpost_getpc1601:
	s_add_u32 s14, s14, (.LBB1_5500-.Lpost_getpc1601)&4294967295
	s_addc_u32 s15, s15, (.LBB1_5500-.Lpost_getpc1601)>>32
	s_setpc_b64 s[14:15]
.LBB1_1402:
	s_or_b64 exec, exec, s[6:7]
	s_and_saveexec_b64 s[6:7], s[4:5]
	s_cbranch_execz .LBB1_1404
.LBB1_1403:
	v_bfe_u32 v12, v19, 24, 3
	v_ffbh_u32_e32 v17, v12
	v_min_u32_e32 v17, 32, v17
	v_lshrrev_b32_e32 v14, 27, v19
	v_subrev_u32_e32 v18, 28, v17
	v_and_b32_e32 v14, 15, v14
	v_lshlrev_b32_sdwa v18, v18, v19 dst_sel:DWORD dst_unused:UNUSED_PAD src0_sel:DWORD src1_sel:BYTE_3
	v_bfe_u32 v16, v19, 27, 4
	v_sub_u32_e32 v17, 29, v17
	v_and_b32_e32 v18, 7, v18
	v_cmp_eq_u16_e32 vcc, 0, v14
	v_cndmask_b32_e32 v12, v12, v18, vcc
	v_cndmask_b32_e32 v14, v16, v17, vcc
	v_mov_b32_e32 v16, 0x3b800000
	v_and_b32_e32 v13, 0x80000000, v19
	v_lshlrev_b32_e32 v12, 20, v12
	v_lshl_add_u32 v14, v14, 23, v16
	v_or3_b32 v12, v13, v14, v12
.LBB1_1404:
	s_or_b64 exec, exec, s[6:7]
	s_movk_i32 s4, 0x7f
	v_cmp_gt_i16_sdwa s[6:7], v15, s4 src0_sel:BYTE_3 src1_sel:DWORD
	s_mov_b64 s[4:5], 0
                                        ; implicit-def: $sgpr10
	s_and_saveexec_b64 s[8:9], s[6:7]
	s_xor_b64 s[6:7], exec, s[8:9]
	s_cbranch_execz .LBB1_1405
; %bb.11397:
	s_getpc_b64 s[14:15]
.Lpost_getpc1602:
	s_add_u32 s14, s14, (.LBB1_5501-.Lpost_getpc1602)&4294967295
	s_addc_u32 s15, s15, (.LBB1_5501-.Lpost_getpc1602)>>32
	s_setpc_b64 s[14:15]
.LBB1_1405:
	s_or_saveexec_b64 s[6:7], s[6:7]
	v_mov_b32_e32 v13, s10
	s_xor_b64 exec, exec, s[6:7]
	s_cbranch_execz .LBB1_1406
; %bb.11399:
	s_getpc_b64 s[14:15]
.Lpost_getpc1603:
	s_add_u32 s14, s14, (.LBB1_5504-.Lpost_getpc1603)&4294967295
	s_addc_u32 s15, s15, (.LBB1_5504-.Lpost_getpc1603)>>32
	s_setpc_b64 s[14:15]
.LBB1_1406:
	s_or_b64 exec, exec, s[6:7]
	s_and_saveexec_b64 s[6:7], s[4:5]
	s_cbranch_execz .LBB1_1408
.LBB1_1407:
	v_bfe_u32 v13, v15, 24, 2
	v_ffbh_u32_e32 v18, v13
	v_min_u32_e32 v18, 32, v18
	v_lshrrev_b32_e32 v16, 26, v15
	v_subrev_u32_e32 v19, 29, v18
	v_and_b32_e32 v14, 0x80000000, v15
	v_and_b32_e32 v16, 31, v16
	v_bfe_u32 v17, v15, 26, 5
	v_lshlrev_b32_sdwa v15, v19, v15 dst_sel:DWORD dst_unused:UNUSED_PAD src0_sel:DWORD src1_sel:BYTE_3
	v_sub_u32_e32 v18, 30, v18
	v_and_b32_e32 v15, 3, v15
	v_cmp_eq_u16_e32 vcc, 0, v16
	v_cndmask_b32_e32 v13, v13, v15, vcc
	v_cndmask_b32_e32 v15, v17, v18, vcc
	v_mov_b32_e32 v16, 0x37800000
	v_lshlrev_b32_e32 v13, 21, v13
	v_lshl_add_u32 v15, v15, 23, v16
	v_or3_b32 v13, v14, v15, v13
.LBB1_1408:
	s_or_b64 exec, exec, s[6:7]
	s_nop 0
	v_mfma_f32_16x16x4f32 a[0:3], v12, v13, a[0:3]
	v_mov_b32_e32 v16, 8
	s_movk_i32 s4, 0x7f
                                        ; implicit-def: $sgpr10
	s_nop 7
	s_nop 0
	flat_store_dwordx4 v[10:11], a[0:3] offset:160
	flat_load_dword v14, v[0:1] offset:544
	flat_load_dwordx2 v[12:13], v[6:7]
	s_waitcnt vmcnt(0) lgkmcnt(0)
	v_ashrrev_i32_e32 v15, 31, v14
	v_add_co_u32_e32 v12, vcc, v12, v14
	v_addc_co_u32_e32 v13, vcc, v13, v15, vcc
	flat_load_dwordx4 v[12:15], v[12:13] offset:1536
	s_waitcnt vmcnt(0) lgkmcnt(0)
	v_lshrrev_b32_sdwa v20, v16, v14 dst_sel:BYTE_1 dst_unused:UNUSED_PAD src0_sel:DWORD src1_sel:DWORD
	flat_store_dwordx4 v[8:9], v[12:15]
	flat_load_dwordx4 v[16:19], v[4:5]
	s_waitcnt vmcnt(0) lgkmcnt(0)
	v_cmp_gt_i16_sdwa s[6:7], v16, s4 src0_sel:BYTE_0 src1_sel:DWORD
	s_mov_b64 s[4:5], 0
	s_and_saveexec_b64 s[8:9], s[6:7]
	s_xor_b64 s[6:7], exec, s[8:9]
	s_cbranch_execz .LBB1_1409
; %bb.11401:
	s_getpc_b64 s[14:15]
.Lpost_getpc1604:
	s_add_u32 s14, s14, (.LBB1_5505-.Lpost_getpc1604)&4294967295
	s_addc_u32 s15, s15, (.LBB1_5505-.Lpost_getpc1604)>>32
	s_setpc_b64 s[14:15]
.LBB1_1409:
	s_or_saveexec_b64 s[6:7], s[6:7]
	v_mov_b32_e32 v21, s10
	s_xor_b64 exec, exec, s[6:7]
	s_cbranch_execz .LBB1_1410
; %bb.11403:
	s_getpc_b64 s[14:15]
.Lpost_getpc1605:
	s_add_u32 s14, s14, (.LBB1_5508-.Lpost_getpc1605)&4294967295
	s_addc_u32 s15, s15, (.LBB1_5508-.Lpost_getpc1605)>>32
	s_setpc_b64 s[14:15]
.LBB1_1410:
	s_or_b64 exec, exec, s[6:7]
	s_and_saveexec_b64 s[6:7], s[4:5]
	s_cbranch_execz .LBB1_1412
.LBB1_1411:
	v_and_b32_e32 v21, 7, v16
	v_ffbh_u32_e32 v23, v21
	v_min_u32_e32 v23, 32, v23
	v_lshrrev_b16_e32 v22, 3, v16
	v_subrev_u32_e32 v24, 28, v23
	v_and_b32_e32 v22, 15, v22
	v_lshlrev_b32_e32 v24, v24, v16
	v_sub_u32_e32 v23, 29, v23
	v_and_b32_e32 v24, 7, v24
	v_cmp_eq_u16_e32 vcc, 0, v22
	v_cndmask_b32_e32 v21, v21, v24, vcc
	v_cndmask_b32_e32 v22, v22, v23, vcc
	v_lshlrev_b32_e32 v23, 24, v16
	v_mov_b32_e32 v24, 0x3b800000
	v_lshlrev_b32_e32 v21, 20, v21
	v_and_b32_e32 v23, 0x80000000, v23
	v_lshl_add_u32 v22, v22, 23, v24
	v_or3_b32 v21, v23, v22, v21
.LBB1_1412:
	s_or_b64 exec, exec, s[6:7]
	s_movk_i32 s4, 0x7f
	v_cmp_gt_i16_sdwa s[6:7], v12, s4 src0_sel:BYTE_0 src1_sel:DWORD
	s_mov_b64 s[4:5], 0
                                        ; implicit-def: $sgpr10
	s_and_saveexec_b64 s[8:9], s[6:7]
	s_xor_b64 s[6:7], exec, s[8:9]
	s_cbranch_execz .LBB1_1413
; %bb.11405:
	s_getpc_b64 s[14:15]
.Lpost_getpc1606:
	s_add_u32 s14, s14, (.LBB1_5509-.Lpost_getpc1606)&4294967295
	s_addc_u32 s15, s15, (.LBB1_5509-.Lpost_getpc1606)>>32
	s_setpc_b64 s[14:15]
.LBB1_1413:
	s_or_saveexec_b64 s[6:7], s[6:7]
	v_mov_b32_e32 v22, s10
	s_xor_b64 exec, exec, s[6:7]
	s_cbranch_execz .LBB1_1414
; %bb.11407:
	s_getpc_b64 s[14:15]
.Lpost_getpc1607:
	s_add_u32 s14, s14, (.LBB1_5512-.Lpost_getpc1607)&4294967295
	s_addc_u32 s15, s15, (.LBB1_5512-.Lpost_getpc1607)>>32
	s_setpc_b64 s[14:15]
.LBB1_1414:
	s_or_b64 exec, exec, s[6:7]
	s_and_saveexec_b64 s[6:7], s[4:5]
	s_cbranch_execz .LBB1_1416
.LBB1_1415:
	v_and_b32_e32 v22, 3, v12
	v_ffbh_u32_e32 v24, v22
	v_min_u32_e32 v24, 32, v24
	v_lshrrev_b16_e32 v23, 2, v12
	v_subrev_u32_e32 v25, 29, v24
	v_and_b32_e32 v23, 31, v23
	v_lshlrev_b32_e32 v25, v25, v12
	v_sub_u32_e32 v24, 30, v24
	v_and_b32_e32 v25, 3, v25
	v_cmp_eq_u16_e32 vcc, 0, v23
	v_cndmask_b32_e32 v22, v22, v25, vcc
	v_cndmask_b32_e32 v23, v23, v24, vcc
	v_lshlrev_b32_e32 v24, 24, v12
	v_mov_b32_e32 v25, 0x37800000
	v_lshlrev_b32_e32 v22, 21, v22
	v_and_b32_e32 v24, 0x80000000, v24
	v_lshl_add_u32 v23, v23, 23, v25
	v_or3_b32 v22, v24, v23, v22
.LBB1_1416:
	s_or_b64 exec, exec, s[6:7]
	flat_load_dwordx4 a[0:3], v[10:11] offset:176
	s_movk_i32 s4, 0x7f
                                        ; implicit-def: $sgpr10
	s_waitcnt vmcnt(0) lgkmcnt(0)
	v_mfma_f32_16x16x4f32 a[0:3], v21, v22, a[0:3]
	v_lshrrev_b32_e32 v22, 8, v16
	v_cmp_gt_i16_sdwa s[6:7], v22, s4 src0_sel:BYTE_0 src1_sel:DWORD
	s_mov_b64 s[4:5], 0
	s_and_saveexec_b64 s[8:9], s[6:7]
	s_xor_b64 s[6:7], exec, s[8:9]
	s_cbranch_execz .LBB1_1417
; %bb.11409:
	s_getpc_b64 s[14:15]
.Lpost_getpc1608:
	s_add_u32 s14, s14, (.LBB1_5513-.Lpost_getpc1608)&4294967295
	s_addc_u32 s15, s15, (.LBB1_5513-.Lpost_getpc1608)>>32
	s_setpc_b64 s[14:15]
.LBB1_1417:
	s_or_saveexec_b64 s[6:7], s[6:7]
	v_mov_b32_e32 v21, s10
	s_xor_b64 exec, exec, s[6:7]
	s_cbranch_execz .LBB1_1418
; %bb.11411:
	s_getpc_b64 s[14:15]
.Lpost_getpc1609:
	s_add_u32 s14, s14, (.LBB1_5516-.Lpost_getpc1609)&4294967295
	s_addc_u32 s15, s15, (.LBB1_5516-.Lpost_getpc1609)>>32
	s_setpc_b64 s[14:15]
.LBB1_1418:
	s_or_b64 exec, exec, s[6:7]
	s_and_saveexec_b64 s[6:7], s[4:5]
	s_cbranch_execz .LBB1_1420
.LBB1_1419:
	v_bfe_u32 v21, v16, 8, 3
	v_ffbh_u32_e32 v24, v21
	v_min_u32_e32 v24, 32, v24
	v_lshrrev_b16_e32 v23, 3, v22
	v_subrev_u32_e32 v25, 28, v24
	v_and_b32_e32 v23, 15, v23
	v_lshlrev_b32_e32 v22, v25, v22
	v_sub_u32_e32 v24, 29, v24
	v_and_b32_e32 v22, 7, v22
	v_cmp_eq_u16_e32 vcc, 0, v23
	v_cndmask_b32_e32 v21, v21, v22, vcc
	v_cndmask_b32_e32 v22, v23, v24, vcc
	v_lshlrev_b32_e32 v23, 16, v16
	v_mov_b32_e32 v24, 0x3b800000
	v_lshlrev_b32_e32 v21, 20, v21
	v_and_b32_e32 v23, 0x80000000, v23
	v_lshl_add_u32 v22, v22, 23, v24
	v_or3_b32 v21, v23, v22, v21
.LBB1_1420:
	s_or_b64 exec, exec, s[6:7]
	v_lshrrev_b32_e32 v22, 8, v12
	s_movk_i32 s4, 0x7f
	v_cmp_gt_i16_sdwa s[6:7], v22, s4 src0_sel:BYTE_0 src1_sel:DWORD
	s_mov_b64 s[4:5], 0
                                        ; implicit-def: $sgpr10
	s_and_saveexec_b64 s[8:9], s[6:7]
	s_xor_b64 s[6:7], exec, s[8:9]
	s_cbranch_execz .LBB1_1421
; %bb.11413:
	s_getpc_b64 s[14:15]
.Lpost_getpc1610:
	s_add_u32 s14, s14, (.LBB1_5517-.Lpost_getpc1610)&4294967295
	s_addc_u32 s15, s15, (.LBB1_5517-.Lpost_getpc1610)>>32
	s_setpc_b64 s[14:15]
.LBB1_1421:
	s_or_saveexec_b64 s[6:7], s[6:7]
	v_mov_b32_e32 v23, s10
	s_xor_b64 exec, exec, s[6:7]
	s_cbranch_execz .LBB1_1422
; %bb.11415:
	s_getpc_b64 s[14:15]
.Lpost_getpc1611:
	s_add_u32 s14, s14, (.LBB1_5520-.Lpost_getpc1611)&4294967295
	s_addc_u32 s15, s15, (.LBB1_5520-.Lpost_getpc1611)>>32
	s_setpc_b64 s[14:15]
.LBB1_1422:
	s_or_b64 exec, exec, s[6:7]
	s_and_saveexec_b64 s[6:7], s[4:5]
	s_cbranch_execz .LBB1_1424
.LBB1_1423:
	v_bfe_u32 v23, v12, 8, 2
	v_ffbh_u32_e32 v25, v23
	v_min_u32_e32 v25, 32, v25
	v_lshrrev_b16_e32 v24, 2, v22
	v_subrev_u32_e32 v26, 29, v25
	v_and_b32_e32 v24, 31, v24
	v_lshlrev_b32_e32 v22, v26, v22
	v_sub_u32_e32 v25, 30, v25
	v_and_b32_e32 v22, 3, v22
	v_cmp_eq_u16_e32 vcc, 0, v24
	v_cndmask_b32_e32 v22, v23, v22, vcc
	v_cndmask_b32_e32 v23, v24, v25, vcc
	v_lshlrev_b32_e32 v24, 16, v12
	v_mov_b32_e32 v25, 0x37800000
	v_lshlrev_b32_e32 v22, 21, v22
	v_and_b32_e32 v24, 0x80000000, v24
	v_lshl_add_u32 v23, v23, 23, v25
	v_or3_b32 v23, v24, v23, v22
.LBB1_1424:
	s_or_b64 exec, exec, s[6:7]
	s_nop 0
	v_mfma_f32_16x16x4f32 a[0:3], v21, v23, a[0:3]
	s_movk_i32 s4, 0xff
	v_and_b32_sdwa v22, v16, s4 dst_sel:DWORD dst_unused:UNUSED_PAD src0_sel:WORD_1 src1_sel:DWORD
	s_movk_i32 s4, 0x7f
	v_cmp_lt_i16_e32 vcc, s4, v22
	s_mov_b64 s[4:5], 0
                                        ; implicit-def: $sgpr10
	s_and_saveexec_b64 s[6:7], vcc
	s_xor_b64 s[6:7], exec, s[6:7]
	s_cbranch_execz .LBB1_1425
; %bb.11417:
	s_getpc_b64 s[14:15]
.Lpost_getpc1612:
	s_add_u32 s14, s14, (.LBB1_5521-.Lpost_getpc1612)&4294967295
	s_addc_u32 s15, s15, (.LBB1_5521-.Lpost_getpc1612)>>32
	s_setpc_b64 s[14:15]
.LBB1_1425:
	s_or_saveexec_b64 s[6:7], s[6:7]
	v_mov_b32_e32 v21, s10
	s_xor_b64 exec, exec, s[6:7]
	s_cbranch_execz .LBB1_1426
; %bb.11419:
	s_getpc_b64 s[14:15]
.Lpost_getpc1613:
	s_add_u32 s14, s14, (.LBB1_5524-.Lpost_getpc1613)&4294967295
	s_addc_u32 s15, s15, (.LBB1_5524-.Lpost_getpc1613)>>32
	s_setpc_b64 s[14:15]
.LBB1_1426:
	s_or_b64 exec, exec, s[6:7]
	s_and_saveexec_b64 s[6:7], s[4:5]
	s_cbranch_execz .LBB1_1428
.LBB1_1427:
	v_bfe_u32 v21, v16, 16, 3
	v_ffbh_u32_e32 v24, v21
	v_min_u32_e32 v24, 32, v24
	v_lshrrev_b32_e32 v22, 19, v16
	v_subrev_u32_e32 v25, 28, v24
	v_and_b32_e32 v22, 15, v22
	v_lshlrev_b32_sdwa v25, v25, v16 dst_sel:DWORD dst_unused:UNUSED_PAD src0_sel:DWORD src1_sel:WORD_1
	v_bfe_u32 v23, v16, 19, 4
	v_sub_u32_e32 v24, 29, v24
	v_and_b32_e32 v25, 7, v25
	v_cmp_eq_u16_e32 vcc, 0, v22
	v_cndmask_b32_e32 v21, v21, v25, vcc
	v_cndmask_b32_e32 v22, v23, v24, vcc
	v_lshlrev_b32_e32 v23, 8, v16
	v_mov_b32_e32 v24, 0x3b800000
	v_lshlrev_b32_e32 v21, 20, v21
	v_and_b32_e32 v23, 0x80000000, v23
	v_lshl_add_u32 v22, v22, 23, v24
	v_or3_b32 v21, v23, v22, v21
.LBB1_1428:
	s_or_b64 exec, exec, s[6:7]
	s_movk_i32 s4, 0xff
	v_and_b32_sdwa v22, v12, s4 dst_sel:DWORD dst_unused:UNUSED_PAD src0_sel:WORD_1 src1_sel:DWORD
	s_movk_i32 s4, 0x7f
	v_cmp_lt_i16_e32 vcc, s4, v22
	s_mov_b64 s[4:5], 0
                                        ; implicit-def: $sgpr10
	s_and_saveexec_b64 s[6:7], vcc
	s_xor_b64 s[6:7], exec, s[6:7]
	s_cbranch_execz .LBB1_1429
; %bb.11421:
	s_getpc_b64 s[14:15]
.Lpost_getpc1614:
	s_add_u32 s14, s14, (.LBB1_5525-.Lpost_getpc1614)&4294967295
	s_addc_u32 s15, s15, (.LBB1_5525-.Lpost_getpc1614)>>32
	s_setpc_b64 s[14:15]
.LBB1_1429:
	s_or_saveexec_b64 s[6:7], s[6:7]
	v_mov_b32_e32 v23, s10
	s_xor_b64 exec, exec, s[6:7]
	s_cbranch_execz .LBB1_1430
; %bb.11423:
	s_getpc_b64 s[14:15]
.Lpost_getpc1615:
	s_add_u32 s14, s14, (.LBB1_5528-.Lpost_getpc1615)&4294967295
	s_addc_u32 s15, s15, (.LBB1_5528-.Lpost_getpc1615)>>32
	s_setpc_b64 s[14:15]
.LBB1_1430:
	s_or_b64 exec, exec, s[6:7]
	s_and_saveexec_b64 s[6:7], s[4:5]
	s_cbranch_execz .LBB1_1432
.LBB1_1431:
	v_bfe_u32 v22, v12, 16, 2
	v_ffbh_u32_e32 v25, v22
	v_min_u32_e32 v25, 32, v25
	v_lshrrev_b32_e32 v23, 18, v12
	v_subrev_u32_e32 v26, 29, v25
	v_and_b32_e32 v23, 31, v23
	v_lshlrev_b32_sdwa v26, v26, v12 dst_sel:DWORD dst_unused:UNUSED_PAD src0_sel:DWORD src1_sel:WORD_1
	v_bfe_u32 v24, v12, 18, 5
	v_sub_u32_e32 v25, 30, v25
	v_and_b32_e32 v26, 3, v26
	v_cmp_eq_u16_e32 vcc, 0, v23
	v_cndmask_b32_e32 v22, v22, v26, vcc
	v_cndmask_b32_e32 v23, v24, v25, vcc
	v_lshlrev_b32_e32 v24, 8, v12
	v_mov_b32_e32 v25, 0x37800000
	v_lshlrev_b32_e32 v22, 21, v22
	v_and_b32_e32 v24, 0x80000000, v24
	v_lshl_add_u32 v23, v23, 23, v25
	v_or3_b32 v23, v24, v23, v22
.LBB1_1432:
	s_or_b64 exec, exec, s[6:7]
	s_nop 0
	v_mfma_f32_16x16x4f32 a[0:3], v21, v23, a[0:3]
	s_movk_i32 s4, 0x7f
	v_cmp_gt_i16_sdwa s[6:7], v16, s4 src0_sel:BYTE_3 src1_sel:DWORD
	s_mov_b64 s[4:5], 0
                                        ; implicit-def: $sgpr10
	s_and_saveexec_b64 s[8:9], s[6:7]
	s_xor_b64 s[6:7], exec, s[8:9]
	s_cbranch_execz .LBB1_1433
; %bb.11425:
	s_getpc_b64 s[14:15]
.Lpost_getpc1616:
	s_add_u32 s14, s14, (.LBB1_5529-.Lpost_getpc1616)&4294967295
	s_addc_u32 s15, s15, (.LBB1_5529-.Lpost_getpc1616)>>32
	s_setpc_b64 s[14:15]
.LBB1_1433:
	s_or_saveexec_b64 s[6:7], s[6:7]
	v_mov_b32_e32 v21, s10
	s_xor_b64 exec, exec, s[6:7]
	s_cbranch_execz .LBB1_1434
; %bb.11427:
	s_getpc_b64 s[14:15]
.Lpost_getpc1617:
	s_add_u32 s14, s14, (.LBB1_5532-.Lpost_getpc1617)&4294967295
	s_addc_u32 s15, s15, (.LBB1_5532-.Lpost_getpc1617)>>32
	s_setpc_b64 s[14:15]
.LBB1_1434:
	s_or_b64 exec, exec, s[6:7]
	s_and_saveexec_b64 s[6:7], s[4:5]
	s_cbranch_execz .LBB1_1436
.LBB1_1435:
	v_bfe_u32 v21, v16, 24, 3
	v_ffbh_u32_e32 v25, v21
	v_min_u32_e32 v25, 32, v25
	v_lshrrev_b32_e32 v23, 27, v16
	v_subrev_u32_e32 v26, 28, v25
	v_and_b32_e32 v22, 0x80000000, v16
	v_and_b32_e32 v23, 15, v23
	v_bfe_u32 v24, v16, 27, 4
	v_lshlrev_b32_sdwa v16, v26, v16 dst_sel:DWORD dst_unused:UNUSED_PAD src0_sel:DWORD src1_sel:BYTE_3
	v_sub_u32_e32 v25, 29, v25
	v_and_b32_e32 v16, 7, v16
	v_cmp_eq_u16_e32 vcc, 0, v23
	v_cndmask_b32_e32 v16, v21, v16, vcc
	v_cndmask_b32_e32 v21, v24, v25, vcc
	v_mov_b32_e32 v23, 0x3b800000
	v_lshlrev_b32_e32 v16, 20, v16
	v_lshl_add_u32 v21, v21, 23, v23
	v_or3_b32 v21, v22, v21, v16
.LBB1_1436:
	s_or_b64 exec, exec, s[6:7]
	s_movk_i32 s4, 0x7f
	v_cmp_gt_i16_sdwa s[6:7], v12, s4 src0_sel:BYTE_3 src1_sel:DWORD
	s_mov_b64 s[4:5], 0
                                        ; implicit-def: $sgpr10
	s_and_saveexec_b64 s[8:9], s[6:7]
	s_xor_b64 s[6:7], exec, s[8:9]
	s_cbranch_execz .LBB1_1437
; %bb.11429:
	s_getpc_b64 s[14:15]
.Lpost_getpc1618:
	s_add_u32 s14, s14, (.LBB1_5533-.Lpost_getpc1618)&4294967295
	s_addc_u32 s15, s15, (.LBB1_5533-.Lpost_getpc1618)>>32
	s_setpc_b64 s[14:15]
.LBB1_1437:
	s_or_saveexec_b64 s[6:7], s[6:7]
	v_mov_b32_e32 v16, s10
	s_xor_b64 exec, exec, s[6:7]
	s_cbranch_execz .LBB1_1438
; %bb.11431:
	s_getpc_b64 s[14:15]
.Lpost_getpc1619:
	s_add_u32 s14, s14, (.LBB1_5536-.Lpost_getpc1619)&4294967295
	s_addc_u32 s15, s15, (.LBB1_5536-.Lpost_getpc1619)>>32
	s_setpc_b64 s[14:15]
.LBB1_1438:
	s_or_b64 exec, exec, s[6:7]
	s_and_saveexec_b64 s[6:7], s[4:5]
	s_cbranch_execz .LBB1_1440
.LBB1_1439:
	v_bfe_u32 v16, v12, 24, 2
	v_ffbh_u32_e32 v25, v16
	v_min_u32_e32 v25, 32, v25
	v_lshrrev_b32_e32 v23, 26, v12
	v_subrev_u32_e32 v26, 29, v25
	v_and_b32_e32 v22, 0x80000000, v12
	v_and_b32_e32 v23, 31, v23
	v_bfe_u32 v24, v12, 26, 5
	v_lshlrev_b32_sdwa v12, v26, v12 dst_sel:DWORD dst_unused:UNUSED_PAD src0_sel:DWORD src1_sel:BYTE_3
	v_sub_u32_e32 v25, 30, v25
	v_and_b32_e32 v12, 3, v12
	v_cmp_eq_u16_e32 vcc, 0, v23
	v_cndmask_b32_e32 v12, v16, v12, vcc
	v_cndmask_b32_e32 v16, v24, v25, vcc
	v_mov_b32_e32 v23, 0x37800000
	v_lshlrev_b32_e32 v12, 21, v12
	v_lshl_add_u32 v16, v16, 23, v23
	v_or3_b32 v16, v22, v16, v12
.LBB1_1440:
	s_or_b64 exec, exec, s[6:7]
	s_nop 0
	v_mfma_f32_16x16x4f32 a[0:3], v21, v16, a[0:3]
	s_movk_i32 s4, 0x7f
	v_cmp_gt_i16_sdwa s[6:7], v17, s4 src0_sel:BYTE_0 src1_sel:DWORD
	s_mov_b64 s[4:5], 0
                                        ; implicit-def: $sgpr10
	s_and_saveexec_b64 s[8:9], s[6:7]
	s_xor_b64 s[6:7], exec, s[8:9]
	s_cbranch_execz .LBB1_1441
; %bb.11433:
	s_getpc_b64 s[14:15]
.Lpost_getpc1620:
	s_add_u32 s14, s14, (.LBB1_5537-.Lpost_getpc1620)&4294967295
	s_addc_u32 s15, s15, (.LBB1_5537-.Lpost_getpc1620)>>32
	s_setpc_b64 s[14:15]
.LBB1_1441:
	s_or_saveexec_b64 s[6:7], s[6:7]
	v_mov_b32_e32 v12, s10
	s_xor_b64 exec, exec, s[6:7]
	s_cbranch_execz .LBB1_1442
; %bb.11435:
	s_getpc_b64 s[14:15]
.Lpost_getpc1621:
	s_add_u32 s14, s14, (.LBB1_5540-.Lpost_getpc1621)&4294967295
	s_addc_u32 s15, s15, (.LBB1_5540-.Lpost_getpc1621)>>32
	s_setpc_b64 s[14:15]
.LBB1_1442:
	s_or_b64 exec, exec, s[6:7]
	s_and_saveexec_b64 s[6:7], s[4:5]
	s_cbranch_execz .LBB1_1444
.LBB1_1443:
	v_and_b32_e32 v12, 7, v17
	v_ffbh_u32_e32 v21, v12
	v_min_u32_e32 v21, 32, v21
	v_lshrrev_b16_e32 v16, 3, v17
	v_subrev_u32_e32 v22, 28, v21
	v_and_b32_e32 v16, 15, v16
	v_lshlrev_b32_e32 v22, v22, v17
	v_sub_u32_e32 v21, 29, v21
	v_and_b32_e32 v22, 7, v22
	v_cmp_eq_u16_e32 vcc, 0, v16
	v_cndmask_b32_e32 v12, v12, v22, vcc
	v_cndmask_b32_e32 v16, v16, v21, vcc
	v_lshlrev_b32_e32 v21, 24, v17
	v_mov_b32_e32 v22, 0x3b800000
	v_lshlrev_b32_e32 v12, 20, v12
	v_and_b32_e32 v21, 0x80000000, v21
	v_lshl_add_u32 v16, v16, 23, v22
	v_or3_b32 v12, v21, v16, v12
.LBB1_1444:
	s_or_b64 exec, exec, s[6:7]
	s_movk_i32 s4, 0x7f
	v_cmp_gt_i16_sdwa s[6:7], v13, s4 src0_sel:BYTE_0 src1_sel:DWORD
	s_mov_b64 s[4:5], 0
                                        ; implicit-def: $sgpr10
	s_and_saveexec_b64 s[8:9], s[6:7]
	s_xor_b64 s[6:7], exec, s[8:9]
	s_cbranch_execz .LBB1_1445
; %bb.11437:
	s_getpc_b64 s[14:15]
.Lpost_getpc1622:
	s_add_u32 s14, s14, (.LBB1_5541-.Lpost_getpc1622)&4294967295
	s_addc_u32 s15, s15, (.LBB1_5541-.Lpost_getpc1622)>>32
	s_setpc_b64 s[14:15]
.LBB1_1445:
	s_or_saveexec_b64 s[6:7], s[6:7]
	v_mov_b32_e32 v16, s10
	s_xor_b64 exec, exec, s[6:7]
	s_cbranch_execz .LBB1_1446
; %bb.11439:
	s_getpc_b64 s[14:15]
.Lpost_getpc1623:
	s_add_u32 s14, s14, (.LBB1_5544-.Lpost_getpc1623)&4294967295
	s_addc_u32 s15, s15, (.LBB1_5544-.Lpost_getpc1623)>>32
	s_setpc_b64 s[14:15]
.LBB1_1446:
	s_or_b64 exec, exec, s[6:7]
	s_and_saveexec_b64 s[6:7], s[4:5]
	s_cbranch_execz .LBB1_1448
.LBB1_1447:
	v_and_b32_e32 v16, 3, v13
	v_ffbh_u32_e32 v22, v16
	v_min_u32_e32 v22, 32, v22
	v_lshrrev_b16_e32 v21, 2, v13
	v_subrev_u32_e32 v23, 29, v22
	v_and_b32_e32 v21, 31, v21
	v_lshlrev_b32_e32 v23, v23, v13
	v_sub_u32_e32 v22, 30, v22
	v_and_b32_e32 v23, 3, v23
	v_cmp_eq_u16_e32 vcc, 0, v21
	v_cndmask_b32_e32 v16, v16, v23, vcc
	v_cndmask_b32_e32 v21, v21, v22, vcc
	v_lshlrev_b32_e32 v22, 24, v13
	v_mov_b32_e32 v23, 0x37800000
	v_lshlrev_b32_e32 v16, 21, v16
	v_and_b32_e32 v22, 0x80000000, v22
	v_lshl_add_u32 v21, v21, 23, v23
	v_or3_b32 v16, v22, v21, v16
.LBB1_1448:
	s_or_b64 exec, exec, s[6:7]
	s_nop 0
	v_mfma_f32_16x16x4f32 a[0:3], v12, v16, a[0:3]
	v_lshrrev_b32_e32 v16, 8, v17
	s_movk_i32 s4, 0x7f
	v_cmp_gt_i16_sdwa s[6:7], v16, s4 src0_sel:BYTE_0 src1_sel:DWORD
	s_mov_b64 s[4:5], 0
                                        ; implicit-def: $sgpr10
	s_and_saveexec_b64 s[8:9], s[6:7]
	s_xor_b64 s[6:7], exec, s[8:9]
	s_cbranch_execz .LBB1_1449
; %bb.11441:
	s_getpc_b64 s[14:15]
.Lpost_getpc1624:
	s_add_u32 s14, s14, (.LBB1_5545-.Lpost_getpc1624)&4294967295
	s_addc_u32 s15, s15, (.LBB1_5545-.Lpost_getpc1624)>>32
	s_setpc_b64 s[14:15]
.LBB1_1449:
	s_or_saveexec_b64 s[6:7], s[6:7]
	v_mov_b32_e32 v12, s10
	s_xor_b64 exec, exec, s[6:7]
	s_cbranch_execz .LBB1_1450
; %bb.11443:
	s_getpc_b64 s[14:15]
.Lpost_getpc1625:
	s_add_u32 s14, s14, (.LBB1_5548-.Lpost_getpc1625)&4294967295
	s_addc_u32 s15, s15, (.LBB1_5548-.Lpost_getpc1625)>>32
	s_setpc_b64 s[14:15]
.LBB1_1450:
	s_or_b64 exec, exec, s[6:7]
	s_and_saveexec_b64 s[6:7], s[4:5]
	s_cbranch_execz .LBB1_1452
.LBB1_1451:
	v_bfe_u32 v12, v17, 8, 3
	v_ffbh_u32_e32 v22, v12
	v_min_u32_e32 v22, 32, v22
	v_lshrrev_b16_e32 v21, 3, v16
	v_subrev_u32_e32 v23, 28, v22
	v_and_b32_e32 v21, 15, v21
	v_lshlrev_b32_e32 v16, v23, v16
	v_sub_u32_e32 v22, 29, v22
	v_and_b32_e32 v16, 7, v16
	v_cmp_eq_u16_e32 vcc, 0, v21
	v_cndmask_b32_e32 v12, v12, v16, vcc
	v_cndmask_b32_e32 v16, v21, v22, vcc
	v_lshlrev_b32_e32 v21, 16, v17
	v_mov_b32_e32 v22, 0x3b800000
	v_lshlrev_b32_e32 v12, 20, v12
	v_and_b32_e32 v21, 0x80000000, v21
	v_lshl_add_u32 v16, v16, 23, v22
	v_or3_b32 v12, v21, v16, v12
.LBB1_1452:
	s_or_b64 exec, exec, s[6:7]
	v_lshrrev_b32_e32 v16, 8, v13
	s_movk_i32 s4, 0x7f
	v_cmp_gt_i16_sdwa s[6:7], v16, s4 src0_sel:BYTE_0 src1_sel:DWORD
	s_mov_b64 s[4:5], 0
                                        ; implicit-def: $sgpr10
	s_and_saveexec_b64 s[8:9], s[6:7]
	s_xor_b64 s[6:7], exec, s[8:9]
	s_cbranch_execz .LBB1_1453
; %bb.11445:
	s_getpc_b64 s[14:15]
.Lpost_getpc1626:
	s_add_u32 s14, s14, (.LBB1_5549-.Lpost_getpc1626)&4294967295
	s_addc_u32 s15, s15, (.LBB1_5549-.Lpost_getpc1626)>>32
	s_setpc_b64 s[14:15]
.LBB1_1453:
	s_or_saveexec_b64 s[6:7], s[6:7]
	v_mov_b32_e32 v21, s10
	s_xor_b64 exec, exec, s[6:7]
	s_cbranch_execz .LBB1_1454
; %bb.11447:
	s_getpc_b64 s[14:15]
.Lpost_getpc1627:
	s_add_u32 s14, s14, (.LBB1_5552-.Lpost_getpc1627)&4294967295
	s_addc_u32 s15, s15, (.LBB1_5552-.Lpost_getpc1627)>>32
	s_setpc_b64 s[14:15]
.LBB1_1454:
	s_or_b64 exec, exec, s[6:7]
	s_and_saveexec_b64 s[6:7], s[4:5]
	s_cbranch_execz .LBB1_1456
.LBB1_1455:
	v_bfe_u32 v21, v13, 8, 2
	v_ffbh_u32_e32 v23, v21
	v_min_u32_e32 v23, 32, v23
	v_lshrrev_b16_e32 v22, 2, v16
	v_subrev_u32_e32 v24, 29, v23
	v_and_b32_e32 v22, 31, v22
	v_lshlrev_b32_e32 v16, v24, v16
	v_sub_u32_e32 v23, 30, v23
	v_and_b32_e32 v16, 3, v16
	v_cmp_eq_u16_e32 vcc, 0, v22
	v_cndmask_b32_e32 v16, v21, v16, vcc
	v_cndmask_b32_e32 v21, v22, v23, vcc
	v_lshlrev_b32_e32 v22, 16, v13
	v_mov_b32_e32 v23, 0x37800000
	v_lshlrev_b32_e32 v16, 21, v16
	v_and_b32_e32 v22, 0x80000000, v22
	v_lshl_add_u32 v21, v21, 23, v23
	v_or3_b32 v21, v22, v21, v16
.LBB1_1456:
	s_or_b64 exec, exec, s[6:7]
	s_nop 0
	v_mfma_f32_16x16x4f32 a[0:3], v12, v21, a[0:3]
	s_movk_i32 s4, 0xff
	v_and_b32_sdwa v16, v17, s4 dst_sel:DWORD dst_unused:UNUSED_PAD src0_sel:WORD_1 src1_sel:DWORD
	s_movk_i32 s4, 0x7f
	v_cmp_lt_i16_e32 vcc, s4, v16
	s_mov_b64 s[4:5], 0
                                        ; implicit-def: $sgpr10
	s_and_saveexec_b64 s[6:7], vcc
	s_xor_b64 s[6:7], exec, s[6:7]
	s_cbranch_execz .LBB1_1457
; %bb.11449:
	s_getpc_b64 s[14:15]
.Lpost_getpc1628:
	s_add_u32 s14, s14, (.LBB1_5553-.Lpost_getpc1628)&4294967295
	s_addc_u32 s15, s15, (.LBB1_5553-.Lpost_getpc1628)>>32
	s_setpc_b64 s[14:15]
.LBB1_1457:
	s_or_saveexec_b64 s[6:7], s[6:7]
	v_mov_b32_e32 v12, s10
	s_xor_b64 exec, exec, s[6:7]
	s_cbranch_execz .LBB1_1458
; %bb.11451:
	s_getpc_b64 s[14:15]
.Lpost_getpc1629:
	s_add_u32 s14, s14, (.LBB1_5556-.Lpost_getpc1629)&4294967295
	s_addc_u32 s15, s15, (.LBB1_5556-.Lpost_getpc1629)>>32
	s_setpc_b64 s[14:15]
.LBB1_1458:
	s_or_b64 exec, exec, s[6:7]
	s_and_saveexec_b64 s[6:7], s[4:5]
	s_cbranch_execz .LBB1_1460
.LBB1_1459:
	v_bfe_u32 v12, v17, 16, 3
	v_ffbh_u32_e32 v22, v12
	v_min_u32_e32 v22, 32, v22
	v_lshrrev_b32_e32 v16, 19, v17
	v_subrev_u32_e32 v23, 28, v22
	v_and_b32_e32 v16, 15, v16
	v_lshlrev_b32_sdwa v23, v23, v17 dst_sel:DWORD dst_unused:UNUSED_PAD src0_sel:DWORD src1_sel:WORD_1
	v_bfe_u32 v21, v17, 19, 4
	v_sub_u32_e32 v22, 29, v22
	v_and_b32_e32 v23, 7, v23
	v_cmp_eq_u16_e32 vcc, 0, v16
	v_cndmask_b32_e32 v12, v12, v23, vcc
	v_cndmask_b32_e32 v16, v21, v22, vcc
	v_lshlrev_b32_e32 v21, 8, v17
	v_mov_b32_e32 v22, 0x3b800000
	v_lshlrev_b32_e32 v12, 20, v12
	v_and_b32_e32 v21, 0x80000000, v21
	v_lshl_add_u32 v16, v16, 23, v22
	v_or3_b32 v12, v21, v16, v12
.LBB1_1460:
	s_or_b64 exec, exec, s[6:7]
	s_movk_i32 s4, 0xff
	v_and_b32_sdwa v16, v13, s4 dst_sel:DWORD dst_unused:UNUSED_PAD src0_sel:WORD_1 src1_sel:DWORD
	s_movk_i32 s4, 0x7f
	v_cmp_lt_i16_e32 vcc, s4, v16
	s_mov_b64 s[4:5], 0
                                        ; implicit-def: $sgpr10
	s_and_saveexec_b64 s[6:7], vcc
	s_xor_b64 s[6:7], exec, s[6:7]
	s_cbranch_execz .LBB1_1461
; %bb.11453:
	s_getpc_b64 s[14:15]
.Lpost_getpc1630:
	s_add_u32 s14, s14, (.LBB1_5557-.Lpost_getpc1630)&4294967295
	s_addc_u32 s15, s15, (.LBB1_5557-.Lpost_getpc1630)>>32
	s_setpc_b64 s[14:15]
.LBB1_1461:
	s_or_saveexec_b64 s[6:7], s[6:7]
	v_mov_b32_e32 v21, s10
	s_xor_b64 exec, exec, s[6:7]
	s_cbranch_execz .LBB1_1462
; %bb.11455:
	s_getpc_b64 s[14:15]
.Lpost_getpc1631:
	s_add_u32 s14, s14, (.LBB1_5560-.Lpost_getpc1631)&4294967295
	s_addc_u32 s15, s15, (.LBB1_5560-.Lpost_getpc1631)>>32
	s_setpc_b64 s[14:15]
.LBB1_1462:
	s_or_b64 exec, exec, s[6:7]
	s_and_saveexec_b64 s[6:7], s[4:5]
	s_cbranch_execz .LBB1_1464
.LBB1_1463:
	v_bfe_u32 v16, v13, 16, 2
	v_ffbh_u32_e32 v23, v16
	v_min_u32_e32 v23, 32, v23
	v_lshrrev_b32_e32 v21, 18, v13
	v_subrev_u32_e32 v24, 29, v23
	v_and_b32_e32 v21, 31, v21
	v_lshlrev_b32_sdwa v24, v24, v13 dst_sel:DWORD dst_unused:UNUSED_PAD src0_sel:DWORD src1_sel:WORD_1
	v_bfe_u32 v22, v13, 18, 5
	v_sub_u32_e32 v23, 30, v23
	v_and_b32_e32 v24, 3, v24
	v_cmp_eq_u16_e32 vcc, 0, v21
	v_cndmask_b32_e32 v16, v16, v24, vcc
	v_cndmask_b32_e32 v21, v22, v23, vcc
	v_lshlrev_b32_e32 v22, 8, v13
	v_mov_b32_e32 v23, 0x37800000
	v_lshlrev_b32_e32 v16, 21, v16
	v_and_b32_e32 v22, 0x80000000, v22
	v_lshl_add_u32 v21, v21, 23, v23
	v_or3_b32 v21, v22, v21, v16
.LBB1_1464:
	s_or_b64 exec, exec, s[6:7]
	s_nop 0
	v_mfma_f32_16x16x4f32 a[0:3], v12, v21, a[0:3]
	s_movk_i32 s4, 0x7f
	v_cmp_gt_i16_sdwa s[6:7], v17, s4 src0_sel:BYTE_3 src1_sel:DWORD
	s_mov_b64 s[4:5], 0
                                        ; implicit-def: $sgpr10
	s_and_saveexec_b64 s[8:9], s[6:7]
	s_xor_b64 s[6:7], exec, s[8:9]
	s_cbranch_execz .LBB1_1465
; %bb.11457:
	s_getpc_b64 s[14:15]
.Lpost_getpc1632:
	s_add_u32 s14, s14, (.LBB1_5561-.Lpost_getpc1632)&4294967295
	s_addc_u32 s15, s15, (.LBB1_5561-.Lpost_getpc1632)>>32
	s_setpc_b64 s[14:15]
.LBB1_1465:
	s_or_saveexec_b64 s[6:7], s[6:7]
	v_mov_b32_e32 v12, s10
	s_xor_b64 exec, exec, s[6:7]
	s_cbranch_execz .LBB1_1466
; %bb.11459:
	s_getpc_b64 s[14:15]
.Lpost_getpc1633:
	s_add_u32 s14, s14, (.LBB1_5564-.Lpost_getpc1633)&4294967295
	s_addc_u32 s15, s15, (.LBB1_5564-.Lpost_getpc1633)>>32
	s_setpc_b64 s[14:15]
.LBB1_1466:
	s_or_b64 exec, exec, s[6:7]
	s_and_saveexec_b64 s[6:7], s[4:5]
	s_cbranch_execz .LBB1_1468
.LBB1_1467:
	v_bfe_u32 v12, v17, 24, 3
	v_ffbh_u32_e32 v23, v12
	v_min_u32_e32 v23, 32, v23
	v_lshrrev_b32_e32 v21, 27, v17
	v_subrev_u32_e32 v24, 28, v23
	v_and_b32_e32 v16, 0x80000000, v17
	v_and_b32_e32 v21, 15, v21
	v_bfe_u32 v22, v17, 27, 4
	v_lshlrev_b32_sdwa v17, v24, v17 dst_sel:DWORD dst_unused:UNUSED_PAD src0_sel:DWORD src1_sel:BYTE_3
	v_sub_u32_e32 v23, 29, v23
	v_and_b32_e32 v17, 7, v17
	v_cmp_eq_u16_e32 vcc, 0, v21
	v_cndmask_b32_e32 v12, v12, v17, vcc
	v_cndmask_b32_e32 v17, v22, v23, vcc
	v_mov_b32_e32 v21, 0x3b800000
	v_lshlrev_b32_e32 v12, 20, v12
	v_lshl_add_u32 v17, v17, 23, v21
	v_or3_b32 v12, v16, v17, v12
.LBB1_1468:
	s_or_b64 exec, exec, s[6:7]
	s_movk_i32 s4, 0x7f
	v_cmp_gt_i16_sdwa s[6:7], v13, s4 src0_sel:BYTE_3 src1_sel:DWORD
	s_mov_b64 s[4:5], 0
                                        ; implicit-def: $sgpr10
	s_and_saveexec_b64 s[8:9], s[6:7]
	s_xor_b64 s[6:7], exec, s[8:9]
	s_cbranch_execz .LBB1_1469
; %bb.11461:
	s_getpc_b64 s[14:15]
.Lpost_getpc1634:
	s_add_u32 s14, s14, (.LBB1_5565-.Lpost_getpc1634)&4294967295
	s_addc_u32 s15, s15, (.LBB1_5565-.Lpost_getpc1634)>>32
	s_setpc_b64 s[14:15]
.LBB1_1469:
	s_or_saveexec_b64 s[6:7], s[6:7]
	v_mov_b32_e32 v16, s10
	s_xor_b64 exec, exec, s[6:7]
	s_cbranch_execz .LBB1_1470
; %bb.11463:
	s_getpc_b64 s[14:15]
.Lpost_getpc1635:
	s_add_u32 s14, s14, (.LBB1_5568-.Lpost_getpc1635)&4294967295
	s_addc_u32 s15, s15, (.LBB1_5568-.Lpost_getpc1635)>>32
	s_setpc_b64 s[14:15]
.LBB1_1470:
	s_or_b64 exec, exec, s[6:7]
	s_and_saveexec_b64 s[6:7], s[4:5]
	s_cbranch_execz .LBB1_1472
.LBB1_1471:
	v_bfe_u32 v16, v13, 24, 2
	v_ffbh_u32_e32 v23, v16
	v_min_u32_e32 v23, 32, v23
	v_lshrrev_b32_e32 v21, 26, v13
	v_subrev_u32_e32 v24, 29, v23
	v_and_b32_e32 v17, 0x80000000, v13
	v_and_b32_e32 v21, 31, v21
	v_bfe_u32 v22, v13, 26, 5
	v_lshlrev_b32_sdwa v13, v24, v13 dst_sel:DWORD dst_unused:UNUSED_PAD src0_sel:DWORD src1_sel:BYTE_3
	v_sub_u32_e32 v23, 30, v23
	v_and_b32_e32 v13, 3, v13
	v_cmp_eq_u16_e32 vcc, 0, v21
	v_cndmask_b32_e32 v13, v16, v13, vcc
	v_cndmask_b32_e32 v16, v22, v23, vcc
	v_mov_b32_e32 v21, 0x37800000
	v_lshlrev_b32_e32 v13, 21, v13
	v_lshl_add_u32 v16, v16, 23, v21
	v_or3_b32 v16, v17, v16, v13
.LBB1_1472:
	s_or_b64 exec, exec, s[6:7]
	s_nop 0
	v_mfma_f32_16x16x4f32 a[0:3], v12, v16, a[0:3]
	s_movk_i32 s4, 0x7f
	v_cmp_gt_i16_sdwa s[6:7], v18, s4 src0_sel:BYTE_0 src1_sel:DWORD
	s_mov_b64 s[4:5], 0
                                        ; implicit-def: $sgpr10
	s_and_saveexec_b64 s[8:9], s[6:7]
	s_xor_b64 s[6:7], exec, s[8:9]
	s_cbranch_execz .LBB1_1473
; %bb.11465:
	s_getpc_b64 s[14:15]
.Lpost_getpc1636:
	s_add_u32 s14, s14, (.LBB1_5569-.Lpost_getpc1636)&4294967295
	s_addc_u32 s15, s15, (.LBB1_5569-.Lpost_getpc1636)>>32
	s_setpc_b64 s[14:15]
.LBB1_1473:
	s_or_saveexec_b64 s[6:7], s[6:7]
	v_mov_b32_e32 v13, s10
	s_xor_b64 exec, exec, s[6:7]
	s_cbranch_execz .LBB1_1474
; %bb.11467:
	s_getpc_b64 s[14:15]
.Lpost_getpc1637:
	s_add_u32 s14, s14, (.LBB1_5572-.Lpost_getpc1637)&4294967295
	s_addc_u32 s15, s15, (.LBB1_5572-.Lpost_getpc1637)>>32
	s_setpc_b64 s[14:15]
.LBB1_1474:
	s_or_b64 exec, exec, s[6:7]
	s_and_saveexec_b64 s[6:7], s[4:5]
	s_cbranch_execz .LBB1_1476
.LBB1_1475:
	v_and_b32_e32 v12, 7, v18
	v_ffbh_u32_e32 v16, v12
	v_min_u32_e32 v16, 32, v16
	v_lshrrev_b16_e32 v13, 3, v18
	v_subrev_u32_e32 v17, 28, v16
	v_and_b32_e32 v13, 15, v13
	v_lshlrev_b32_e32 v17, v17, v18
	v_sub_u32_e32 v16, 29, v16
	v_and_b32_e32 v17, 7, v17
	v_cmp_eq_u16_e32 vcc, 0, v13
	v_cndmask_b32_e32 v12, v12, v17, vcc
	v_cndmask_b32_e32 v13, v13, v16, vcc
	v_lshlrev_b32_e32 v16, 24, v18
	v_mov_b32_e32 v17, 0x3b800000
	v_lshlrev_b32_e32 v12, 20, v12
	v_and_b32_e32 v16, 0x80000000, v16
	v_lshl_add_u32 v13, v13, 23, v17
	v_or3_b32 v13, v16, v13, v12
.LBB1_1476:
	s_or_b64 exec, exec, s[6:7]
	s_movk_i32 s4, 0xff
	v_mov_b32_e32 v12, 8
	v_or_b32_sdwa v16, v14, v20 dst_sel:DWORD dst_unused:UNUSED_PAD src0_sel:BYTE_0 src1_sel:DWORD
	v_lshlrev_b16_sdwa v12, v12, v14 dst_sel:DWORD dst_unused:UNUSED_PAD src0_sel:DWORD src1_sel:BYTE_3
	v_and_b32_sdwa v14, v14, s4 dst_sel:DWORD dst_unused:UNUSED_PAD src0_sel:WORD_1 src1_sel:DWORD
	s_movk_i32 s4, 0x7f
	v_or_b32_sdwa v12, v14, v12 dst_sel:WORD_1 dst_unused:UNUSED_PAD src0_sel:DWORD src1_sel:DWORD
	v_cmp_gt_i16_sdwa s[6:7], v16, s4 src0_sel:BYTE_0 src1_sel:DWORD
	s_mov_b64 s[4:5], 0
                                        ; implicit-def: $sgpr10
	s_and_saveexec_b64 s[8:9], s[6:7]
	s_xor_b64 s[6:7], exec, s[8:9]
	s_cbranch_execz .LBB1_1477
; %bb.11469:
	s_getpc_b64 s[14:15]
.Lpost_getpc1638:
	s_add_u32 s14, s14, (.LBB1_5573-.Lpost_getpc1638)&4294967295
	s_addc_u32 s15, s15, (.LBB1_5573-.Lpost_getpc1638)>>32
	s_setpc_b64 s[14:15]
.LBB1_1477:
	s_or_saveexec_b64 s[6:7], s[6:7]
	v_mov_b32_e32 v14, s10
	s_xor_b64 exec, exec, s[6:7]
	s_cbranch_execz .LBB1_1478
; %bb.11471:
	s_getpc_b64 s[14:15]
.Lpost_getpc1639:
	s_add_u32 s14, s14, (.LBB1_5576-.Lpost_getpc1639)&4294967295
	s_addc_u32 s15, s15, (.LBB1_5576-.Lpost_getpc1639)>>32
	s_setpc_b64 s[14:15]
.LBB1_1478:
	s_or_b64 exec, exec, s[6:7]
	v_or_b32_sdwa v12, v16, v12 dst_sel:DWORD dst_unused:UNUSED_PAD src0_sel:WORD_0 src1_sel:DWORD
	s_and_saveexec_b64 s[6:7], s[4:5]
	s_cbranch_execz .LBB1_1480
.LBB1_1479:
	v_and_b32_e32 v14, 3, v12
	v_ffbh_u32_e32 v17, v14
	v_min_u32_e32 v17, 32, v17
	v_lshrrev_b16_e32 v16, 2, v16
	v_subrev_u32_e32 v20, 29, v17
	v_and_b32_e32 v16, 31, v16
	v_lshlrev_b32_e32 v20, v20, v12
	v_sub_u32_e32 v17, 30, v17
	v_and_b32_e32 v20, 3, v20
	v_cmp_eq_u16_e32 vcc, 0, v16
	v_cndmask_b32_e32 v14, v14, v20, vcc
	v_cndmask_b32_e32 v16, v16, v17, vcc
	v_lshlrev_b32_e32 v17, 24, v12
	v_mov_b32_e32 v20, 0x37800000
	v_lshlrev_b32_e32 v14, 21, v14
	v_and_b32_e32 v17, 0x80000000, v17
	v_lshl_add_u32 v16, v16, 23, v20
	v_or3_b32 v14, v17, v16, v14
.LBB1_1480:
	s_or_b64 exec, exec, s[6:7]
	s_nop 0
	v_mfma_f32_16x16x4f32 a[0:3], v13, v14, a[0:3]
	v_lshrrev_b32_e32 v14, 8, v18
	s_movk_i32 s4, 0x7f
	v_cmp_gt_i16_sdwa s[6:7], v14, s4 src0_sel:BYTE_0 src1_sel:DWORD
	s_mov_b64 s[4:5], 0
                                        ; implicit-def: $sgpr10
	s_and_saveexec_b64 s[8:9], s[6:7]
	s_xor_b64 s[6:7], exec, s[8:9]
	s_cbranch_execz .LBB1_1481
; %bb.11473:
	s_getpc_b64 s[14:15]
.Lpost_getpc1640:
	s_add_u32 s14, s14, (.LBB1_5577-.Lpost_getpc1640)&4294967295
	s_addc_u32 s15, s15, (.LBB1_5577-.Lpost_getpc1640)>>32
	s_setpc_b64 s[14:15]
.LBB1_1481:
	s_or_saveexec_b64 s[6:7], s[6:7]
	v_mov_b32_e32 v13, s10
	s_xor_b64 exec, exec, s[6:7]
	s_cbranch_execz .LBB1_1482
; %bb.11475:
	s_getpc_b64 s[14:15]
.Lpost_getpc1641:
	s_add_u32 s14, s14, (.LBB1_5580-.Lpost_getpc1641)&4294967295
	s_addc_u32 s15, s15, (.LBB1_5580-.Lpost_getpc1641)>>32
	s_setpc_b64 s[14:15]
.LBB1_1482:
	s_or_b64 exec, exec, s[6:7]
	s_and_saveexec_b64 s[6:7], s[4:5]
	s_cbranch_execz .LBB1_1484
.LBB1_1483:
	v_bfe_u32 v13, v18, 8, 3
	v_ffbh_u32_e32 v17, v13
	v_min_u32_e32 v17, 32, v17
	v_lshrrev_b16_e32 v16, 3, v14
	v_subrev_u32_e32 v20, 28, v17
	v_and_b32_e32 v16, 15, v16
	v_lshlrev_b32_e32 v14, v20, v14
	v_sub_u32_e32 v17, 29, v17
	v_and_b32_e32 v14, 7, v14
	v_cmp_eq_u16_e32 vcc, 0, v16
	v_cndmask_b32_e32 v13, v13, v14, vcc
	v_cndmask_b32_e32 v14, v16, v17, vcc
	v_lshlrev_b32_e32 v16, 16, v18
	v_mov_b32_e32 v17, 0x3b800000
	v_lshlrev_b32_e32 v13, 20, v13
	v_and_b32_e32 v16, 0x80000000, v16
	v_lshl_add_u32 v14, v14, 23, v17
	v_or3_b32 v13, v16, v14, v13
.LBB1_1484:
	s_or_b64 exec, exec, s[6:7]
	v_lshrrev_b32_e32 v14, 8, v12
	s_movk_i32 s4, 0x7f
	v_cmp_gt_i16_sdwa s[6:7], v14, s4 src0_sel:BYTE_0 src1_sel:DWORD
	s_mov_b64 s[4:5], 0
                                        ; implicit-def: $sgpr10
	s_and_saveexec_b64 s[8:9], s[6:7]
	s_xor_b64 s[6:7], exec, s[8:9]
	s_cbranch_execz .LBB1_1485
; %bb.11477:
	s_getpc_b64 s[14:15]
.Lpost_getpc1642:
	s_add_u32 s14, s14, (.LBB1_5581-.Lpost_getpc1642)&4294967295
	s_addc_u32 s15, s15, (.LBB1_5581-.Lpost_getpc1642)>>32
	s_setpc_b64 s[14:15]
.LBB1_1485:
	s_or_saveexec_b64 s[6:7], s[6:7]
	v_mov_b32_e32 v16, s10
	s_xor_b64 exec, exec, s[6:7]
	s_cbranch_execz .LBB1_1486
; %bb.11479:
	s_getpc_b64 s[14:15]
.Lpost_getpc1643:
	s_add_u32 s14, s14, (.LBB1_5584-.Lpost_getpc1643)&4294967295
	s_addc_u32 s15, s15, (.LBB1_5584-.Lpost_getpc1643)>>32
	s_setpc_b64 s[14:15]
.LBB1_1486:
	s_or_b64 exec, exec, s[6:7]
	s_and_saveexec_b64 s[6:7], s[4:5]
	s_cbranch_execz .LBB1_1488
.LBB1_1487:
	v_bfe_u32 v16, v12, 8, 2
	v_ffbh_u32_e32 v20, v16
	v_min_u32_e32 v20, 32, v20
	v_lshrrev_b16_e32 v17, 2, v14
	v_subrev_u32_e32 v21, 29, v20
	v_and_b32_e32 v17, 31, v17
	v_lshlrev_b32_e32 v14, v21, v14
	v_sub_u32_e32 v20, 30, v20
	v_and_b32_e32 v14, 3, v14
	v_cmp_eq_u16_e32 vcc, 0, v17
	v_cndmask_b32_e32 v14, v16, v14, vcc
	v_cndmask_b32_e32 v16, v17, v20, vcc
	v_lshlrev_b32_e32 v17, 16, v12
	v_mov_b32_e32 v20, 0x37800000
	v_lshlrev_b32_e32 v14, 21, v14
	v_and_b32_e32 v17, 0x80000000, v17
	v_lshl_add_u32 v16, v16, 23, v20
	v_or3_b32 v16, v17, v16, v14
.LBB1_1488:
	s_or_b64 exec, exec, s[6:7]
	s_nop 0
	v_mfma_f32_16x16x4f32 a[0:3], v13, v16, a[0:3]
	s_movk_i32 s4, 0xff
	v_and_b32_sdwa v14, v18, s4 dst_sel:DWORD dst_unused:UNUSED_PAD src0_sel:WORD_1 src1_sel:DWORD
	s_movk_i32 s4, 0x7f
	v_cmp_lt_i16_e32 vcc, s4, v14
	s_mov_b64 s[4:5], 0
                                        ; implicit-def: $sgpr10
	s_and_saveexec_b64 s[6:7], vcc
	s_xor_b64 s[6:7], exec, s[6:7]
	s_cbranch_execz .LBB1_1489
; %bb.11481:
	s_getpc_b64 s[14:15]
.Lpost_getpc1644:
	s_add_u32 s14, s14, (.LBB1_5585-.Lpost_getpc1644)&4294967295
	s_addc_u32 s15, s15, (.LBB1_5585-.Lpost_getpc1644)>>32
	s_setpc_b64 s[14:15]
.LBB1_1489:
	s_or_saveexec_b64 s[6:7], s[6:7]
	v_mov_b32_e32 v13, s10
	s_xor_b64 exec, exec, s[6:7]
	s_cbranch_execz .LBB1_1490
; %bb.11483:
	s_getpc_b64 s[14:15]
.Lpost_getpc1645:
	s_add_u32 s14, s14, (.LBB1_5588-.Lpost_getpc1645)&4294967295
	s_addc_u32 s15, s15, (.LBB1_5588-.Lpost_getpc1645)>>32
	s_setpc_b64 s[14:15]
.LBB1_1490:
	s_or_b64 exec, exec, s[6:7]
	s_and_saveexec_b64 s[6:7], s[4:5]
	s_cbranch_execz .LBB1_1492
.LBB1_1491:
	v_bfe_u32 v13, v18, 16, 3
	v_ffbh_u32_e32 v17, v13
	v_min_u32_e32 v17, 32, v17
	v_lshrrev_b32_e32 v14, 19, v18
	v_subrev_u32_e32 v20, 28, v17
	v_and_b32_e32 v14, 15, v14
	v_lshlrev_b32_sdwa v20, v20, v18 dst_sel:DWORD dst_unused:UNUSED_PAD src0_sel:DWORD src1_sel:WORD_1
	v_bfe_u32 v16, v18, 19, 4
	v_sub_u32_e32 v17, 29, v17
	v_and_b32_e32 v20, 7, v20
	v_cmp_eq_u16_e32 vcc, 0, v14
	v_cndmask_b32_e32 v13, v13, v20, vcc
	v_cndmask_b32_e32 v14, v16, v17, vcc
	v_lshlrev_b32_e32 v16, 8, v18
	v_mov_b32_e32 v17, 0x3b800000
	v_lshlrev_b32_e32 v13, 20, v13
	v_and_b32_e32 v16, 0x80000000, v16
	v_lshl_add_u32 v14, v14, 23, v17
	v_or3_b32 v13, v16, v14, v13
.LBB1_1492:
	s_or_b64 exec, exec, s[6:7]
	s_movk_i32 s4, 0xff
	v_and_b32_sdwa v14, v12, s4 dst_sel:DWORD dst_unused:UNUSED_PAD src0_sel:WORD_1 src1_sel:DWORD
	s_movk_i32 s4, 0x7f
	v_cmp_lt_i16_e32 vcc, s4, v14
	s_mov_b64 s[4:5], 0
                                        ; implicit-def: $sgpr10
	s_and_saveexec_b64 s[6:7], vcc
	s_xor_b64 s[6:7], exec, s[6:7]
	s_cbranch_execz .LBB1_1493
; %bb.11485:
	s_getpc_b64 s[14:15]
.Lpost_getpc1646:
	s_add_u32 s14, s14, (.LBB1_5589-.Lpost_getpc1646)&4294967295
	s_addc_u32 s15, s15, (.LBB1_5589-.Lpost_getpc1646)>>32
	s_setpc_b64 s[14:15]
.LBB1_1493:
	s_or_saveexec_b64 s[6:7], s[6:7]
	v_mov_b32_e32 v16, s10
	s_xor_b64 exec, exec, s[6:7]
	s_cbranch_execz .LBB1_1494
; %bb.11487:
	s_getpc_b64 s[14:15]
.Lpost_getpc1647:
	s_add_u32 s14, s14, (.LBB1_5592-.Lpost_getpc1647)&4294967295
	s_addc_u32 s15, s15, (.LBB1_5592-.Lpost_getpc1647)>>32
	s_setpc_b64 s[14:15]
.LBB1_1494:
	s_or_b64 exec, exec, s[6:7]
	s_and_saveexec_b64 s[6:7], s[4:5]
	s_cbranch_execz .LBB1_1496
.LBB1_1495:
	v_bfe_u32 v14, v12, 16, 2
	v_ffbh_u32_e32 v20, v14
	v_min_u32_e32 v20, 32, v20
	v_lshrrev_b32_e32 v16, 18, v12
	v_subrev_u32_e32 v21, 29, v20
	v_and_b32_e32 v16, 31, v16
	v_lshlrev_b32_sdwa v21, v21, v12 dst_sel:DWORD dst_unused:UNUSED_PAD src0_sel:DWORD src1_sel:WORD_1
	v_bfe_u32 v17, v12, 18, 5
	v_sub_u32_e32 v20, 30, v20
	v_and_b32_e32 v21, 3, v21
	v_cmp_eq_u16_e32 vcc, 0, v16
	v_cndmask_b32_e32 v14, v14, v21, vcc
	v_cndmask_b32_e32 v16, v17, v20, vcc
	v_lshlrev_b32_e32 v17, 8, v12
	v_mov_b32_e32 v20, 0x37800000
	v_lshlrev_b32_e32 v14, 21, v14
	v_and_b32_e32 v17, 0x80000000, v17
	v_lshl_add_u32 v16, v16, 23, v20
	v_or3_b32 v16, v17, v16, v14
.LBB1_1496:
	s_or_b64 exec, exec, s[6:7]
	s_nop 0
	v_mfma_f32_16x16x4f32 a[0:3], v13, v16, a[0:3]
	s_movk_i32 s4, 0x7f
	v_cmp_gt_i16_sdwa s[6:7], v18, s4 src0_sel:BYTE_3 src1_sel:DWORD
	s_mov_b64 s[4:5], 0
                                        ; implicit-def: $sgpr10
	s_and_saveexec_b64 s[8:9], s[6:7]
	s_xor_b64 s[6:7], exec, s[8:9]
	s_cbranch_execz .LBB1_1497
; %bb.11489:
	s_getpc_b64 s[14:15]
.Lpost_getpc1648:
	s_add_u32 s14, s14, (.LBB1_5593-.Lpost_getpc1648)&4294967295
	s_addc_u32 s15, s15, (.LBB1_5593-.Lpost_getpc1648)>>32
	s_setpc_b64 s[14:15]
.LBB1_1497:
	s_or_saveexec_b64 s[6:7], s[6:7]
	v_mov_b32_e32 v13, s10
	s_xor_b64 exec, exec, s[6:7]
	s_cbranch_execz .LBB1_1498
; %bb.11491:
	s_getpc_b64 s[14:15]
.Lpost_getpc1649:
	s_add_u32 s14, s14, (.LBB1_5596-.Lpost_getpc1649)&4294967295
	s_addc_u32 s15, s15, (.LBB1_5596-.Lpost_getpc1649)>>32
	s_setpc_b64 s[14:15]
.LBB1_1498:
	s_or_b64 exec, exec, s[6:7]
	s_and_saveexec_b64 s[6:7], s[4:5]
	s_cbranch_execz .LBB1_1500
.LBB1_1499:
	v_bfe_u32 v13, v18, 24, 3
	v_ffbh_u32_e32 v20, v13
	v_min_u32_e32 v20, 32, v20
	v_lshrrev_b32_e32 v16, 27, v18
	v_subrev_u32_e32 v21, 28, v20
	v_and_b32_e32 v14, 0x80000000, v18
	v_and_b32_e32 v16, 15, v16
	v_bfe_u32 v17, v18, 27, 4
	v_lshlrev_b32_sdwa v18, v21, v18 dst_sel:DWORD dst_unused:UNUSED_PAD src0_sel:DWORD src1_sel:BYTE_3
	v_sub_u32_e32 v20, 29, v20
	v_and_b32_e32 v18, 7, v18
	v_cmp_eq_u16_e32 vcc, 0, v16
	v_cndmask_b32_e32 v13, v13, v18, vcc
	v_cndmask_b32_e32 v16, v17, v20, vcc
	v_mov_b32_e32 v17, 0x3b800000
	v_lshlrev_b32_e32 v13, 20, v13
	v_lshl_add_u32 v16, v16, 23, v17
	v_or3_b32 v13, v14, v16, v13
.LBB1_1500:
	s_or_b64 exec, exec, s[6:7]
	s_movk_i32 s4, 0x7f
	v_cmp_gt_i16_sdwa s[6:7], v12, s4 src0_sel:BYTE_3 src1_sel:DWORD
	s_mov_b64 s[4:5], 0
                                        ; implicit-def: $sgpr10
	s_and_saveexec_b64 s[8:9], s[6:7]
	s_xor_b64 s[6:7], exec, s[8:9]
	s_cbranch_execz .LBB1_1501
; %bb.11493:
	s_getpc_b64 s[14:15]
.Lpost_getpc1650:
	s_add_u32 s14, s14, (.LBB1_5597-.Lpost_getpc1650)&4294967295
	s_addc_u32 s15, s15, (.LBB1_5597-.Lpost_getpc1650)>>32
	s_setpc_b64 s[14:15]
.LBB1_1501:
	s_or_saveexec_b64 s[6:7], s[6:7]
	v_mov_b32_e32 v14, s10
	s_xor_b64 exec, exec, s[6:7]
	s_cbranch_execz .LBB1_1502
; %bb.11495:
	s_getpc_b64 s[14:15]
.Lpost_getpc1651:
	s_add_u32 s14, s14, (.LBB1_5600-.Lpost_getpc1651)&4294967295
	s_addc_u32 s15, s15, (.LBB1_5600-.Lpost_getpc1651)>>32
	s_setpc_b64 s[14:15]
.LBB1_1502:
	s_or_b64 exec, exec, s[6:7]
	s_and_saveexec_b64 s[6:7], s[4:5]
	s_cbranch_execz .LBB1_1504
.LBB1_1503:
	v_bfe_u32 v14, v12, 24, 2
	v_ffbh_u32_e32 v20, v14
	v_min_u32_e32 v20, 32, v20
	v_lshrrev_b32_e32 v17, 26, v12
	v_subrev_u32_e32 v21, 29, v20
	v_and_b32_e32 v16, 0x80000000, v12
	v_and_b32_e32 v17, 31, v17
	v_bfe_u32 v18, v12, 26, 5
	v_lshlrev_b32_sdwa v12, v21, v12 dst_sel:DWORD dst_unused:UNUSED_PAD src0_sel:DWORD src1_sel:BYTE_3
	v_sub_u32_e32 v20, 30, v20
	v_and_b32_e32 v12, 3, v12
	v_cmp_eq_u16_e32 vcc, 0, v17
	v_cndmask_b32_e32 v12, v14, v12, vcc
	v_cndmask_b32_e32 v14, v18, v20, vcc
	v_mov_b32_e32 v17, 0x37800000
	v_lshlrev_b32_e32 v12, 21, v12
	v_lshl_add_u32 v14, v14, 23, v17
	v_or3_b32 v14, v16, v14, v12
.LBB1_1504:
	s_or_b64 exec, exec, s[6:7]
	s_nop 0
	v_mfma_f32_16x16x4f32 a[0:3], v13, v14, a[0:3]
	s_movk_i32 s4, 0x7f
	v_cmp_gt_i16_sdwa s[6:7], v19, s4 src0_sel:BYTE_0 src1_sel:DWORD
	s_mov_b64 s[4:5], 0
                                        ; implicit-def: $sgpr10
	s_and_saveexec_b64 s[8:9], s[6:7]
	s_xor_b64 s[6:7], exec, s[8:9]
	s_cbranch_execz .LBB1_1505
; %bb.11497:
	s_getpc_b64 s[14:15]
.Lpost_getpc1652:
	s_add_u32 s14, s14, (.LBB1_5601-.Lpost_getpc1652)&4294967295
	s_addc_u32 s15, s15, (.LBB1_5601-.Lpost_getpc1652)>>32
	s_setpc_b64 s[14:15]
.LBB1_1505:
	s_or_saveexec_b64 s[6:7], s[6:7]
	v_mov_b32_e32 v12, s10
	s_xor_b64 exec, exec, s[6:7]
	s_cbranch_execz .LBB1_1506
; %bb.11499:
	s_getpc_b64 s[14:15]
.Lpost_getpc1653:
	s_add_u32 s14, s14, (.LBB1_5604-.Lpost_getpc1653)&4294967295
	s_addc_u32 s15, s15, (.LBB1_5604-.Lpost_getpc1653)>>32
	s_setpc_b64 s[14:15]
.LBB1_1506:
	s_or_b64 exec, exec, s[6:7]
	s_and_saveexec_b64 s[6:7], s[4:5]
	s_cbranch_execz .LBB1_1508
.LBB1_1507:
	v_mov_b32_e32 v12, 8
	v_and_b32_e32 v13, 7, v19
	v_lshrrev_b32_sdwa v12, v12, v19 dst_sel:BYTE_1 dst_unused:UNUSED_PAD src0_sel:DWORD src1_sel:DWORD
	v_ffbh_u32_e32 v14, v13
	v_or_b32_sdwa v12, v19, v12 dst_sel:DWORD dst_unused:UNUSED_PAD src0_sel:BYTE_0 src1_sel:DWORD
	v_min_u32_e32 v14, 32, v14
	v_lshrrev_b16_e32 v12, 3, v12
	v_subrev_u32_e32 v16, 28, v14
	v_and_b32_e32 v12, 15, v12
	v_lshlrev_b32_e32 v16, v16, v19
	v_sub_u32_e32 v14, 29, v14
	v_and_b32_e32 v16, 7, v16
	v_cmp_eq_u16_e32 vcc, 0, v12
	v_cndmask_b32_e32 v13, v13, v16, vcc
	v_cndmask_b32_e32 v12, v12, v14, vcc
	v_lshlrev_b32_e32 v14, 24, v19
	v_mov_b32_e32 v16, 0x3b800000
	v_lshlrev_b32_e32 v13, 20, v13
	v_and_b32_e32 v14, 0x80000000, v14
	v_lshl_add_u32 v12, v12, 23, v16
	v_or3_b32 v12, v14, v12, v13
.LBB1_1508:
	s_or_b64 exec, exec, s[6:7]
	s_movk_i32 s4, 0x7f
	v_cmp_gt_i16_sdwa s[6:7], v15, s4 src0_sel:BYTE_0 src1_sel:DWORD
	s_mov_b64 s[4:5], 0
                                        ; implicit-def: $sgpr10
	s_and_saveexec_b64 s[8:9], s[6:7]
	s_xor_b64 s[6:7], exec, s[8:9]
	s_cbranch_execz .LBB1_1509
; %bb.11501:
	s_getpc_b64 s[14:15]
.Lpost_getpc1654:
	s_add_u32 s14, s14, (.LBB1_5605-.Lpost_getpc1654)&4294967295
	s_addc_u32 s15, s15, (.LBB1_5605-.Lpost_getpc1654)>>32
	s_setpc_b64 s[14:15]
.LBB1_1509:
	s_or_saveexec_b64 s[6:7], s[6:7]
	v_mov_b32_e32 v13, s10
	s_xor_b64 exec, exec, s[6:7]
	s_cbranch_execz .LBB1_1510
; %bb.11503:
	s_getpc_b64 s[14:15]
.Lpost_getpc1655:
	s_add_u32 s14, s14, (.LBB1_5608-.Lpost_getpc1655)&4294967295
	s_addc_u32 s15, s15, (.LBB1_5608-.Lpost_getpc1655)>>32
	s_setpc_b64 s[14:15]
.LBB1_1510:
	s_or_b64 exec, exec, s[6:7]
	s_and_saveexec_b64 s[6:7], s[4:5]
	s_cbranch_execz .LBB1_1512
.LBB1_1511:
	v_and_b32_e32 v13, 3, v15
	v_ffbh_u32_e32 v16, v13
	v_min_u32_e32 v16, 32, v16
	v_lshrrev_b16_e32 v14, 2, v15
	v_subrev_u32_e32 v17, 29, v16
	v_and_b32_e32 v14, 31, v14
	v_lshlrev_b32_e32 v17, v17, v15
	v_sub_u32_e32 v16, 30, v16
	v_and_b32_e32 v17, 3, v17
	v_cmp_eq_u16_e32 vcc, 0, v14
	v_cndmask_b32_e32 v13, v13, v17, vcc
	v_cndmask_b32_e32 v14, v14, v16, vcc
	v_lshlrev_b32_e32 v16, 24, v15
	v_mov_b32_e32 v17, 0x37800000
	v_lshlrev_b32_e32 v13, 21, v13
	v_and_b32_e32 v16, 0x80000000, v16
	v_lshl_add_u32 v14, v14, 23, v17
	v_or3_b32 v13, v16, v14, v13
.LBB1_1512:
	s_or_b64 exec, exec, s[6:7]
	s_nop 0
	v_mfma_f32_16x16x4f32 a[0:3], v12, v13, a[0:3]
	v_lshrrev_b32_e32 v13, 8, v19
	s_movk_i32 s4, 0x7f
	v_cmp_gt_i16_sdwa s[6:7], v13, s4 src0_sel:BYTE_0 src1_sel:DWORD
	s_mov_b64 s[4:5], 0
                                        ; implicit-def: $sgpr10
	s_and_saveexec_b64 s[8:9], s[6:7]
	s_xor_b64 s[6:7], exec, s[8:9]
	s_cbranch_execz .LBB1_1513
; %bb.11505:
	s_getpc_b64 s[14:15]
.Lpost_getpc1656:
	s_add_u32 s14, s14, (.LBB1_5609-.Lpost_getpc1656)&4294967295
	s_addc_u32 s15, s15, (.LBB1_5609-.Lpost_getpc1656)>>32
	s_setpc_b64 s[14:15]
.LBB1_1513:
	s_or_saveexec_b64 s[6:7], s[6:7]
	v_mov_b32_e32 v12, s10
	s_xor_b64 exec, exec, s[6:7]
	s_cbranch_execz .LBB1_1514
; %bb.11507:
	s_getpc_b64 s[14:15]
.Lpost_getpc1657:
	s_add_u32 s14, s14, (.LBB1_5612-.Lpost_getpc1657)&4294967295
	s_addc_u32 s15, s15, (.LBB1_5612-.Lpost_getpc1657)>>32
	s_setpc_b64 s[14:15]
.LBB1_1514:
	s_or_b64 exec, exec, s[6:7]
	s_and_saveexec_b64 s[6:7], s[4:5]
	s_cbranch_execz .LBB1_1516
.LBB1_1515:
	v_bfe_u32 v12, v19, 8, 3
	v_ffbh_u32_e32 v16, v12
	v_min_u32_e32 v16, 32, v16
	v_lshrrev_b16_e32 v14, 3, v13
	v_subrev_u32_e32 v17, 28, v16
	v_and_b32_e32 v14, 15, v14
	v_lshlrev_b32_e32 v13, v17, v13
	v_sub_u32_e32 v16, 29, v16
	v_and_b32_e32 v13, 7, v13
	v_cmp_eq_u16_e32 vcc, 0, v14
	v_cndmask_b32_e32 v12, v12, v13, vcc
	v_cndmask_b32_e32 v13, v14, v16, vcc
	v_lshlrev_b32_e32 v14, 16, v19
	v_mov_b32_e32 v16, 0x3b800000
	v_lshlrev_b32_e32 v12, 20, v12
	v_and_b32_e32 v14, 0x80000000, v14
	v_lshl_add_u32 v13, v13, 23, v16
	v_or3_b32 v12, v14, v13, v12
.LBB1_1516:
	s_or_b64 exec, exec, s[6:7]
	v_lshrrev_b32_e32 v13, 8, v15
	s_movk_i32 s4, 0x7f
	v_cmp_gt_i16_sdwa s[6:7], v13, s4 src0_sel:BYTE_0 src1_sel:DWORD
	s_mov_b64 s[4:5], 0
                                        ; implicit-def: $sgpr10
	s_and_saveexec_b64 s[8:9], s[6:7]
	s_xor_b64 s[6:7], exec, s[8:9]
	s_cbranch_execz .LBB1_1517
; %bb.11509:
	s_getpc_b64 s[14:15]
.Lpost_getpc1658:
	s_add_u32 s14, s14, (.LBB1_5613-.Lpost_getpc1658)&4294967295
	s_addc_u32 s15, s15, (.LBB1_5613-.Lpost_getpc1658)>>32
	s_setpc_b64 s[14:15]
.LBB1_1517:
	s_or_saveexec_b64 s[6:7], s[6:7]
	v_mov_b32_e32 v14, s10
	s_xor_b64 exec, exec, s[6:7]
	s_cbranch_execz .LBB1_1518
; %bb.11511:
	s_getpc_b64 s[14:15]
.Lpost_getpc1659:
	s_add_u32 s14, s14, (.LBB1_5616-.Lpost_getpc1659)&4294967295
	s_addc_u32 s15, s15, (.LBB1_5616-.Lpost_getpc1659)>>32
	s_setpc_b64 s[14:15]
.LBB1_1518:
	s_or_b64 exec, exec, s[6:7]
	s_and_saveexec_b64 s[6:7], s[4:5]
	s_cbranch_execz .LBB1_1520
.LBB1_1519:
	v_bfe_u32 v14, v15, 8, 2
	v_ffbh_u32_e32 v17, v14
	v_min_u32_e32 v17, 32, v17
	v_lshrrev_b16_e32 v16, 2, v13
	v_subrev_u32_e32 v18, 29, v17
	v_and_b32_e32 v16, 31, v16
	v_lshlrev_b32_e32 v13, v18, v13
	v_sub_u32_e32 v17, 30, v17
	v_and_b32_e32 v13, 3, v13
	v_cmp_eq_u16_e32 vcc, 0, v16
	v_cndmask_b32_e32 v13, v14, v13, vcc
	v_cndmask_b32_e32 v14, v16, v17, vcc
	v_lshlrev_b32_e32 v16, 16, v15
	v_mov_b32_e32 v17, 0x37800000
	v_lshlrev_b32_e32 v13, 21, v13
	v_and_b32_e32 v16, 0x80000000, v16
	v_lshl_add_u32 v14, v14, 23, v17
	v_or3_b32 v14, v16, v14, v13
.LBB1_1520:
	s_or_b64 exec, exec, s[6:7]
	s_nop 0
	v_mfma_f32_16x16x4f32 a[0:3], v12, v14, a[0:3]
	s_movk_i32 s4, 0xff
	v_and_b32_sdwa v13, v19, s4 dst_sel:DWORD dst_unused:UNUSED_PAD src0_sel:WORD_1 src1_sel:DWORD
	s_movk_i32 s4, 0x7f
	v_cmp_lt_i16_e32 vcc, s4, v13
	s_mov_b64 s[4:5], 0
                                        ; implicit-def: $sgpr10
	s_and_saveexec_b64 s[6:7], vcc
	s_xor_b64 s[6:7], exec, s[6:7]
	s_cbranch_execz .LBB1_1521
; %bb.11513:
	s_getpc_b64 s[14:15]
.Lpost_getpc1660:
	s_add_u32 s14, s14, (.LBB1_5617-.Lpost_getpc1660)&4294967295
	s_addc_u32 s15, s15, (.LBB1_5617-.Lpost_getpc1660)>>32
	s_setpc_b64 s[14:15]
.LBB1_1521:
	s_or_saveexec_b64 s[6:7], s[6:7]
	v_mov_b32_e32 v12, s10
	s_xor_b64 exec, exec, s[6:7]
	s_cbranch_execz .LBB1_1522
; %bb.11515:
	s_getpc_b64 s[14:15]
.Lpost_getpc1661:
	s_add_u32 s14, s14, (.LBB1_5620-.Lpost_getpc1661)&4294967295
	s_addc_u32 s15, s15, (.LBB1_5620-.Lpost_getpc1661)>>32
	s_setpc_b64 s[14:15]
.LBB1_1522:
	s_or_b64 exec, exec, s[6:7]
	s_and_saveexec_b64 s[6:7], s[4:5]
	s_cbranch_execz .LBB1_1524
.LBB1_1523:
	v_bfe_u32 v12, v19, 16, 3
	v_ffbh_u32_e32 v16, v12
	v_min_u32_e32 v16, 32, v16
	v_lshrrev_b32_e32 v13, 19, v19
	v_subrev_u32_e32 v17, 28, v16
	v_and_b32_e32 v13, 15, v13
	v_lshlrev_b32_sdwa v17, v17, v19 dst_sel:DWORD dst_unused:UNUSED_PAD src0_sel:DWORD src1_sel:WORD_1
	v_bfe_u32 v14, v19, 19, 4
	v_sub_u32_e32 v16, 29, v16
	v_and_b32_e32 v17, 7, v17
	v_cmp_eq_u16_e32 vcc, 0, v13
	v_cndmask_b32_e32 v12, v12, v17, vcc
	v_cndmask_b32_e32 v13, v14, v16, vcc
	v_lshlrev_b32_e32 v14, 8, v19
	v_mov_b32_e32 v16, 0x3b800000
	v_lshlrev_b32_e32 v12, 20, v12
	v_and_b32_e32 v14, 0x80000000, v14
	v_lshl_add_u32 v13, v13, 23, v16
	v_or3_b32 v12, v14, v13, v12
.LBB1_1524:
	s_or_b64 exec, exec, s[6:7]
	s_movk_i32 s4, 0xff
	v_and_b32_sdwa v13, v15, s4 dst_sel:DWORD dst_unused:UNUSED_PAD src0_sel:WORD_1 src1_sel:DWORD
	s_movk_i32 s4, 0x7f
	v_cmp_lt_i16_e32 vcc, s4, v13
	s_mov_b64 s[4:5], 0
                                        ; implicit-def: $sgpr10
	s_and_saveexec_b64 s[6:7], vcc
	s_xor_b64 s[6:7], exec, s[6:7]
	s_cbranch_execz .LBB1_1525
; %bb.11517:
	s_getpc_b64 s[14:15]
.Lpost_getpc1662:
	s_add_u32 s14, s14, (.LBB1_5621-.Lpost_getpc1662)&4294967295
	s_addc_u32 s15, s15, (.LBB1_5621-.Lpost_getpc1662)>>32
	s_setpc_b64 s[14:15]
.LBB1_1525:
	s_or_saveexec_b64 s[6:7], s[6:7]
	v_mov_b32_e32 v14, s10
	s_xor_b64 exec, exec, s[6:7]
	s_cbranch_execz .LBB1_1526
; %bb.11519:
	s_getpc_b64 s[14:15]
.Lpost_getpc1663:
	s_add_u32 s14, s14, (.LBB1_5624-.Lpost_getpc1663)&4294967295
	s_addc_u32 s15, s15, (.LBB1_5624-.Lpost_getpc1663)>>32
	s_setpc_b64 s[14:15]
.LBB1_1526:
	s_or_b64 exec, exec, s[6:7]
	s_and_saveexec_b64 s[6:7], s[4:5]
	s_cbranch_execz .LBB1_1528
.LBB1_1527:
	v_bfe_u32 v13, v15, 16, 2
	v_ffbh_u32_e32 v17, v13
	v_min_u32_e32 v17, 32, v17
	v_lshrrev_b32_e32 v14, 18, v15
	v_subrev_u32_e32 v18, 29, v17
	v_and_b32_e32 v14, 31, v14
	v_lshlrev_b32_sdwa v18, v18, v15 dst_sel:DWORD dst_unused:UNUSED_PAD src0_sel:DWORD src1_sel:WORD_1
	v_bfe_u32 v16, v15, 18, 5
	v_sub_u32_e32 v17, 30, v17
	v_and_b32_e32 v18, 3, v18
	v_cmp_eq_u16_e32 vcc, 0, v14
	v_cndmask_b32_e32 v13, v13, v18, vcc
	v_cndmask_b32_e32 v14, v16, v17, vcc
	v_lshlrev_b32_e32 v16, 8, v15
	v_mov_b32_e32 v17, 0x37800000
	v_lshlrev_b32_e32 v13, 21, v13
	v_and_b32_e32 v16, 0x80000000, v16
	v_lshl_add_u32 v14, v14, 23, v17
	v_or3_b32 v14, v16, v14, v13
.LBB1_1528:
	s_or_b64 exec, exec, s[6:7]
	s_nop 0
	v_mfma_f32_16x16x4f32 a[0:3], v12, v14, a[0:3]
	s_movk_i32 s4, 0x7f
	v_cmp_gt_i16_sdwa s[6:7], v19, s4 src0_sel:BYTE_3 src1_sel:DWORD
	s_mov_b64 s[4:5], 0
                                        ; implicit-def: $sgpr10
	s_and_saveexec_b64 s[8:9], s[6:7]
	s_xor_b64 s[6:7], exec, s[8:9]
	s_cbranch_execz .LBB1_1529
; %bb.11521:
	s_getpc_b64 s[14:15]
.Lpost_getpc1664:
	s_add_u32 s14, s14, (.LBB1_5625-.Lpost_getpc1664)&4294967295
	s_addc_u32 s15, s15, (.LBB1_5625-.Lpost_getpc1664)>>32
	s_setpc_b64 s[14:15]
.LBB1_1529:
	s_or_saveexec_b64 s[6:7], s[6:7]
	v_mov_b32_e32 v12, s10
	s_xor_b64 exec, exec, s[6:7]
	s_cbranch_execz .LBB1_1530
; %bb.11523:
	s_getpc_b64 s[14:15]
.Lpost_getpc1665:
	s_add_u32 s14, s14, (.LBB1_5628-.Lpost_getpc1665)&4294967295
	s_addc_u32 s15, s15, (.LBB1_5628-.Lpost_getpc1665)>>32
	s_setpc_b64 s[14:15]
.LBB1_1530:
	s_or_b64 exec, exec, s[6:7]
	s_and_saveexec_b64 s[6:7], s[4:5]
	s_cbranch_execz .LBB1_1532
.LBB1_1531:
	v_bfe_u32 v12, v19, 24, 3
	v_ffbh_u32_e32 v17, v12
	v_min_u32_e32 v17, 32, v17
	v_lshrrev_b32_e32 v14, 27, v19
	v_subrev_u32_e32 v18, 28, v17
	v_and_b32_e32 v14, 15, v14
	v_lshlrev_b32_sdwa v18, v18, v19 dst_sel:DWORD dst_unused:UNUSED_PAD src0_sel:DWORD src1_sel:BYTE_3
	v_bfe_u32 v16, v19, 27, 4
	v_sub_u32_e32 v17, 29, v17
	v_and_b32_e32 v18, 7, v18
	v_cmp_eq_u16_e32 vcc, 0, v14
	v_cndmask_b32_e32 v12, v12, v18, vcc
	v_cndmask_b32_e32 v14, v16, v17, vcc
	v_mov_b32_e32 v16, 0x3b800000
	v_and_b32_e32 v13, 0x80000000, v19
	v_lshlrev_b32_e32 v12, 20, v12
	v_lshl_add_u32 v14, v14, 23, v16
	v_or3_b32 v12, v13, v14, v12
.LBB1_1532:
	s_or_b64 exec, exec, s[6:7]
	s_movk_i32 s4, 0x7f
	v_cmp_gt_i16_sdwa s[6:7], v15, s4 src0_sel:BYTE_3 src1_sel:DWORD
	s_mov_b64 s[4:5], 0
                                        ; implicit-def: $sgpr10
	s_and_saveexec_b64 s[8:9], s[6:7]
	s_xor_b64 s[6:7], exec, s[8:9]
	s_cbranch_execz .LBB1_1533
; %bb.11525:
	s_getpc_b64 s[14:15]
.Lpost_getpc1666:
	s_add_u32 s14, s14, (.LBB1_5629-.Lpost_getpc1666)&4294967295
	s_addc_u32 s15, s15, (.LBB1_5629-.Lpost_getpc1666)>>32
	s_setpc_b64 s[14:15]
.LBB1_1533:
	s_or_saveexec_b64 s[6:7], s[6:7]
	v_mov_b32_e32 v13, s10
	s_xor_b64 exec, exec, s[6:7]
	s_cbranch_execz .LBB1_1534
; %bb.11527:
	s_getpc_b64 s[14:15]
.Lpost_getpc1667:
	s_add_u32 s14, s14, (.LBB1_5632-.Lpost_getpc1667)&4294967295
	s_addc_u32 s15, s15, (.LBB1_5632-.Lpost_getpc1667)>>32
	s_setpc_b64 s[14:15]
.LBB1_1534:
	s_or_b64 exec, exec, s[6:7]
	s_and_saveexec_b64 s[6:7], s[4:5]
	s_cbranch_execz .LBB1_1536
.LBB1_1535:
	v_bfe_u32 v13, v15, 24, 2
	v_ffbh_u32_e32 v18, v13
	v_min_u32_e32 v18, 32, v18
	v_lshrrev_b32_e32 v16, 26, v15
	v_subrev_u32_e32 v19, 29, v18
	v_and_b32_e32 v14, 0x80000000, v15
	v_and_b32_e32 v16, 31, v16
	v_bfe_u32 v17, v15, 26, 5
	v_lshlrev_b32_sdwa v15, v19, v15 dst_sel:DWORD dst_unused:UNUSED_PAD src0_sel:DWORD src1_sel:BYTE_3
	v_sub_u32_e32 v18, 30, v18
	v_and_b32_e32 v15, 3, v15
	v_cmp_eq_u16_e32 vcc, 0, v16
	v_cndmask_b32_e32 v13, v13, v15, vcc
	v_cndmask_b32_e32 v15, v17, v18, vcc
	v_mov_b32_e32 v16, 0x37800000
	v_lshlrev_b32_e32 v13, 21, v13
	v_lshl_add_u32 v15, v15, 23, v16
	v_or3_b32 v13, v14, v15, v13
.LBB1_1536:
	s_or_b64 exec, exec, s[6:7]
	s_nop 0
	v_mfma_f32_16x16x4f32 a[0:3], v12, v13, a[0:3]
	v_mov_b32_e32 v16, 8
	s_movk_i32 s4, 0x7f
                                        ; implicit-def: $sgpr10
	s_nop 7
	s_nop 0
	flat_store_dwordx4 v[10:11], a[0:3] offset:176
	flat_load_dword v14, v[0:1] offset:512
	flat_load_dwordx2 v[12:13], v[2:3]
	s_waitcnt vmcnt(0) lgkmcnt(0)
	v_ashrrev_i32_e32 v15, 31, v14
	v_add_co_u32_e32 v12, vcc, v12, v14
	v_addc_co_u32_e32 v13, vcc, v13, v15, vcc
	flat_load_dwordx4 v[12:15], v[12:13] offset:1536
	s_waitcnt vmcnt(0) lgkmcnt(0)
	flat_store_dwordx4 v[4:5], v[12:15]
	flat_load_dword v14, v[0:1] offset:544
	s_nop 0
	flat_load_dwordx2 v[12:13], v[6:7]
	s_waitcnt vmcnt(0) lgkmcnt(0)
	v_ashrrev_i32_e32 v15, 31, v14
	v_add_co_u32_e32 v12, vcc, v12, v14
	v_addc_co_u32_e32 v13, vcc, v13, v15, vcc
	flat_load_dwordx4 v[12:15], v[12:13]
	s_waitcnt vmcnt(0) lgkmcnt(0)
	v_lshrrev_b32_sdwa v20, v16, v14 dst_sel:BYTE_1 dst_unused:UNUSED_PAD src0_sel:DWORD src1_sel:DWORD
	flat_store_dwordx4 v[8:9], v[12:15]
	flat_load_dwordx4 v[16:19], v[4:5]
	s_waitcnt vmcnt(0) lgkmcnt(0)
	v_cmp_gt_i16_sdwa s[6:7], v16, s4 src0_sel:BYTE_0 src1_sel:DWORD
	s_mov_b64 s[4:5], 0
	s_and_saveexec_b64 s[8:9], s[6:7]
	s_xor_b64 s[6:7], exec, s[8:9]
	s_cbranch_execz .LBB1_1537
; %bb.11529:
	s_getpc_b64 s[14:15]
.Lpost_getpc1668:
	s_add_u32 s14, s14, (.LBB1_5633-.Lpost_getpc1668)&4294967295
	s_addc_u32 s15, s15, (.LBB1_5633-.Lpost_getpc1668)>>32
	s_setpc_b64 s[14:15]
.LBB1_1537:
	s_or_saveexec_b64 s[6:7], s[6:7]
	v_mov_b32_e32 v21, s10
	s_xor_b64 exec, exec, s[6:7]
	s_cbranch_execz .LBB1_1538
; %bb.11531:
	s_getpc_b64 s[14:15]
.Lpost_getpc1669:
	s_add_u32 s14, s14, (.LBB1_5636-.Lpost_getpc1669)&4294967295
	s_addc_u32 s15, s15, (.LBB1_5636-.Lpost_getpc1669)>>32
	s_setpc_b64 s[14:15]
.LBB1_1538:
	s_or_b64 exec, exec, s[6:7]
	s_and_saveexec_b64 s[6:7], s[4:5]
	s_cbranch_execz .LBB1_1540
.LBB1_1539:
	v_and_b32_e32 v21, 7, v16
	v_ffbh_u32_e32 v23, v21
	v_min_u32_e32 v23, 32, v23
	v_lshrrev_b16_e32 v22, 3, v16
	v_subrev_u32_e32 v24, 28, v23
	v_and_b32_e32 v22, 15, v22
	v_lshlrev_b32_e32 v24, v24, v16
	v_sub_u32_e32 v23, 29, v23
	v_and_b32_e32 v24, 7, v24
	v_cmp_eq_u16_e32 vcc, 0, v22
	v_cndmask_b32_e32 v21, v21, v24, vcc
	v_cndmask_b32_e32 v22, v22, v23, vcc
	v_lshlrev_b32_e32 v23, 24, v16
	v_mov_b32_e32 v24, 0x3b800000
	v_lshlrev_b32_e32 v21, 20, v21
	v_and_b32_e32 v23, 0x80000000, v23
	v_lshl_add_u32 v22, v22, 23, v24
	v_or3_b32 v21, v23, v22, v21
.LBB1_1540:
	s_or_b64 exec, exec, s[6:7]
	s_movk_i32 s4, 0x7f
	v_cmp_gt_i16_sdwa s[6:7], v12, s4 src0_sel:BYTE_0 src1_sel:DWORD
	s_mov_b64 s[4:5], 0
                                        ; implicit-def: $sgpr10
	s_and_saveexec_b64 s[8:9], s[6:7]
	s_xor_b64 s[6:7], exec, s[8:9]
	s_cbranch_execz .LBB1_1541
; %bb.11533:
	s_getpc_b64 s[14:15]
.Lpost_getpc1670:
	s_add_u32 s14, s14, (.LBB1_5637-.Lpost_getpc1670)&4294967295
	s_addc_u32 s15, s15, (.LBB1_5637-.Lpost_getpc1670)>>32
	s_setpc_b64 s[14:15]
.LBB1_1541:
	s_or_saveexec_b64 s[6:7], s[6:7]
	v_mov_b32_e32 v22, s10
	s_xor_b64 exec, exec, s[6:7]
	s_cbranch_execz .LBB1_1542
; %bb.11535:
	s_getpc_b64 s[14:15]
.Lpost_getpc1671:
	s_add_u32 s14, s14, (.LBB1_5640-.Lpost_getpc1671)&4294967295
	s_addc_u32 s15, s15, (.LBB1_5640-.Lpost_getpc1671)>>32
	s_setpc_b64 s[14:15]
.LBB1_1542:
	s_or_b64 exec, exec, s[6:7]
	s_and_saveexec_b64 s[6:7], s[4:5]
	s_cbranch_execz .LBB1_1544
.LBB1_1543:
	v_and_b32_e32 v22, 3, v12
	v_ffbh_u32_e32 v24, v22
	v_min_u32_e32 v24, 32, v24
	v_lshrrev_b16_e32 v23, 2, v12
	v_subrev_u32_e32 v25, 29, v24
	v_and_b32_e32 v23, 31, v23
	v_lshlrev_b32_e32 v25, v25, v12
	v_sub_u32_e32 v24, 30, v24
	v_and_b32_e32 v25, 3, v25
	v_cmp_eq_u16_e32 vcc, 0, v23
	v_cndmask_b32_e32 v22, v22, v25, vcc
	v_cndmask_b32_e32 v23, v23, v24, vcc
	v_lshlrev_b32_e32 v24, 24, v12
	v_mov_b32_e32 v25, 0x37800000
	v_lshlrev_b32_e32 v22, 21, v22
	v_and_b32_e32 v24, 0x80000000, v24
	v_lshl_add_u32 v23, v23, 23, v25
	v_or3_b32 v22, v24, v23, v22
.LBB1_1544:
	s_or_b64 exec, exec, s[6:7]
	flat_load_dwordx4 a[0:3], v[10:11] offset:192
	s_movk_i32 s4, 0x7f
                                        ; implicit-def: $sgpr10
	s_waitcnt vmcnt(0) lgkmcnt(0)
	v_mfma_f32_16x16x4f32 a[0:3], v21, v22, a[0:3]
	v_lshrrev_b32_e32 v22, 8, v16
	v_cmp_gt_i16_sdwa s[6:7], v22, s4 src0_sel:BYTE_0 src1_sel:DWORD
	s_mov_b64 s[4:5], 0
	s_and_saveexec_b64 s[8:9], s[6:7]
	s_xor_b64 s[6:7], exec, s[8:9]
	s_cbranch_execz .LBB1_1545
; %bb.11537:
	s_getpc_b64 s[14:15]
.Lpost_getpc1672:
	s_add_u32 s14, s14, (.LBB1_5641-.Lpost_getpc1672)&4294967295
	s_addc_u32 s15, s15, (.LBB1_5641-.Lpost_getpc1672)>>32
	s_setpc_b64 s[14:15]
.LBB1_1545:
	s_or_saveexec_b64 s[6:7], s[6:7]
	v_mov_b32_e32 v21, s10
	s_xor_b64 exec, exec, s[6:7]
	s_cbranch_execz .LBB1_1546
; %bb.11539:
	s_getpc_b64 s[14:15]
.Lpost_getpc1673:
	s_add_u32 s14, s14, (.LBB1_5644-.Lpost_getpc1673)&4294967295
	s_addc_u32 s15, s15, (.LBB1_5644-.Lpost_getpc1673)>>32
	s_setpc_b64 s[14:15]
.LBB1_1546:
	s_or_b64 exec, exec, s[6:7]
	s_and_saveexec_b64 s[6:7], s[4:5]
	s_cbranch_execz .LBB1_1548
.LBB1_1547:
	v_bfe_u32 v21, v16, 8, 3
	v_ffbh_u32_e32 v24, v21
	v_min_u32_e32 v24, 32, v24
	v_lshrrev_b16_e32 v23, 3, v22
	v_subrev_u32_e32 v25, 28, v24
	v_and_b32_e32 v23, 15, v23
	v_lshlrev_b32_e32 v22, v25, v22
	v_sub_u32_e32 v24, 29, v24
	v_and_b32_e32 v22, 7, v22
	v_cmp_eq_u16_e32 vcc, 0, v23
	v_cndmask_b32_e32 v21, v21, v22, vcc
	v_cndmask_b32_e32 v22, v23, v24, vcc
	v_lshlrev_b32_e32 v23, 16, v16
	v_mov_b32_e32 v24, 0x3b800000
	v_lshlrev_b32_e32 v21, 20, v21
	v_and_b32_e32 v23, 0x80000000, v23
	v_lshl_add_u32 v22, v22, 23, v24
	v_or3_b32 v21, v23, v22, v21
.LBB1_1548:
	s_or_b64 exec, exec, s[6:7]
	v_lshrrev_b32_e32 v22, 8, v12
	s_movk_i32 s4, 0x7f
	v_cmp_gt_i16_sdwa s[6:7], v22, s4 src0_sel:BYTE_0 src1_sel:DWORD
	s_mov_b64 s[4:5], 0
                                        ; implicit-def: $sgpr10
	s_and_saveexec_b64 s[8:9], s[6:7]
	s_xor_b64 s[6:7], exec, s[8:9]
	s_cbranch_execz .LBB1_1549
; %bb.11541:
	s_getpc_b64 s[14:15]
.Lpost_getpc1674:
	s_add_u32 s14, s14, (.LBB1_5645-.Lpost_getpc1674)&4294967295
	s_addc_u32 s15, s15, (.LBB1_5645-.Lpost_getpc1674)>>32
	s_setpc_b64 s[14:15]
.LBB1_1549:
	s_or_saveexec_b64 s[6:7], s[6:7]
	v_mov_b32_e32 v23, s10
	s_xor_b64 exec, exec, s[6:7]
	s_cbranch_execz .LBB1_1550
; %bb.11543:
	s_getpc_b64 s[14:15]
.Lpost_getpc1675:
	s_add_u32 s14, s14, (.LBB1_5648-.Lpost_getpc1675)&4294967295
	s_addc_u32 s15, s15, (.LBB1_5648-.Lpost_getpc1675)>>32
	s_setpc_b64 s[14:15]
.LBB1_1550:
	s_or_b64 exec, exec, s[6:7]
	s_and_saveexec_b64 s[6:7], s[4:5]
	s_cbranch_execz .LBB1_1552
.LBB1_1551:
	v_bfe_u32 v23, v12, 8, 2
	v_ffbh_u32_e32 v25, v23
	v_min_u32_e32 v25, 32, v25
	v_lshrrev_b16_e32 v24, 2, v22
	v_subrev_u32_e32 v26, 29, v25
	v_and_b32_e32 v24, 31, v24
	v_lshlrev_b32_e32 v22, v26, v22
	v_sub_u32_e32 v25, 30, v25
	v_and_b32_e32 v22, 3, v22
	v_cmp_eq_u16_e32 vcc, 0, v24
	v_cndmask_b32_e32 v22, v23, v22, vcc
	v_cndmask_b32_e32 v23, v24, v25, vcc
	v_lshlrev_b32_e32 v24, 16, v12
	v_mov_b32_e32 v25, 0x37800000
	v_lshlrev_b32_e32 v22, 21, v22
	v_and_b32_e32 v24, 0x80000000, v24
	v_lshl_add_u32 v23, v23, 23, v25
	v_or3_b32 v23, v24, v23, v22
.LBB1_1552:
	s_or_b64 exec, exec, s[6:7]
	s_nop 0
	v_mfma_f32_16x16x4f32 a[0:3], v21, v23, a[0:3]
	s_movk_i32 s4, 0xff
	v_and_b32_sdwa v22, v16, s4 dst_sel:DWORD dst_unused:UNUSED_PAD src0_sel:WORD_1 src1_sel:DWORD
	s_movk_i32 s4, 0x7f
	v_cmp_lt_i16_e32 vcc, s4, v22
	s_mov_b64 s[4:5], 0
                                        ; implicit-def: $sgpr10
	s_and_saveexec_b64 s[6:7], vcc
	s_xor_b64 s[6:7], exec, s[6:7]
	s_cbranch_execz .LBB1_1553
; %bb.11545:
	s_getpc_b64 s[14:15]
.Lpost_getpc1676:
	s_add_u32 s14, s14, (.LBB1_5649-.Lpost_getpc1676)&4294967295
	s_addc_u32 s15, s15, (.LBB1_5649-.Lpost_getpc1676)>>32
	s_setpc_b64 s[14:15]
.LBB1_1553:
	s_or_saveexec_b64 s[6:7], s[6:7]
	v_mov_b32_e32 v21, s10
	s_xor_b64 exec, exec, s[6:7]
	s_cbranch_execz .LBB1_1554
; %bb.11547:
	s_getpc_b64 s[14:15]
.Lpost_getpc1677:
	s_add_u32 s14, s14, (.LBB1_5652-.Lpost_getpc1677)&4294967295
	s_addc_u32 s15, s15, (.LBB1_5652-.Lpost_getpc1677)>>32
	s_setpc_b64 s[14:15]
.LBB1_1554:
	s_or_b64 exec, exec, s[6:7]
	s_and_saveexec_b64 s[6:7], s[4:5]
	s_cbranch_execz .LBB1_1556
.LBB1_1555:
	v_bfe_u32 v21, v16, 16, 3
	v_ffbh_u32_e32 v24, v21
	v_min_u32_e32 v24, 32, v24
	v_lshrrev_b32_e32 v22, 19, v16
	v_subrev_u32_e32 v25, 28, v24
	v_and_b32_e32 v22, 15, v22
	v_lshlrev_b32_sdwa v25, v25, v16 dst_sel:DWORD dst_unused:UNUSED_PAD src0_sel:DWORD src1_sel:WORD_1
	v_bfe_u32 v23, v16, 19, 4
	v_sub_u32_e32 v24, 29, v24
	v_and_b32_e32 v25, 7, v25
	v_cmp_eq_u16_e32 vcc, 0, v22
	v_cndmask_b32_e32 v21, v21, v25, vcc
	v_cndmask_b32_e32 v22, v23, v24, vcc
	v_lshlrev_b32_e32 v23, 8, v16
	v_mov_b32_e32 v24, 0x3b800000
	v_lshlrev_b32_e32 v21, 20, v21
	v_and_b32_e32 v23, 0x80000000, v23
	v_lshl_add_u32 v22, v22, 23, v24
	v_or3_b32 v21, v23, v22, v21
.LBB1_1556:
	s_or_b64 exec, exec, s[6:7]
	s_movk_i32 s4, 0xff
	v_and_b32_sdwa v22, v12, s4 dst_sel:DWORD dst_unused:UNUSED_PAD src0_sel:WORD_1 src1_sel:DWORD
	s_movk_i32 s4, 0x7f
	v_cmp_lt_i16_e32 vcc, s4, v22
	s_mov_b64 s[4:5], 0
                                        ; implicit-def: $sgpr10
	s_and_saveexec_b64 s[6:7], vcc
	s_xor_b64 s[6:7], exec, s[6:7]
	s_cbranch_execz .LBB1_1557
; %bb.11549:
	s_getpc_b64 s[14:15]
.Lpost_getpc1678:
	s_add_u32 s14, s14, (.LBB1_5653-.Lpost_getpc1678)&4294967295
	s_addc_u32 s15, s15, (.LBB1_5653-.Lpost_getpc1678)>>32
	s_setpc_b64 s[14:15]
.LBB1_1557:
	s_or_saveexec_b64 s[6:7], s[6:7]
	v_mov_b32_e32 v23, s10
	s_xor_b64 exec, exec, s[6:7]
	s_cbranch_execz .LBB1_1558
; %bb.11551:
	s_getpc_b64 s[14:15]
.Lpost_getpc1679:
	s_add_u32 s14, s14, (.LBB1_5656-.Lpost_getpc1679)&4294967295
	s_addc_u32 s15, s15, (.LBB1_5656-.Lpost_getpc1679)>>32
	s_setpc_b64 s[14:15]
.LBB1_1558:
	s_or_b64 exec, exec, s[6:7]
	s_and_saveexec_b64 s[6:7], s[4:5]
	s_cbranch_execz .LBB1_1560
.LBB1_1559:
	v_bfe_u32 v22, v12, 16, 2
	v_ffbh_u32_e32 v25, v22
	v_min_u32_e32 v25, 32, v25
	v_lshrrev_b32_e32 v23, 18, v12
	v_subrev_u32_e32 v26, 29, v25
	v_and_b32_e32 v23, 31, v23
	v_lshlrev_b32_sdwa v26, v26, v12 dst_sel:DWORD dst_unused:UNUSED_PAD src0_sel:DWORD src1_sel:WORD_1
	v_bfe_u32 v24, v12, 18, 5
	v_sub_u32_e32 v25, 30, v25
	v_and_b32_e32 v26, 3, v26
	v_cmp_eq_u16_e32 vcc, 0, v23
	v_cndmask_b32_e32 v22, v22, v26, vcc
	v_cndmask_b32_e32 v23, v24, v25, vcc
	v_lshlrev_b32_e32 v24, 8, v12
	v_mov_b32_e32 v25, 0x37800000
	v_lshlrev_b32_e32 v22, 21, v22
	v_and_b32_e32 v24, 0x80000000, v24
	v_lshl_add_u32 v23, v23, 23, v25
	v_or3_b32 v23, v24, v23, v22
.LBB1_1560:
	s_or_b64 exec, exec, s[6:7]
	s_nop 0
	v_mfma_f32_16x16x4f32 a[0:3], v21, v23, a[0:3]
	s_movk_i32 s4, 0x7f
	v_cmp_gt_i16_sdwa s[6:7], v16, s4 src0_sel:BYTE_3 src1_sel:DWORD
	s_mov_b64 s[4:5], 0
                                        ; implicit-def: $sgpr10
	s_and_saveexec_b64 s[8:9], s[6:7]
	s_xor_b64 s[6:7], exec, s[8:9]
	s_cbranch_execz .LBB1_1561
; %bb.11553:
	s_getpc_b64 s[14:15]
.Lpost_getpc1680:
	s_add_u32 s14, s14, (.LBB1_5657-.Lpost_getpc1680)&4294967295
	s_addc_u32 s15, s15, (.LBB1_5657-.Lpost_getpc1680)>>32
	s_setpc_b64 s[14:15]
.LBB1_1561:
	s_or_saveexec_b64 s[6:7], s[6:7]
	v_mov_b32_e32 v21, s10
	s_xor_b64 exec, exec, s[6:7]
	s_cbranch_execz .LBB1_1562
; %bb.11555:
	s_getpc_b64 s[14:15]
.Lpost_getpc1681:
	s_add_u32 s14, s14, (.LBB1_5660-.Lpost_getpc1681)&4294967295
	s_addc_u32 s15, s15, (.LBB1_5660-.Lpost_getpc1681)>>32
	s_setpc_b64 s[14:15]
.LBB1_1562:
	s_or_b64 exec, exec, s[6:7]
	s_and_saveexec_b64 s[6:7], s[4:5]
	s_cbranch_execz .LBB1_1564
.LBB1_1563:
	v_bfe_u32 v21, v16, 24, 3
	v_ffbh_u32_e32 v25, v21
	v_min_u32_e32 v25, 32, v25
	v_lshrrev_b32_e32 v23, 27, v16
	v_subrev_u32_e32 v26, 28, v25
	v_and_b32_e32 v22, 0x80000000, v16
	v_and_b32_e32 v23, 15, v23
	v_bfe_u32 v24, v16, 27, 4
	v_lshlrev_b32_sdwa v16, v26, v16 dst_sel:DWORD dst_unused:UNUSED_PAD src0_sel:DWORD src1_sel:BYTE_3
	v_sub_u32_e32 v25, 29, v25
	v_and_b32_e32 v16, 7, v16
	v_cmp_eq_u16_e32 vcc, 0, v23
	v_cndmask_b32_e32 v16, v21, v16, vcc
	v_cndmask_b32_e32 v21, v24, v25, vcc
	v_mov_b32_e32 v23, 0x3b800000
	v_lshlrev_b32_e32 v16, 20, v16
	v_lshl_add_u32 v21, v21, 23, v23
	v_or3_b32 v21, v22, v21, v16
.LBB1_1564:
	s_or_b64 exec, exec, s[6:7]
	s_movk_i32 s4, 0x7f
	v_cmp_gt_i16_sdwa s[6:7], v12, s4 src0_sel:BYTE_3 src1_sel:DWORD
	s_mov_b64 s[4:5], 0
                                        ; implicit-def: $sgpr10
	s_and_saveexec_b64 s[8:9], s[6:7]
	s_xor_b64 s[6:7], exec, s[8:9]
	s_cbranch_execz .LBB1_1565
; %bb.11557:
	s_getpc_b64 s[14:15]
.Lpost_getpc1682:
	s_add_u32 s14, s14, (.LBB1_5661-.Lpost_getpc1682)&4294967295
	s_addc_u32 s15, s15, (.LBB1_5661-.Lpost_getpc1682)>>32
	s_setpc_b64 s[14:15]
.LBB1_1565:
	s_or_saveexec_b64 s[6:7], s[6:7]
	v_mov_b32_e32 v16, s10
	s_xor_b64 exec, exec, s[6:7]
	s_cbranch_execz .LBB1_1566
; %bb.11559:
	s_getpc_b64 s[14:15]
.Lpost_getpc1683:
	s_add_u32 s14, s14, (.LBB1_5664-.Lpost_getpc1683)&4294967295
	s_addc_u32 s15, s15, (.LBB1_5664-.Lpost_getpc1683)>>32
	s_setpc_b64 s[14:15]
.LBB1_1566:
	s_or_b64 exec, exec, s[6:7]
	s_and_saveexec_b64 s[6:7], s[4:5]
	s_cbranch_execz .LBB1_1568
.LBB1_1567:
	v_bfe_u32 v16, v12, 24, 2
	v_ffbh_u32_e32 v25, v16
	v_min_u32_e32 v25, 32, v25
	v_lshrrev_b32_e32 v23, 26, v12
	v_subrev_u32_e32 v26, 29, v25
	v_and_b32_e32 v22, 0x80000000, v12
	v_and_b32_e32 v23, 31, v23
	v_bfe_u32 v24, v12, 26, 5
	v_lshlrev_b32_sdwa v12, v26, v12 dst_sel:DWORD dst_unused:UNUSED_PAD src0_sel:DWORD src1_sel:BYTE_3
	v_sub_u32_e32 v25, 30, v25
	v_and_b32_e32 v12, 3, v12
	v_cmp_eq_u16_e32 vcc, 0, v23
	v_cndmask_b32_e32 v12, v16, v12, vcc
	v_cndmask_b32_e32 v16, v24, v25, vcc
	v_mov_b32_e32 v23, 0x37800000
	v_lshlrev_b32_e32 v12, 21, v12
	v_lshl_add_u32 v16, v16, 23, v23
	v_or3_b32 v16, v22, v16, v12
.LBB1_1568:
	s_or_b64 exec, exec, s[6:7]
	s_nop 0
	v_mfma_f32_16x16x4f32 a[0:3], v21, v16, a[0:3]
	s_movk_i32 s4, 0x7f
	v_cmp_gt_i16_sdwa s[6:7], v17, s4 src0_sel:BYTE_0 src1_sel:DWORD
	s_mov_b64 s[4:5], 0
                                        ; implicit-def: $sgpr10
	s_and_saveexec_b64 s[8:9], s[6:7]
	s_xor_b64 s[6:7], exec, s[8:9]
	s_cbranch_execz .LBB1_1569
; %bb.11561:
	s_getpc_b64 s[14:15]
.Lpost_getpc1684:
	s_add_u32 s14, s14, (.LBB1_5665-.Lpost_getpc1684)&4294967295
	s_addc_u32 s15, s15, (.LBB1_5665-.Lpost_getpc1684)>>32
	s_setpc_b64 s[14:15]
.LBB1_1569:
	s_or_saveexec_b64 s[6:7], s[6:7]
	v_mov_b32_e32 v12, s10
	s_xor_b64 exec, exec, s[6:7]
	s_cbranch_execz .LBB1_1570
; %bb.11563:
	s_getpc_b64 s[14:15]
.Lpost_getpc1685:
	s_add_u32 s14, s14, (.LBB1_5668-.Lpost_getpc1685)&4294967295
	s_addc_u32 s15, s15, (.LBB1_5668-.Lpost_getpc1685)>>32
	s_setpc_b64 s[14:15]
.LBB1_1570:
	s_or_b64 exec, exec, s[6:7]
	s_and_saveexec_b64 s[6:7], s[4:5]
	s_cbranch_execz .LBB1_1572
.LBB1_1571:
	v_and_b32_e32 v12, 7, v17
	v_ffbh_u32_e32 v21, v12
	v_min_u32_e32 v21, 32, v21
	v_lshrrev_b16_e32 v16, 3, v17
	v_subrev_u32_e32 v22, 28, v21
	v_and_b32_e32 v16, 15, v16
	v_lshlrev_b32_e32 v22, v22, v17
	v_sub_u32_e32 v21, 29, v21
	v_and_b32_e32 v22, 7, v22
	v_cmp_eq_u16_e32 vcc, 0, v16
	v_cndmask_b32_e32 v12, v12, v22, vcc
	v_cndmask_b32_e32 v16, v16, v21, vcc
	v_lshlrev_b32_e32 v21, 24, v17
	v_mov_b32_e32 v22, 0x3b800000
	v_lshlrev_b32_e32 v12, 20, v12
	v_and_b32_e32 v21, 0x80000000, v21
	v_lshl_add_u32 v16, v16, 23, v22
	v_or3_b32 v12, v21, v16, v12
.LBB1_1572:
	s_or_b64 exec, exec, s[6:7]
	s_movk_i32 s4, 0x7f
	v_cmp_gt_i16_sdwa s[6:7], v13, s4 src0_sel:BYTE_0 src1_sel:DWORD
	s_mov_b64 s[4:5], 0
                                        ; implicit-def: $sgpr10
	s_and_saveexec_b64 s[8:9], s[6:7]
	s_xor_b64 s[6:7], exec, s[8:9]
	s_cbranch_execz .LBB1_1573
; %bb.11565:
	s_getpc_b64 s[14:15]
.Lpost_getpc1686:
	s_add_u32 s14, s14, (.LBB1_5669-.Lpost_getpc1686)&4294967295
	s_addc_u32 s15, s15, (.LBB1_5669-.Lpost_getpc1686)>>32
	s_setpc_b64 s[14:15]
.LBB1_1573:
	s_or_saveexec_b64 s[6:7], s[6:7]
	v_mov_b32_e32 v16, s10
	s_xor_b64 exec, exec, s[6:7]
	s_cbranch_execz .LBB1_1574
; %bb.11567:
	s_getpc_b64 s[14:15]
.Lpost_getpc1687:
	s_add_u32 s14, s14, (.LBB1_5672-.Lpost_getpc1687)&4294967295
	s_addc_u32 s15, s15, (.LBB1_5672-.Lpost_getpc1687)>>32
	s_setpc_b64 s[14:15]
.LBB1_1574:
	s_or_b64 exec, exec, s[6:7]
	s_and_saveexec_b64 s[6:7], s[4:5]
	s_cbranch_execz .LBB1_1576
.LBB1_1575:
	v_and_b32_e32 v16, 3, v13
	v_ffbh_u32_e32 v22, v16
	v_min_u32_e32 v22, 32, v22
	v_lshrrev_b16_e32 v21, 2, v13
	v_subrev_u32_e32 v23, 29, v22
	v_and_b32_e32 v21, 31, v21
	v_lshlrev_b32_e32 v23, v23, v13
	v_sub_u32_e32 v22, 30, v22
	v_and_b32_e32 v23, 3, v23
	v_cmp_eq_u16_e32 vcc, 0, v21
	v_cndmask_b32_e32 v16, v16, v23, vcc
	v_cndmask_b32_e32 v21, v21, v22, vcc
	v_lshlrev_b32_e32 v22, 24, v13
	v_mov_b32_e32 v23, 0x37800000
	v_lshlrev_b32_e32 v16, 21, v16
	v_and_b32_e32 v22, 0x80000000, v22
	v_lshl_add_u32 v21, v21, 23, v23
	v_or3_b32 v16, v22, v21, v16
.LBB1_1576:
	s_or_b64 exec, exec, s[6:7]
	s_nop 0
	v_mfma_f32_16x16x4f32 a[0:3], v12, v16, a[0:3]
	v_lshrrev_b32_e32 v16, 8, v17
	s_movk_i32 s4, 0x7f
	v_cmp_gt_i16_sdwa s[6:7], v16, s4 src0_sel:BYTE_0 src1_sel:DWORD
	s_mov_b64 s[4:5], 0
                                        ; implicit-def: $sgpr10
	s_and_saveexec_b64 s[8:9], s[6:7]
	s_xor_b64 s[6:7], exec, s[8:9]
	s_cbranch_execz .LBB1_1577
; %bb.11569:
	s_getpc_b64 s[14:15]
.Lpost_getpc1688:
	s_add_u32 s14, s14, (.LBB1_5673-.Lpost_getpc1688)&4294967295
	s_addc_u32 s15, s15, (.LBB1_5673-.Lpost_getpc1688)>>32
	s_setpc_b64 s[14:15]
.LBB1_1577:
	s_or_saveexec_b64 s[6:7], s[6:7]
	v_mov_b32_e32 v12, s10
	s_xor_b64 exec, exec, s[6:7]
	s_cbranch_execz .LBB1_1578
; %bb.11571:
	s_getpc_b64 s[14:15]
.Lpost_getpc1689:
	s_add_u32 s14, s14, (.LBB1_5676-.Lpost_getpc1689)&4294967295
	s_addc_u32 s15, s15, (.LBB1_5676-.Lpost_getpc1689)>>32
	s_setpc_b64 s[14:15]
.LBB1_1578:
	s_or_b64 exec, exec, s[6:7]
	s_and_saveexec_b64 s[6:7], s[4:5]
	s_cbranch_execz .LBB1_1580
.LBB1_1579:
	v_bfe_u32 v12, v17, 8, 3
	v_ffbh_u32_e32 v22, v12
	v_min_u32_e32 v22, 32, v22
	v_lshrrev_b16_e32 v21, 3, v16
	v_subrev_u32_e32 v23, 28, v22
	v_and_b32_e32 v21, 15, v21
	v_lshlrev_b32_e32 v16, v23, v16
	v_sub_u32_e32 v22, 29, v22
	v_and_b32_e32 v16, 7, v16
	v_cmp_eq_u16_e32 vcc, 0, v21
	v_cndmask_b32_e32 v12, v12, v16, vcc
	v_cndmask_b32_e32 v16, v21, v22, vcc
	v_lshlrev_b32_e32 v21, 16, v17
	v_mov_b32_e32 v22, 0x3b800000
	v_lshlrev_b32_e32 v12, 20, v12
	v_and_b32_e32 v21, 0x80000000, v21
	v_lshl_add_u32 v16, v16, 23, v22
	v_or3_b32 v12, v21, v16, v12
.LBB1_1580:
	s_or_b64 exec, exec, s[6:7]
	v_lshrrev_b32_e32 v16, 8, v13
	s_movk_i32 s4, 0x7f
	v_cmp_gt_i16_sdwa s[6:7], v16, s4 src0_sel:BYTE_0 src1_sel:DWORD
	s_mov_b64 s[4:5], 0
                                        ; implicit-def: $sgpr10
	s_and_saveexec_b64 s[8:9], s[6:7]
	s_xor_b64 s[6:7], exec, s[8:9]
	s_cbranch_execz .LBB1_1581
; %bb.11573:
	s_getpc_b64 s[14:15]
.Lpost_getpc1690:
	s_add_u32 s14, s14, (.LBB1_5677-.Lpost_getpc1690)&4294967295
	s_addc_u32 s15, s15, (.LBB1_5677-.Lpost_getpc1690)>>32
	s_setpc_b64 s[14:15]
.LBB1_1581:
	s_or_saveexec_b64 s[6:7], s[6:7]
	v_mov_b32_e32 v21, s10
	s_xor_b64 exec, exec, s[6:7]
	s_cbranch_execz .LBB1_1582
; %bb.11575:
	s_getpc_b64 s[14:15]
.Lpost_getpc1691:
	s_add_u32 s14, s14, (.LBB1_5680-.Lpost_getpc1691)&4294967295
	s_addc_u32 s15, s15, (.LBB1_5680-.Lpost_getpc1691)>>32
	s_setpc_b64 s[14:15]
.LBB1_1582:
	s_or_b64 exec, exec, s[6:7]
	s_and_saveexec_b64 s[6:7], s[4:5]
	s_cbranch_execz .LBB1_1584
.LBB1_1583:
	v_bfe_u32 v21, v13, 8, 2
	v_ffbh_u32_e32 v23, v21
	v_min_u32_e32 v23, 32, v23
	v_lshrrev_b16_e32 v22, 2, v16
	v_subrev_u32_e32 v24, 29, v23
	v_and_b32_e32 v22, 31, v22
	v_lshlrev_b32_e32 v16, v24, v16
	v_sub_u32_e32 v23, 30, v23
	v_and_b32_e32 v16, 3, v16
	v_cmp_eq_u16_e32 vcc, 0, v22
	v_cndmask_b32_e32 v16, v21, v16, vcc
	v_cndmask_b32_e32 v21, v22, v23, vcc
	v_lshlrev_b32_e32 v22, 16, v13
	v_mov_b32_e32 v23, 0x37800000
	v_lshlrev_b32_e32 v16, 21, v16
	v_and_b32_e32 v22, 0x80000000, v22
	v_lshl_add_u32 v21, v21, 23, v23
	v_or3_b32 v21, v22, v21, v16
.LBB1_1584:
	s_or_b64 exec, exec, s[6:7]
	s_nop 0
	v_mfma_f32_16x16x4f32 a[0:3], v12, v21, a[0:3]
	s_movk_i32 s4, 0xff
	v_and_b32_sdwa v16, v17, s4 dst_sel:DWORD dst_unused:UNUSED_PAD src0_sel:WORD_1 src1_sel:DWORD
	s_movk_i32 s4, 0x7f
	v_cmp_lt_i16_e32 vcc, s4, v16
	s_mov_b64 s[4:5], 0
                                        ; implicit-def: $sgpr10
	s_and_saveexec_b64 s[6:7], vcc
	s_xor_b64 s[6:7], exec, s[6:7]
	s_cbranch_execz .LBB1_1585
; %bb.11577:
	s_getpc_b64 s[14:15]
.Lpost_getpc1692:
	s_add_u32 s14, s14, (.LBB1_5681-.Lpost_getpc1692)&4294967295
	s_addc_u32 s15, s15, (.LBB1_5681-.Lpost_getpc1692)>>32
	s_setpc_b64 s[14:15]
.LBB1_1585:
	s_or_saveexec_b64 s[6:7], s[6:7]
	v_mov_b32_e32 v12, s10
	s_xor_b64 exec, exec, s[6:7]
	s_cbranch_execz .LBB1_1586
; %bb.11579:
	s_getpc_b64 s[14:15]
.Lpost_getpc1693:
	s_add_u32 s14, s14, (.LBB1_5684-.Lpost_getpc1693)&4294967295
	s_addc_u32 s15, s15, (.LBB1_5684-.Lpost_getpc1693)>>32
	s_setpc_b64 s[14:15]
.LBB1_1586:
	s_or_b64 exec, exec, s[6:7]
	s_and_saveexec_b64 s[6:7], s[4:5]
	s_cbranch_execz .LBB1_1588
.LBB1_1587:
	v_bfe_u32 v12, v17, 16, 3
	v_ffbh_u32_e32 v22, v12
	v_min_u32_e32 v22, 32, v22
	v_lshrrev_b32_e32 v16, 19, v17
	v_subrev_u32_e32 v23, 28, v22
	v_and_b32_e32 v16, 15, v16
	v_lshlrev_b32_sdwa v23, v23, v17 dst_sel:DWORD dst_unused:UNUSED_PAD src0_sel:DWORD src1_sel:WORD_1
	v_bfe_u32 v21, v17, 19, 4
	v_sub_u32_e32 v22, 29, v22
	v_and_b32_e32 v23, 7, v23
	v_cmp_eq_u16_e32 vcc, 0, v16
	v_cndmask_b32_e32 v12, v12, v23, vcc
	v_cndmask_b32_e32 v16, v21, v22, vcc
	v_lshlrev_b32_e32 v21, 8, v17
	v_mov_b32_e32 v22, 0x3b800000
	v_lshlrev_b32_e32 v12, 20, v12
	v_and_b32_e32 v21, 0x80000000, v21
	v_lshl_add_u32 v16, v16, 23, v22
	v_or3_b32 v12, v21, v16, v12
.LBB1_1588:
	s_or_b64 exec, exec, s[6:7]
	s_movk_i32 s4, 0xff
	v_and_b32_sdwa v16, v13, s4 dst_sel:DWORD dst_unused:UNUSED_PAD src0_sel:WORD_1 src1_sel:DWORD
	s_movk_i32 s4, 0x7f
	v_cmp_lt_i16_e32 vcc, s4, v16
	s_mov_b64 s[4:5], 0
                                        ; implicit-def: $sgpr10
	s_and_saveexec_b64 s[6:7], vcc
	s_xor_b64 s[6:7], exec, s[6:7]
	s_cbranch_execz .LBB1_1589
; %bb.11581:
	s_getpc_b64 s[14:15]
.Lpost_getpc1694:
	s_add_u32 s14, s14, (.LBB1_5685-.Lpost_getpc1694)&4294967295
	s_addc_u32 s15, s15, (.LBB1_5685-.Lpost_getpc1694)>>32
	s_setpc_b64 s[14:15]
.LBB1_1589:
	s_or_saveexec_b64 s[6:7], s[6:7]
	v_mov_b32_e32 v21, s10
	s_xor_b64 exec, exec, s[6:7]
	s_cbranch_execz .LBB1_1590
; %bb.11583:
	s_getpc_b64 s[14:15]
.Lpost_getpc1695:
	s_add_u32 s14, s14, (.LBB1_5688-.Lpost_getpc1695)&4294967295
	s_addc_u32 s15, s15, (.LBB1_5688-.Lpost_getpc1695)>>32
	s_setpc_b64 s[14:15]
.LBB1_1590:
	s_or_b64 exec, exec, s[6:7]
	s_and_saveexec_b64 s[6:7], s[4:5]
	s_cbranch_execz .LBB1_1592
.LBB1_1591:
	v_bfe_u32 v16, v13, 16, 2
	v_ffbh_u32_e32 v23, v16
	v_min_u32_e32 v23, 32, v23
	v_lshrrev_b32_e32 v21, 18, v13
	v_subrev_u32_e32 v24, 29, v23
	v_and_b32_e32 v21, 31, v21
	v_lshlrev_b32_sdwa v24, v24, v13 dst_sel:DWORD dst_unused:UNUSED_PAD src0_sel:DWORD src1_sel:WORD_1
	v_bfe_u32 v22, v13, 18, 5
	v_sub_u32_e32 v23, 30, v23
	v_and_b32_e32 v24, 3, v24
	v_cmp_eq_u16_e32 vcc, 0, v21
	v_cndmask_b32_e32 v16, v16, v24, vcc
	v_cndmask_b32_e32 v21, v22, v23, vcc
	v_lshlrev_b32_e32 v22, 8, v13
	v_mov_b32_e32 v23, 0x37800000
	v_lshlrev_b32_e32 v16, 21, v16
	v_and_b32_e32 v22, 0x80000000, v22
	v_lshl_add_u32 v21, v21, 23, v23
	v_or3_b32 v21, v22, v21, v16
.LBB1_1592:
	s_or_b64 exec, exec, s[6:7]
	s_nop 0
	v_mfma_f32_16x16x4f32 a[0:3], v12, v21, a[0:3]
	s_movk_i32 s4, 0x7f
	v_cmp_gt_i16_sdwa s[6:7], v17, s4 src0_sel:BYTE_3 src1_sel:DWORD
	s_mov_b64 s[4:5], 0
                                        ; implicit-def: $sgpr10
	s_and_saveexec_b64 s[8:9], s[6:7]
	s_xor_b64 s[6:7], exec, s[8:9]
	s_cbranch_execz .LBB1_1593
; %bb.11585:
	s_getpc_b64 s[14:15]
.Lpost_getpc1696:
	s_add_u32 s14, s14, (.LBB1_5689-.Lpost_getpc1696)&4294967295
	s_addc_u32 s15, s15, (.LBB1_5689-.Lpost_getpc1696)>>32
	s_setpc_b64 s[14:15]
.LBB1_1593:
	s_or_saveexec_b64 s[6:7], s[6:7]
	v_mov_b32_e32 v12, s10
	s_xor_b64 exec, exec, s[6:7]
	s_cbranch_execz .LBB1_1594
; %bb.11587:
	s_getpc_b64 s[14:15]
.Lpost_getpc1697:
	s_add_u32 s14, s14, (.LBB1_5692-.Lpost_getpc1697)&4294967295
	s_addc_u32 s15, s15, (.LBB1_5692-.Lpost_getpc1697)>>32
	s_setpc_b64 s[14:15]
.LBB1_1594:
	s_or_b64 exec, exec, s[6:7]
	s_and_saveexec_b64 s[6:7], s[4:5]
	s_cbranch_execz .LBB1_1596
.LBB1_1595:
	v_bfe_u32 v12, v17, 24, 3
	v_ffbh_u32_e32 v23, v12
	v_min_u32_e32 v23, 32, v23
	v_lshrrev_b32_e32 v21, 27, v17
	v_subrev_u32_e32 v24, 28, v23
	v_and_b32_e32 v16, 0x80000000, v17
	v_and_b32_e32 v21, 15, v21
	v_bfe_u32 v22, v17, 27, 4
	v_lshlrev_b32_sdwa v17, v24, v17 dst_sel:DWORD dst_unused:UNUSED_PAD src0_sel:DWORD src1_sel:BYTE_3
	v_sub_u32_e32 v23, 29, v23
	v_and_b32_e32 v17, 7, v17
	v_cmp_eq_u16_e32 vcc, 0, v21
	v_cndmask_b32_e32 v12, v12, v17, vcc
	v_cndmask_b32_e32 v17, v22, v23, vcc
	v_mov_b32_e32 v21, 0x3b800000
	v_lshlrev_b32_e32 v12, 20, v12
	v_lshl_add_u32 v17, v17, 23, v21
	v_or3_b32 v12, v16, v17, v12
.LBB1_1596:
	s_or_b64 exec, exec, s[6:7]
	s_movk_i32 s4, 0x7f
	v_cmp_gt_i16_sdwa s[6:7], v13, s4 src0_sel:BYTE_3 src1_sel:DWORD
	s_mov_b64 s[4:5], 0
                                        ; implicit-def: $sgpr10
	s_and_saveexec_b64 s[8:9], s[6:7]
	s_xor_b64 s[6:7], exec, s[8:9]
	s_cbranch_execz .LBB1_1597
; %bb.11589:
	s_getpc_b64 s[14:15]
.Lpost_getpc1698:
	s_add_u32 s14, s14, (.LBB1_5693-.Lpost_getpc1698)&4294967295
	s_addc_u32 s15, s15, (.LBB1_5693-.Lpost_getpc1698)>>32
	s_setpc_b64 s[14:15]
.LBB1_1597:
	s_or_saveexec_b64 s[6:7], s[6:7]
	v_mov_b32_e32 v16, s10
	s_xor_b64 exec, exec, s[6:7]
	s_cbranch_execz .LBB1_1598
; %bb.11591:
	s_getpc_b64 s[14:15]
.Lpost_getpc1699:
	s_add_u32 s14, s14, (.LBB1_5696-.Lpost_getpc1699)&4294967295
	s_addc_u32 s15, s15, (.LBB1_5696-.Lpost_getpc1699)>>32
	s_setpc_b64 s[14:15]
.LBB1_1598:
	s_or_b64 exec, exec, s[6:7]
	s_and_saveexec_b64 s[6:7], s[4:5]
	s_cbranch_execz .LBB1_1600
.LBB1_1599:
	v_bfe_u32 v16, v13, 24, 2
	v_ffbh_u32_e32 v23, v16
	v_min_u32_e32 v23, 32, v23
	v_lshrrev_b32_e32 v21, 26, v13
	v_subrev_u32_e32 v24, 29, v23
	v_and_b32_e32 v17, 0x80000000, v13
	v_and_b32_e32 v21, 31, v21
	v_bfe_u32 v22, v13, 26, 5
	v_lshlrev_b32_sdwa v13, v24, v13 dst_sel:DWORD dst_unused:UNUSED_PAD src0_sel:DWORD src1_sel:BYTE_3
	v_sub_u32_e32 v23, 30, v23
	v_and_b32_e32 v13, 3, v13
	v_cmp_eq_u16_e32 vcc, 0, v21
	v_cndmask_b32_e32 v13, v16, v13, vcc
	v_cndmask_b32_e32 v16, v22, v23, vcc
	v_mov_b32_e32 v21, 0x37800000
	v_lshlrev_b32_e32 v13, 21, v13
	v_lshl_add_u32 v16, v16, 23, v21
	v_or3_b32 v16, v17, v16, v13
.LBB1_1600:
	s_or_b64 exec, exec, s[6:7]
	s_nop 0
	v_mfma_f32_16x16x4f32 a[0:3], v12, v16, a[0:3]
	s_movk_i32 s4, 0x7f
	v_cmp_gt_i16_sdwa s[6:7], v18, s4 src0_sel:BYTE_0 src1_sel:DWORD
	s_mov_b64 s[4:5], 0
                                        ; implicit-def: $sgpr10
	s_and_saveexec_b64 s[8:9], s[6:7]
	s_xor_b64 s[6:7], exec, s[8:9]
	s_cbranch_execz .LBB1_1601
; %bb.11593:
	s_getpc_b64 s[14:15]
.Lpost_getpc1700:
	s_add_u32 s14, s14, (.LBB1_5697-.Lpost_getpc1700)&4294967295
	s_addc_u32 s15, s15, (.LBB1_5697-.Lpost_getpc1700)>>32
	s_setpc_b64 s[14:15]
.LBB1_1601:
	s_or_saveexec_b64 s[6:7], s[6:7]
	v_mov_b32_e32 v13, s10
	s_xor_b64 exec, exec, s[6:7]
	s_cbranch_execz .LBB1_1602
; %bb.11595:
	s_getpc_b64 s[14:15]
.Lpost_getpc1701:
	s_add_u32 s14, s14, (.LBB1_5700-.Lpost_getpc1701)&4294967295
	s_addc_u32 s15, s15, (.LBB1_5700-.Lpost_getpc1701)>>32
	s_setpc_b64 s[14:15]
.LBB1_1602:
	s_or_b64 exec, exec, s[6:7]
	s_and_saveexec_b64 s[6:7], s[4:5]
	s_cbranch_execz .LBB1_1604
.LBB1_1603:
	v_and_b32_e32 v12, 7, v18
	v_ffbh_u32_e32 v16, v12
	v_min_u32_e32 v16, 32, v16
	v_lshrrev_b16_e32 v13, 3, v18
	v_subrev_u32_e32 v17, 28, v16
	v_and_b32_e32 v13, 15, v13
	v_lshlrev_b32_e32 v17, v17, v18
	v_sub_u32_e32 v16, 29, v16
	v_and_b32_e32 v17, 7, v17
	v_cmp_eq_u16_e32 vcc, 0, v13
	v_cndmask_b32_e32 v12, v12, v17, vcc
	v_cndmask_b32_e32 v13, v13, v16, vcc
	v_lshlrev_b32_e32 v16, 24, v18
	v_mov_b32_e32 v17, 0x3b800000
	v_lshlrev_b32_e32 v12, 20, v12
	v_and_b32_e32 v16, 0x80000000, v16
	v_lshl_add_u32 v13, v13, 23, v17
	v_or3_b32 v13, v16, v13, v12
.LBB1_1604:
	s_or_b64 exec, exec, s[6:7]
	s_movk_i32 s4, 0xff
	v_mov_b32_e32 v12, 8
	v_or_b32_sdwa v16, v14, v20 dst_sel:DWORD dst_unused:UNUSED_PAD src0_sel:BYTE_0 src1_sel:DWORD
	v_lshlrev_b16_sdwa v12, v12, v14 dst_sel:DWORD dst_unused:UNUSED_PAD src0_sel:DWORD src1_sel:BYTE_3
	v_and_b32_sdwa v14, v14, s4 dst_sel:DWORD dst_unused:UNUSED_PAD src0_sel:WORD_1 src1_sel:DWORD
	s_movk_i32 s4, 0x7f
	v_or_b32_sdwa v12, v14, v12 dst_sel:WORD_1 dst_unused:UNUSED_PAD src0_sel:DWORD src1_sel:DWORD
	v_cmp_gt_i16_sdwa s[6:7], v16, s4 src0_sel:BYTE_0 src1_sel:DWORD
	s_mov_b64 s[4:5], 0
                                        ; implicit-def: $sgpr10
	s_and_saveexec_b64 s[8:9], s[6:7]
	s_xor_b64 s[6:7], exec, s[8:9]
	s_cbranch_execz .LBB1_1605
; %bb.11597:
	s_getpc_b64 s[14:15]
.Lpost_getpc1702:
	s_add_u32 s14, s14, (.LBB1_5701-.Lpost_getpc1702)&4294967295
	s_addc_u32 s15, s15, (.LBB1_5701-.Lpost_getpc1702)>>32
	s_setpc_b64 s[14:15]
.LBB1_1605:
	s_or_saveexec_b64 s[6:7], s[6:7]
	v_mov_b32_e32 v14, s10
	s_xor_b64 exec, exec, s[6:7]
	s_cbranch_execz .LBB1_1606
; %bb.11599:
	s_getpc_b64 s[14:15]
.Lpost_getpc1703:
	s_add_u32 s14, s14, (.LBB1_5704-.Lpost_getpc1703)&4294967295
	s_addc_u32 s15, s15, (.LBB1_5704-.Lpost_getpc1703)>>32
	s_setpc_b64 s[14:15]
.LBB1_1606:
	s_or_b64 exec, exec, s[6:7]
	v_or_b32_sdwa v12, v16, v12 dst_sel:DWORD dst_unused:UNUSED_PAD src0_sel:WORD_0 src1_sel:DWORD
	s_and_saveexec_b64 s[6:7], s[4:5]
	s_cbranch_execz .LBB1_1608
.LBB1_1607:
	v_and_b32_e32 v14, 3, v12
	v_ffbh_u32_e32 v17, v14
	v_min_u32_e32 v17, 32, v17
	v_lshrrev_b16_e32 v16, 2, v16
	v_subrev_u32_e32 v20, 29, v17
	v_and_b32_e32 v16, 31, v16
	v_lshlrev_b32_e32 v20, v20, v12
	v_sub_u32_e32 v17, 30, v17
	v_and_b32_e32 v20, 3, v20
	v_cmp_eq_u16_e32 vcc, 0, v16
	v_cndmask_b32_e32 v14, v14, v20, vcc
	v_cndmask_b32_e32 v16, v16, v17, vcc
	v_lshlrev_b32_e32 v17, 24, v12
	v_mov_b32_e32 v20, 0x37800000
	v_lshlrev_b32_e32 v14, 21, v14
	v_and_b32_e32 v17, 0x80000000, v17
	v_lshl_add_u32 v16, v16, 23, v20
	v_or3_b32 v14, v17, v16, v14
.LBB1_1608:
	s_or_b64 exec, exec, s[6:7]
	s_nop 0
	v_mfma_f32_16x16x4f32 a[0:3], v13, v14, a[0:3]
	v_lshrrev_b32_e32 v14, 8, v18
	s_movk_i32 s4, 0x7f
	v_cmp_gt_i16_sdwa s[6:7], v14, s4 src0_sel:BYTE_0 src1_sel:DWORD
	s_mov_b64 s[4:5], 0
                                        ; implicit-def: $sgpr10
	s_and_saveexec_b64 s[8:9], s[6:7]
	s_xor_b64 s[6:7], exec, s[8:9]
	s_cbranch_execz .LBB1_1609
; %bb.11601:
	s_getpc_b64 s[14:15]
.Lpost_getpc1704:
	s_add_u32 s14, s14, (.LBB1_5705-.Lpost_getpc1704)&4294967295
	s_addc_u32 s15, s15, (.LBB1_5705-.Lpost_getpc1704)>>32
	s_setpc_b64 s[14:15]
.LBB1_1609:
	s_or_saveexec_b64 s[6:7], s[6:7]
	v_mov_b32_e32 v13, s10
	s_xor_b64 exec, exec, s[6:7]
	s_cbranch_execz .LBB1_1610
; %bb.11603:
	s_getpc_b64 s[14:15]
.Lpost_getpc1705:
	s_add_u32 s14, s14, (.LBB1_5708-.Lpost_getpc1705)&4294967295
	s_addc_u32 s15, s15, (.LBB1_5708-.Lpost_getpc1705)>>32
	s_setpc_b64 s[14:15]
.LBB1_1610:
	s_or_b64 exec, exec, s[6:7]
	s_and_saveexec_b64 s[6:7], s[4:5]
	s_cbranch_execz .LBB1_1612
.LBB1_1611:
	v_bfe_u32 v13, v18, 8, 3
	v_ffbh_u32_e32 v17, v13
	v_min_u32_e32 v17, 32, v17
	v_lshrrev_b16_e32 v16, 3, v14
	v_subrev_u32_e32 v20, 28, v17
	v_and_b32_e32 v16, 15, v16
	v_lshlrev_b32_e32 v14, v20, v14
	v_sub_u32_e32 v17, 29, v17
	v_and_b32_e32 v14, 7, v14
	v_cmp_eq_u16_e32 vcc, 0, v16
	v_cndmask_b32_e32 v13, v13, v14, vcc
	v_cndmask_b32_e32 v14, v16, v17, vcc
	v_lshlrev_b32_e32 v16, 16, v18
	v_mov_b32_e32 v17, 0x3b800000
	v_lshlrev_b32_e32 v13, 20, v13
	v_and_b32_e32 v16, 0x80000000, v16
	v_lshl_add_u32 v14, v14, 23, v17
	v_or3_b32 v13, v16, v14, v13
.LBB1_1612:
	s_or_b64 exec, exec, s[6:7]
	v_lshrrev_b32_e32 v14, 8, v12
	s_movk_i32 s4, 0x7f
	v_cmp_gt_i16_sdwa s[6:7], v14, s4 src0_sel:BYTE_0 src1_sel:DWORD
	s_mov_b64 s[4:5], 0
                                        ; implicit-def: $sgpr10
	s_and_saveexec_b64 s[8:9], s[6:7]
	s_xor_b64 s[6:7], exec, s[8:9]
	s_cbranch_execz .LBB1_1613
; %bb.11605:
	s_getpc_b64 s[14:15]
.Lpost_getpc1706:
	s_add_u32 s14, s14, (.LBB1_5709-.Lpost_getpc1706)&4294967295
	s_addc_u32 s15, s15, (.LBB1_5709-.Lpost_getpc1706)>>32
	s_setpc_b64 s[14:15]
.LBB1_1613:
	s_or_saveexec_b64 s[6:7], s[6:7]
	v_mov_b32_e32 v16, s10
	s_xor_b64 exec, exec, s[6:7]
	s_cbranch_execz .LBB1_1614
; %bb.11607:
	s_getpc_b64 s[14:15]
.Lpost_getpc1707:
	s_add_u32 s14, s14, (.LBB1_5712-.Lpost_getpc1707)&4294967295
	s_addc_u32 s15, s15, (.LBB1_5712-.Lpost_getpc1707)>>32
	s_setpc_b64 s[14:15]
.LBB1_1614:
	s_or_b64 exec, exec, s[6:7]
	s_and_saveexec_b64 s[6:7], s[4:5]
	s_cbranch_execz .LBB1_1616
.LBB1_1615:
	v_bfe_u32 v16, v12, 8, 2
	v_ffbh_u32_e32 v20, v16
	v_min_u32_e32 v20, 32, v20
	v_lshrrev_b16_e32 v17, 2, v14
	v_subrev_u32_e32 v21, 29, v20
	v_and_b32_e32 v17, 31, v17
	v_lshlrev_b32_e32 v14, v21, v14
	v_sub_u32_e32 v20, 30, v20
	v_and_b32_e32 v14, 3, v14
	v_cmp_eq_u16_e32 vcc, 0, v17
	v_cndmask_b32_e32 v14, v16, v14, vcc
	v_cndmask_b32_e32 v16, v17, v20, vcc
	v_lshlrev_b32_e32 v17, 16, v12
	v_mov_b32_e32 v20, 0x37800000
	v_lshlrev_b32_e32 v14, 21, v14
	v_and_b32_e32 v17, 0x80000000, v17
	v_lshl_add_u32 v16, v16, 23, v20
	v_or3_b32 v16, v17, v16, v14
.LBB1_1616:
	s_or_b64 exec, exec, s[6:7]
	s_nop 0
	v_mfma_f32_16x16x4f32 a[0:3], v13, v16, a[0:3]
	s_movk_i32 s4, 0xff
	v_and_b32_sdwa v14, v18, s4 dst_sel:DWORD dst_unused:UNUSED_PAD src0_sel:WORD_1 src1_sel:DWORD
	s_movk_i32 s4, 0x7f
	v_cmp_lt_i16_e32 vcc, s4, v14
	s_mov_b64 s[4:5], 0
                                        ; implicit-def: $sgpr10
	s_and_saveexec_b64 s[6:7], vcc
	s_xor_b64 s[6:7], exec, s[6:7]
	s_cbranch_execz .LBB1_1617
; %bb.11609:
	s_getpc_b64 s[14:15]
.Lpost_getpc1708:
	s_add_u32 s14, s14, (.LBB1_5713-.Lpost_getpc1708)&4294967295
	s_addc_u32 s15, s15, (.LBB1_5713-.Lpost_getpc1708)>>32
	s_setpc_b64 s[14:15]
.LBB1_1617:
	s_or_saveexec_b64 s[6:7], s[6:7]
	v_mov_b32_e32 v13, s10
	s_xor_b64 exec, exec, s[6:7]
	s_cbranch_execz .LBB1_1618
; %bb.11611:
	s_getpc_b64 s[14:15]
.Lpost_getpc1709:
	s_add_u32 s14, s14, (.LBB1_5716-.Lpost_getpc1709)&4294967295
	s_addc_u32 s15, s15, (.LBB1_5716-.Lpost_getpc1709)>>32
	s_setpc_b64 s[14:15]
.LBB1_1618:
	s_or_b64 exec, exec, s[6:7]
	s_and_saveexec_b64 s[6:7], s[4:5]
	s_cbranch_execz .LBB1_1620
.LBB1_1619:
	v_bfe_u32 v13, v18, 16, 3
	v_ffbh_u32_e32 v17, v13
	v_min_u32_e32 v17, 32, v17
	v_lshrrev_b32_e32 v14, 19, v18
	v_subrev_u32_e32 v20, 28, v17
	v_and_b32_e32 v14, 15, v14
	v_lshlrev_b32_sdwa v20, v20, v18 dst_sel:DWORD dst_unused:UNUSED_PAD src0_sel:DWORD src1_sel:WORD_1
	v_bfe_u32 v16, v18, 19, 4
	v_sub_u32_e32 v17, 29, v17
	v_and_b32_e32 v20, 7, v20
	v_cmp_eq_u16_e32 vcc, 0, v14
	v_cndmask_b32_e32 v13, v13, v20, vcc
	v_cndmask_b32_e32 v14, v16, v17, vcc
	v_lshlrev_b32_e32 v16, 8, v18
	v_mov_b32_e32 v17, 0x3b800000
	v_lshlrev_b32_e32 v13, 20, v13
	v_and_b32_e32 v16, 0x80000000, v16
	v_lshl_add_u32 v14, v14, 23, v17
	v_or3_b32 v13, v16, v14, v13
.LBB1_1620:
	s_or_b64 exec, exec, s[6:7]
	s_movk_i32 s4, 0xff
	v_and_b32_sdwa v14, v12, s4 dst_sel:DWORD dst_unused:UNUSED_PAD src0_sel:WORD_1 src1_sel:DWORD
	s_movk_i32 s4, 0x7f
	v_cmp_lt_i16_e32 vcc, s4, v14
	s_mov_b64 s[4:5], 0
                                        ; implicit-def: $sgpr10
	s_and_saveexec_b64 s[6:7], vcc
	s_xor_b64 s[6:7], exec, s[6:7]
	s_cbranch_execz .LBB1_1621
; %bb.11613:
	s_getpc_b64 s[14:15]
.Lpost_getpc1710:
	s_add_u32 s14, s14, (.LBB1_5717-.Lpost_getpc1710)&4294967295
	s_addc_u32 s15, s15, (.LBB1_5717-.Lpost_getpc1710)>>32
	s_setpc_b64 s[14:15]
.LBB1_1621:
	s_or_saveexec_b64 s[6:7], s[6:7]
	v_mov_b32_e32 v16, s10
	s_xor_b64 exec, exec, s[6:7]
	s_cbranch_execz .LBB1_1622
; %bb.11615:
	s_getpc_b64 s[14:15]
.Lpost_getpc1711:
	s_add_u32 s14, s14, (.LBB1_5720-.Lpost_getpc1711)&4294967295
	s_addc_u32 s15, s15, (.LBB1_5720-.Lpost_getpc1711)>>32
	s_setpc_b64 s[14:15]
.LBB1_1622:
	s_or_b64 exec, exec, s[6:7]
	s_and_saveexec_b64 s[6:7], s[4:5]
	s_cbranch_execz .LBB1_1624
.LBB1_1623:
	v_bfe_u32 v14, v12, 16, 2
	v_ffbh_u32_e32 v20, v14
	v_min_u32_e32 v20, 32, v20
	v_lshrrev_b32_e32 v16, 18, v12
	v_subrev_u32_e32 v21, 29, v20
	v_and_b32_e32 v16, 31, v16
	v_lshlrev_b32_sdwa v21, v21, v12 dst_sel:DWORD dst_unused:UNUSED_PAD src0_sel:DWORD src1_sel:WORD_1
	v_bfe_u32 v17, v12, 18, 5
	v_sub_u32_e32 v20, 30, v20
	v_and_b32_e32 v21, 3, v21
	v_cmp_eq_u16_e32 vcc, 0, v16
	v_cndmask_b32_e32 v14, v14, v21, vcc
	v_cndmask_b32_e32 v16, v17, v20, vcc
	v_lshlrev_b32_e32 v17, 8, v12
	v_mov_b32_e32 v20, 0x37800000
	v_lshlrev_b32_e32 v14, 21, v14
	v_and_b32_e32 v17, 0x80000000, v17
	v_lshl_add_u32 v16, v16, 23, v20
	v_or3_b32 v16, v17, v16, v14
.LBB1_1624:
	s_or_b64 exec, exec, s[6:7]
	s_nop 0
	v_mfma_f32_16x16x4f32 a[0:3], v13, v16, a[0:3]
	s_movk_i32 s4, 0x7f
	v_cmp_gt_i16_sdwa s[6:7], v18, s4 src0_sel:BYTE_3 src1_sel:DWORD
	s_mov_b64 s[4:5], 0
                                        ; implicit-def: $sgpr10
	s_and_saveexec_b64 s[8:9], s[6:7]
	s_xor_b64 s[6:7], exec, s[8:9]
	s_cbranch_execz .LBB1_1625
; %bb.11617:
	s_getpc_b64 s[14:15]
.Lpost_getpc1712:
	s_add_u32 s14, s14, (.LBB1_5721-.Lpost_getpc1712)&4294967295
	s_addc_u32 s15, s15, (.LBB1_5721-.Lpost_getpc1712)>>32
	s_setpc_b64 s[14:15]
.LBB1_1625:
	s_or_saveexec_b64 s[6:7], s[6:7]
	v_mov_b32_e32 v13, s10
	s_xor_b64 exec, exec, s[6:7]
	s_cbranch_execz .LBB1_1626
; %bb.11619:
	s_getpc_b64 s[14:15]
.Lpost_getpc1713:
	s_add_u32 s14, s14, (.LBB1_5724-.Lpost_getpc1713)&4294967295
	s_addc_u32 s15, s15, (.LBB1_5724-.Lpost_getpc1713)>>32
	s_setpc_b64 s[14:15]
.LBB1_1626:
	s_or_b64 exec, exec, s[6:7]
	s_and_saveexec_b64 s[6:7], s[4:5]
	s_cbranch_execz .LBB1_1628
.LBB1_1627:
	v_bfe_u32 v13, v18, 24, 3
	v_ffbh_u32_e32 v20, v13
	v_min_u32_e32 v20, 32, v20
	v_lshrrev_b32_e32 v16, 27, v18
	v_subrev_u32_e32 v21, 28, v20
	v_and_b32_e32 v14, 0x80000000, v18
	v_and_b32_e32 v16, 15, v16
	v_bfe_u32 v17, v18, 27, 4
	v_lshlrev_b32_sdwa v18, v21, v18 dst_sel:DWORD dst_unused:UNUSED_PAD src0_sel:DWORD src1_sel:BYTE_3
	v_sub_u32_e32 v20, 29, v20
	v_and_b32_e32 v18, 7, v18
	v_cmp_eq_u16_e32 vcc, 0, v16
	v_cndmask_b32_e32 v13, v13, v18, vcc
	v_cndmask_b32_e32 v16, v17, v20, vcc
	v_mov_b32_e32 v17, 0x3b800000
	v_lshlrev_b32_e32 v13, 20, v13
	v_lshl_add_u32 v16, v16, 23, v17
	v_or3_b32 v13, v14, v16, v13
.LBB1_1628:
	s_or_b64 exec, exec, s[6:7]
	s_movk_i32 s4, 0x7f
	v_cmp_gt_i16_sdwa s[6:7], v12, s4 src0_sel:BYTE_3 src1_sel:DWORD
	s_mov_b64 s[4:5], 0
                                        ; implicit-def: $sgpr10
	s_and_saveexec_b64 s[8:9], s[6:7]
	s_xor_b64 s[6:7], exec, s[8:9]
	s_cbranch_execz .LBB1_1629
; %bb.11621:
	s_getpc_b64 s[14:15]
.Lpost_getpc1714:
	s_add_u32 s14, s14, (.LBB1_5725-.Lpost_getpc1714)&4294967295
	s_addc_u32 s15, s15, (.LBB1_5725-.Lpost_getpc1714)>>32
	s_setpc_b64 s[14:15]
.LBB1_1629:
	s_or_saveexec_b64 s[6:7], s[6:7]
	v_mov_b32_e32 v14, s10
	s_xor_b64 exec, exec, s[6:7]
	s_cbranch_execz .LBB1_1630
; %bb.11623:
	s_getpc_b64 s[14:15]
.Lpost_getpc1715:
	s_add_u32 s14, s14, (.LBB1_5728-.Lpost_getpc1715)&4294967295
	s_addc_u32 s15, s15, (.LBB1_5728-.Lpost_getpc1715)>>32
	s_setpc_b64 s[14:15]
.LBB1_1630:
	s_or_b64 exec, exec, s[6:7]
	s_and_saveexec_b64 s[6:7], s[4:5]
	s_cbranch_execz .LBB1_1632
.LBB1_1631:
	v_bfe_u32 v14, v12, 24, 2
	v_ffbh_u32_e32 v20, v14
	v_min_u32_e32 v20, 32, v20
	v_lshrrev_b32_e32 v17, 26, v12
	v_subrev_u32_e32 v21, 29, v20
	v_and_b32_e32 v16, 0x80000000, v12
	v_and_b32_e32 v17, 31, v17
	v_bfe_u32 v18, v12, 26, 5
	v_lshlrev_b32_sdwa v12, v21, v12 dst_sel:DWORD dst_unused:UNUSED_PAD src0_sel:DWORD src1_sel:BYTE_3
	v_sub_u32_e32 v20, 30, v20
	v_and_b32_e32 v12, 3, v12
	v_cmp_eq_u16_e32 vcc, 0, v17
	v_cndmask_b32_e32 v12, v14, v12, vcc
	v_cndmask_b32_e32 v14, v18, v20, vcc
	v_mov_b32_e32 v17, 0x37800000
	v_lshlrev_b32_e32 v12, 21, v12
	v_lshl_add_u32 v14, v14, 23, v17
	v_or3_b32 v14, v16, v14, v12
.LBB1_1632:
	s_or_b64 exec, exec, s[6:7]
	s_nop 0
	v_mfma_f32_16x16x4f32 a[0:3], v13, v14, a[0:3]
	s_movk_i32 s4, 0x7f
	v_cmp_gt_i16_sdwa s[6:7], v19, s4 src0_sel:BYTE_0 src1_sel:DWORD
	s_mov_b64 s[4:5], 0
                                        ; implicit-def: $sgpr10
	s_and_saveexec_b64 s[8:9], s[6:7]
	s_xor_b64 s[6:7], exec, s[8:9]
	s_cbranch_execz .LBB1_1633
; %bb.11625:
	s_getpc_b64 s[14:15]
.Lpost_getpc1716:
	s_add_u32 s14, s14, (.LBB1_5729-.Lpost_getpc1716)&4294967295
	s_addc_u32 s15, s15, (.LBB1_5729-.Lpost_getpc1716)>>32
	s_setpc_b64 s[14:15]
.LBB1_1633:
	s_or_saveexec_b64 s[6:7], s[6:7]
	v_mov_b32_e32 v12, s10
	s_xor_b64 exec, exec, s[6:7]
	s_cbranch_execz .LBB1_1634
; %bb.11627:
	s_getpc_b64 s[14:15]
.Lpost_getpc1717:
	s_add_u32 s14, s14, (.LBB1_5732-.Lpost_getpc1717)&4294967295
	s_addc_u32 s15, s15, (.LBB1_5732-.Lpost_getpc1717)>>32
	s_setpc_b64 s[14:15]
.LBB1_1634:
	s_or_b64 exec, exec, s[6:7]
	s_and_saveexec_b64 s[6:7], s[4:5]
	s_cbranch_execz .LBB1_1636
.LBB1_1635:
	v_mov_b32_e32 v12, 8
	v_and_b32_e32 v13, 7, v19
	v_lshrrev_b32_sdwa v12, v12, v19 dst_sel:BYTE_1 dst_unused:UNUSED_PAD src0_sel:DWORD src1_sel:DWORD
	v_ffbh_u32_e32 v14, v13
	v_or_b32_sdwa v12, v19, v12 dst_sel:DWORD dst_unused:UNUSED_PAD src0_sel:BYTE_0 src1_sel:DWORD
	v_min_u32_e32 v14, 32, v14
	v_lshrrev_b16_e32 v12, 3, v12
	v_subrev_u32_e32 v16, 28, v14
	v_and_b32_e32 v12, 15, v12
	v_lshlrev_b32_e32 v16, v16, v19
	v_sub_u32_e32 v14, 29, v14
	v_and_b32_e32 v16, 7, v16
	v_cmp_eq_u16_e32 vcc, 0, v12
	v_cndmask_b32_e32 v13, v13, v16, vcc
	v_cndmask_b32_e32 v12, v12, v14, vcc
	v_lshlrev_b32_e32 v14, 24, v19
	v_mov_b32_e32 v16, 0x3b800000
	v_lshlrev_b32_e32 v13, 20, v13
	v_and_b32_e32 v14, 0x80000000, v14
	v_lshl_add_u32 v12, v12, 23, v16
	v_or3_b32 v12, v14, v12, v13
.LBB1_1636:
	s_or_b64 exec, exec, s[6:7]
	s_movk_i32 s4, 0x7f
	v_cmp_gt_i16_sdwa s[6:7], v15, s4 src0_sel:BYTE_0 src1_sel:DWORD
	s_mov_b64 s[4:5], 0
                                        ; implicit-def: $sgpr10
	s_and_saveexec_b64 s[8:9], s[6:7]
	s_xor_b64 s[6:7], exec, s[8:9]
	s_cbranch_execz .LBB1_1637
; %bb.11629:
	s_getpc_b64 s[14:15]
.Lpost_getpc1718:
	s_add_u32 s14, s14, (.LBB1_5733-.Lpost_getpc1718)&4294967295
	s_addc_u32 s15, s15, (.LBB1_5733-.Lpost_getpc1718)>>32
	s_setpc_b64 s[14:15]
.LBB1_1637:
	s_or_saveexec_b64 s[6:7], s[6:7]
	v_mov_b32_e32 v13, s10
	s_xor_b64 exec, exec, s[6:7]
	s_cbranch_execz .LBB1_1638
; %bb.11631:
	s_getpc_b64 s[14:15]
.Lpost_getpc1719:
	s_add_u32 s14, s14, (.LBB1_5736-.Lpost_getpc1719)&4294967295
	s_addc_u32 s15, s15, (.LBB1_5736-.Lpost_getpc1719)>>32
	s_setpc_b64 s[14:15]
.LBB1_1638:
	s_or_b64 exec, exec, s[6:7]
	s_and_saveexec_b64 s[6:7], s[4:5]
	s_cbranch_execz .LBB1_1640
.LBB1_1639:
	v_and_b32_e32 v13, 3, v15
	v_ffbh_u32_e32 v16, v13
	v_min_u32_e32 v16, 32, v16
	v_lshrrev_b16_e32 v14, 2, v15
	v_subrev_u32_e32 v17, 29, v16
	v_and_b32_e32 v14, 31, v14
	v_lshlrev_b32_e32 v17, v17, v15
	v_sub_u32_e32 v16, 30, v16
	v_and_b32_e32 v17, 3, v17
	v_cmp_eq_u16_e32 vcc, 0, v14
	v_cndmask_b32_e32 v13, v13, v17, vcc
	v_cndmask_b32_e32 v14, v14, v16, vcc
	v_lshlrev_b32_e32 v16, 24, v15
	v_mov_b32_e32 v17, 0x37800000
	v_lshlrev_b32_e32 v13, 21, v13
	v_and_b32_e32 v16, 0x80000000, v16
	v_lshl_add_u32 v14, v14, 23, v17
	v_or3_b32 v13, v16, v14, v13
.LBB1_1640:
	s_or_b64 exec, exec, s[6:7]
	s_nop 0
	v_mfma_f32_16x16x4f32 a[0:3], v12, v13, a[0:3]
	v_lshrrev_b32_e32 v13, 8, v19
	s_movk_i32 s4, 0x7f
	v_cmp_gt_i16_sdwa s[6:7], v13, s4 src0_sel:BYTE_0 src1_sel:DWORD
	s_mov_b64 s[4:5], 0
                                        ; implicit-def: $sgpr10
	s_and_saveexec_b64 s[8:9], s[6:7]
	s_xor_b64 s[6:7], exec, s[8:9]
	s_cbranch_execz .LBB1_1641
; %bb.11633:
	s_getpc_b64 s[14:15]
.Lpost_getpc1720:
	s_add_u32 s14, s14, (.LBB1_5737-.Lpost_getpc1720)&4294967295
	s_addc_u32 s15, s15, (.LBB1_5737-.Lpost_getpc1720)>>32
	s_setpc_b64 s[14:15]
.LBB1_1641:
	s_or_saveexec_b64 s[6:7], s[6:7]
	v_mov_b32_e32 v12, s10
	s_xor_b64 exec, exec, s[6:7]
	s_cbranch_execz .LBB1_1642
; %bb.11635:
	s_getpc_b64 s[14:15]
.Lpost_getpc1721:
	s_add_u32 s14, s14, (.LBB1_5740-.Lpost_getpc1721)&4294967295
	s_addc_u32 s15, s15, (.LBB1_5740-.Lpost_getpc1721)>>32
	s_setpc_b64 s[14:15]
.LBB1_1642:
	s_or_b64 exec, exec, s[6:7]
	s_and_saveexec_b64 s[6:7], s[4:5]
	s_cbranch_execz .LBB1_1644
.LBB1_1643:
	v_bfe_u32 v12, v19, 8, 3
	v_ffbh_u32_e32 v16, v12
	v_min_u32_e32 v16, 32, v16
	v_lshrrev_b16_e32 v14, 3, v13
	v_subrev_u32_e32 v17, 28, v16
	v_and_b32_e32 v14, 15, v14
	v_lshlrev_b32_e32 v13, v17, v13
	v_sub_u32_e32 v16, 29, v16
	v_and_b32_e32 v13, 7, v13
	v_cmp_eq_u16_e32 vcc, 0, v14
	v_cndmask_b32_e32 v12, v12, v13, vcc
	v_cndmask_b32_e32 v13, v14, v16, vcc
	v_lshlrev_b32_e32 v14, 16, v19
	v_mov_b32_e32 v16, 0x3b800000
	v_lshlrev_b32_e32 v12, 20, v12
	v_and_b32_e32 v14, 0x80000000, v14
	v_lshl_add_u32 v13, v13, 23, v16
	v_or3_b32 v12, v14, v13, v12
.LBB1_1644:
	s_or_b64 exec, exec, s[6:7]
	v_lshrrev_b32_e32 v13, 8, v15
	s_movk_i32 s4, 0x7f
	v_cmp_gt_i16_sdwa s[6:7], v13, s4 src0_sel:BYTE_0 src1_sel:DWORD
	s_mov_b64 s[4:5], 0
                                        ; implicit-def: $sgpr10
	s_and_saveexec_b64 s[8:9], s[6:7]
	s_xor_b64 s[6:7], exec, s[8:9]
	s_cbranch_execz .LBB1_1645
; %bb.11637:
	s_getpc_b64 s[14:15]
.Lpost_getpc1722:
	s_add_u32 s14, s14, (.LBB1_5741-.Lpost_getpc1722)&4294967295
	s_addc_u32 s15, s15, (.LBB1_5741-.Lpost_getpc1722)>>32
	s_setpc_b64 s[14:15]
.LBB1_1645:
	s_or_saveexec_b64 s[6:7], s[6:7]
	v_mov_b32_e32 v14, s10
	s_xor_b64 exec, exec, s[6:7]
	s_cbranch_execz .LBB1_1646
; %bb.11639:
	s_getpc_b64 s[14:15]
.Lpost_getpc1723:
	s_add_u32 s14, s14, (.LBB1_5744-.Lpost_getpc1723)&4294967295
	s_addc_u32 s15, s15, (.LBB1_5744-.Lpost_getpc1723)>>32
	s_setpc_b64 s[14:15]
.LBB1_1646:
	s_or_b64 exec, exec, s[6:7]
	s_and_saveexec_b64 s[6:7], s[4:5]
	s_cbranch_execz .LBB1_1648
.LBB1_1647:
	v_bfe_u32 v14, v15, 8, 2
	v_ffbh_u32_e32 v17, v14
	v_min_u32_e32 v17, 32, v17
	v_lshrrev_b16_e32 v16, 2, v13
	v_subrev_u32_e32 v18, 29, v17
	v_and_b32_e32 v16, 31, v16
	v_lshlrev_b32_e32 v13, v18, v13
	v_sub_u32_e32 v17, 30, v17
	v_and_b32_e32 v13, 3, v13
	v_cmp_eq_u16_e32 vcc, 0, v16
	v_cndmask_b32_e32 v13, v14, v13, vcc
	v_cndmask_b32_e32 v14, v16, v17, vcc
	v_lshlrev_b32_e32 v16, 16, v15
	v_mov_b32_e32 v17, 0x37800000
	v_lshlrev_b32_e32 v13, 21, v13
	v_and_b32_e32 v16, 0x80000000, v16
	v_lshl_add_u32 v14, v14, 23, v17
	v_or3_b32 v14, v16, v14, v13
.LBB1_1648:
	s_or_b64 exec, exec, s[6:7]
	s_nop 0
	v_mfma_f32_16x16x4f32 a[0:3], v12, v14, a[0:3]
	s_movk_i32 s4, 0xff
	v_and_b32_sdwa v13, v19, s4 dst_sel:DWORD dst_unused:UNUSED_PAD src0_sel:WORD_1 src1_sel:DWORD
	s_movk_i32 s4, 0x7f
	v_cmp_lt_i16_e32 vcc, s4, v13
	s_mov_b64 s[4:5], 0
                                        ; implicit-def: $sgpr10
	s_and_saveexec_b64 s[6:7], vcc
	s_xor_b64 s[6:7], exec, s[6:7]
	s_cbranch_execz .LBB1_1649
; %bb.11641:
	s_getpc_b64 s[14:15]
.Lpost_getpc1724:
	s_add_u32 s14, s14, (.LBB1_5745-.Lpost_getpc1724)&4294967295
	s_addc_u32 s15, s15, (.LBB1_5745-.Lpost_getpc1724)>>32
	s_setpc_b64 s[14:15]
.LBB1_1649:
	s_or_saveexec_b64 s[6:7], s[6:7]
	v_mov_b32_e32 v12, s10
	s_xor_b64 exec, exec, s[6:7]
	s_cbranch_execz .LBB1_1650
; %bb.11643:
	s_getpc_b64 s[14:15]
.Lpost_getpc1725:
	s_add_u32 s14, s14, (.LBB1_5748-.Lpost_getpc1725)&4294967295
	s_addc_u32 s15, s15, (.LBB1_5748-.Lpost_getpc1725)>>32
	s_setpc_b64 s[14:15]
.LBB1_1650:
	s_or_b64 exec, exec, s[6:7]
	s_and_saveexec_b64 s[6:7], s[4:5]
	s_cbranch_execz .LBB1_1652
.LBB1_1651:
	v_bfe_u32 v12, v19, 16, 3
	v_ffbh_u32_e32 v16, v12
	v_min_u32_e32 v16, 32, v16
	v_lshrrev_b32_e32 v13, 19, v19
	v_subrev_u32_e32 v17, 28, v16
	v_and_b32_e32 v13, 15, v13
	v_lshlrev_b32_sdwa v17, v17, v19 dst_sel:DWORD dst_unused:UNUSED_PAD src0_sel:DWORD src1_sel:WORD_1
	v_bfe_u32 v14, v19, 19, 4
	v_sub_u32_e32 v16, 29, v16
	v_and_b32_e32 v17, 7, v17
	v_cmp_eq_u16_e32 vcc, 0, v13
	v_cndmask_b32_e32 v12, v12, v17, vcc
	v_cndmask_b32_e32 v13, v14, v16, vcc
	v_lshlrev_b32_e32 v14, 8, v19
	v_mov_b32_e32 v16, 0x3b800000
	v_lshlrev_b32_e32 v12, 20, v12
	v_and_b32_e32 v14, 0x80000000, v14
	v_lshl_add_u32 v13, v13, 23, v16
	v_or3_b32 v12, v14, v13, v12
.LBB1_1652:
	s_or_b64 exec, exec, s[6:7]
	s_movk_i32 s4, 0xff
	v_and_b32_sdwa v13, v15, s4 dst_sel:DWORD dst_unused:UNUSED_PAD src0_sel:WORD_1 src1_sel:DWORD
	s_movk_i32 s4, 0x7f
	v_cmp_lt_i16_e32 vcc, s4, v13
	s_mov_b64 s[4:5], 0
                                        ; implicit-def: $sgpr10
	s_and_saveexec_b64 s[6:7], vcc
	s_xor_b64 s[6:7], exec, s[6:7]
	s_cbranch_execz .LBB1_1653
; %bb.11645:
	s_getpc_b64 s[14:15]
.Lpost_getpc1726:
	s_add_u32 s14, s14, (.LBB1_5749-.Lpost_getpc1726)&4294967295
	s_addc_u32 s15, s15, (.LBB1_5749-.Lpost_getpc1726)>>32
	s_setpc_b64 s[14:15]
.LBB1_1653:
	s_or_saveexec_b64 s[6:7], s[6:7]
	v_mov_b32_e32 v14, s10
	s_xor_b64 exec, exec, s[6:7]
	s_cbranch_execz .LBB1_1654
; %bb.11647:
	s_getpc_b64 s[14:15]
.Lpost_getpc1727:
	s_add_u32 s14, s14, (.LBB1_5752-.Lpost_getpc1727)&4294967295
	s_addc_u32 s15, s15, (.LBB1_5752-.Lpost_getpc1727)>>32
	s_setpc_b64 s[14:15]
.LBB1_1654:
	s_or_b64 exec, exec, s[6:7]
	s_and_saveexec_b64 s[6:7], s[4:5]
	s_cbranch_execz .LBB1_1656
.LBB1_1655:
	v_bfe_u32 v13, v15, 16, 2
	v_ffbh_u32_e32 v17, v13
	v_min_u32_e32 v17, 32, v17
	v_lshrrev_b32_e32 v14, 18, v15
	v_subrev_u32_e32 v18, 29, v17
	v_and_b32_e32 v14, 31, v14
	v_lshlrev_b32_sdwa v18, v18, v15 dst_sel:DWORD dst_unused:UNUSED_PAD src0_sel:DWORD src1_sel:WORD_1
	v_bfe_u32 v16, v15, 18, 5
	v_sub_u32_e32 v17, 30, v17
	v_and_b32_e32 v18, 3, v18
	v_cmp_eq_u16_e32 vcc, 0, v14
	v_cndmask_b32_e32 v13, v13, v18, vcc
	v_cndmask_b32_e32 v14, v16, v17, vcc
	v_lshlrev_b32_e32 v16, 8, v15
	v_mov_b32_e32 v17, 0x37800000
	v_lshlrev_b32_e32 v13, 21, v13
	v_and_b32_e32 v16, 0x80000000, v16
	v_lshl_add_u32 v14, v14, 23, v17
	v_or3_b32 v14, v16, v14, v13
.LBB1_1656:
	s_or_b64 exec, exec, s[6:7]
	s_nop 0
	v_mfma_f32_16x16x4f32 a[0:3], v12, v14, a[0:3]
	s_movk_i32 s4, 0x7f
	v_cmp_gt_i16_sdwa s[6:7], v19, s4 src0_sel:BYTE_3 src1_sel:DWORD
	s_mov_b64 s[4:5], 0
                                        ; implicit-def: $sgpr10
	s_and_saveexec_b64 s[8:9], s[6:7]
	s_xor_b64 s[6:7], exec, s[8:9]
	s_cbranch_execz .LBB1_1657
; %bb.11649:
	s_getpc_b64 s[14:15]
.Lpost_getpc1728:
	s_add_u32 s14, s14, (.LBB1_5753-.Lpost_getpc1728)&4294967295
	s_addc_u32 s15, s15, (.LBB1_5753-.Lpost_getpc1728)>>32
	s_setpc_b64 s[14:15]
.LBB1_1657:
	s_or_saveexec_b64 s[6:7], s[6:7]
	v_mov_b32_e32 v12, s10
	s_xor_b64 exec, exec, s[6:7]
	s_cbranch_execz .LBB1_1658
; %bb.11651:
	s_getpc_b64 s[14:15]
.Lpost_getpc1729:
	s_add_u32 s14, s14, (.LBB1_5756-.Lpost_getpc1729)&4294967295
	s_addc_u32 s15, s15, (.LBB1_5756-.Lpost_getpc1729)>>32
	s_setpc_b64 s[14:15]
.LBB1_1658:
	s_or_b64 exec, exec, s[6:7]
	s_and_saveexec_b64 s[6:7], s[4:5]
	s_cbranch_execz .LBB1_1660
.LBB1_1659:
	v_bfe_u32 v12, v19, 24, 3
	v_ffbh_u32_e32 v17, v12
	v_min_u32_e32 v17, 32, v17
	v_lshrrev_b32_e32 v14, 27, v19
	v_subrev_u32_e32 v18, 28, v17
	v_and_b32_e32 v14, 15, v14
	v_lshlrev_b32_sdwa v18, v18, v19 dst_sel:DWORD dst_unused:UNUSED_PAD src0_sel:DWORD src1_sel:BYTE_3
	v_bfe_u32 v16, v19, 27, 4
	v_sub_u32_e32 v17, 29, v17
	v_and_b32_e32 v18, 7, v18
	v_cmp_eq_u16_e32 vcc, 0, v14
	v_cndmask_b32_e32 v12, v12, v18, vcc
	v_cndmask_b32_e32 v14, v16, v17, vcc
	v_mov_b32_e32 v16, 0x3b800000
	v_and_b32_e32 v13, 0x80000000, v19
	v_lshlrev_b32_e32 v12, 20, v12
	v_lshl_add_u32 v14, v14, 23, v16
	v_or3_b32 v12, v13, v14, v12
.LBB1_1660:
	s_or_b64 exec, exec, s[6:7]
	s_movk_i32 s4, 0x7f
	v_cmp_gt_i16_sdwa s[6:7], v15, s4 src0_sel:BYTE_3 src1_sel:DWORD
	s_mov_b64 s[4:5], 0
                                        ; implicit-def: $sgpr10
	s_and_saveexec_b64 s[8:9], s[6:7]
	s_xor_b64 s[6:7], exec, s[8:9]
	s_cbranch_execz .LBB1_1661
; %bb.11653:
	s_getpc_b64 s[14:15]
.Lpost_getpc1730:
	s_add_u32 s14, s14, (.LBB1_5757-.Lpost_getpc1730)&4294967295
	s_addc_u32 s15, s15, (.LBB1_5757-.Lpost_getpc1730)>>32
	s_setpc_b64 s[14:15]
.LBB1_1661:
	s_or_saveexec_b64 s[6:7], s[6:7]
	v_mov_b32_e32 v13, s10
	s_xor_b64 exec, exec, s[6:7]
	s_cbranch_execz .LBB1_1662
; %bb.11655:
	s_getpc_b64 s[14:15]
.Lpost_getpc1731:
	s_add_u32 s14, s14, (.LBB1_5760-.Lpost_getpc1731)&4294967295
	s_addc_u32 s15, s15, (.LBB1_5760-.Lpost_getpc1731)>>32
	s_setpc_b64 s[14:15]
.LBB1_1662:
	s_or_b64 exec, exec, s[6:7]
	s_and_saveexec_b64 s[6:7], s[4:5]
	s_cbranch_execz .LBB1_1664
.LBB1_1663:
	v_bfe_u32 v13, v15, 24, 2
	v_ffbh_u32_e32 v18, v13
	v_min_u32_e32 v18, 32, v18
	v_lshrrev_b32_e32 v16, 26, v15
	v_subrev_u32_e32 v19, 29, v18
	v_and_b32_e32 v14, 0x80000000, v15
	v_and_b32_e32 v16, 31, v16
	v_bfe_u32 v17, v15, 26, 5
	v_lshlrev_b32_sdwa v15, v19, v15 dst_sel:DWORD dst_unused:UNUSED_PAD src0_sel:DWORD src1_sel:BYTE_3
	v_sub_u32_e32 v18, 30, v18
	v_and_b32_e32 v15, 3, v15
	v_cmp_eq_u16_e32 vcc, 0, v16
	v_cndmask_b32_e32 v13, v13, v15, vcc
	v_cndmask_b32_e32 v15, v17, v18, vcc
	v_mov_b32_e32 v16, 0x37800000
	v_lshlrev_b32_e32 v13, 21, v13
	v_lshl_add_u32 v15, v15, 23, v16
	v_or3_b32 v13, v14, v15, v13
.LBB1_1664:
	s_or_b64 exec, exec, s[6:7]
	s_nop 0
	v_mfma_f32_16x16x4f32 a[0:3], v12, v13, a[0:3]
	v_mov_b32_e32 v16, 8
	s_movk_i32 s4, 0x7f
                                        ; implicit-def: $sgpr10
	s_nop 7
	s_nop 0
	flat_store_dwordx4 v[10:11], a[0:3] offset:192
	flat_load_dword v14, v[0:1] offset:544
	flat_load_dwordx2 v[12:13], v[6:7]
	s_waitcnt vmcnt(0) lgkmcnt(0)
	v_ashrrev_i32_e32 v15, 31, v14
	v_add_co_u32_e32 v12, vcc, v12, v14
	v_addc_co_u32_e32 v13, vcc, v13, v15, vcc
	flat_load_dwordx4 v[12:15], v[12:13] offset:512
	s_waitcnt vmcnt(0) lgkmcnt(0)
	v_lshrrev_b32_sdwa v20, v16, v14 dst_sel:BYTE_1 dst_unused:UNUSED_PAD src0_sel:DWORD src1_sel:DWORD
	flat_store_dwordx4 v[8:9], v[12:15]
	flat_load_dwordx4 v[16:19], v[4:5]
	s_waitcnt vmcnt(0) lgkmcnt(0)
	v_cmp_gt_i16_sdwa s[6:7], v16, s4 src0_sel:BYTE_0 src1_sel:DWORD
	s_mov_b64 s[4:5], 0
	s_and_saveexec_b64 s[8:9], s[6:7]
	s_xor_b64 s[6:7], exec, s[8:9]
	s_cbranch_execz .LBB1_1665
; %bb.11657:
	s_getpc_b64 s[14:15]
.Lpost_getpc1732:
	s_add_u32 s14, s14, (.LBB1_5761-.Lpost_getpc1732)&4294967295
	s_addc_u32 s15, s15, (.LBB1_5761-.Lpost_getpc1732)>>32
	s_setpc_b64 s[14:15]
.LBB1_1665:
	s_or_saveexec_b64 s[6:7], s[6:7]
	v_mov_b32_e32 v21, s10
	s_xor_b64 exec, exec, s[6:7]
	s_cbranch_execz .LBB1_1666
; %bb.11659:
	s_getpc_b64 s[14:15]
.Lpost_getpc1733:
	s_add_u32 s14, s14, (.LBB1_5764-.Lpost_getpc1733)&4294967295
	s_addc_u32 s15, s15, (.LBB1_5764-.Lpost_getpc1733)>>32
	s_setpc_b64 s[14:15]
.LBB1_1666:
	s_or_b64 exec, exec, s[6:7]
	s_and_saveexec_b64 s[6:7], s[4:5]
	s_cbranch_execz .LBB1_1668
.LBB1_1667:
	v_and_b32_e32 v21, 7, v16
	v_ffbh_u32_e32 v23, v21
	v_min_u32_e32 v23, 32, v23
	v_lshrrev_b16_e32 v22, 3, v16
	v_subrev_u32_e32 v24, 28, v23
	v_and_b32_e32 v22, 15, v22
	v_lshlrev_b32_e32 v24, v24, v16
	v_sub_u32_e32 v23, 29, v23
	v_and_b32_e32 v24, 7, v24
	v_cmp_eq_u16_e32 vcc, 0, v22
	v_cndmask_b32_e32 v21, v21, v24, vcc
	v_cndmask_b32_e32 v22, v22, v23, vcc
	v_lshlrev_b32_e32 v23, 24, v16
	v_mov_b32_e32 v24, 0x3b800000
	v_lshlrev_b32_e32 v21, 20, v21
	v_and_b32_e32 v23, 0x80000000, v23
	v_lshl_add_u32 v22, v22, 23, v24
	v_or3_b32 v21, v23, v22, v21
.LBB1_1668:
	s_or_b64 exec, exec, s[6:7]
	s_movk_i32 s4, 0x7f
	v_cmp_gt_i16_sdwa s[6:7], v12, s4 src0_sel:BYTE_0 src1_sel:DWORD
	s_mov_b64 s[4:5], 0
                                        ; implicit-def: $sgpr10
	s_and_saveexec_b64 s[8:9], s[6:7]
	s_xor_b64 s[6:7], exec, s[8:9]
	s_cbranch_execz .LBB1_1669
; %bb.11661:
	s_getpc_b64 s[14:15]
.Lpost_getpc1734:
	s_add_u32 s14, s14, (.LBB1_5765-.Lpost_getpc1734)&4294967295
	s_addc_u32 s15, s15, (.LBB1_5765-.Lpost_getpc1734)>>32
	s_setpc_b64 s[14:15]
.LBB1_1669:
	s_or_saveexec_b64 s[6:7], s[6:7]
	v_mov_b32_e32 v22, s10
	s_xor_b64 exec, exec, s[6:7]
	s_cbranch_execz .LBB1_1670
; %bb.11663:
	s_getpc_b64 s[14:15]
.Lpost_getpc1735:
	s_add_u32 s14, s14, (.LBB1_5768-.Lpost_getpc1735)&4294967295
	s_addc_u32 s15, s15, (.LBB1_5768-.Lpost_getpc1735)>>32
	s_setpc_b64 s[14:15]
.LBB1_1670:
	s_or_b64 exec, exec, s[6:7]
	s_and_saveexec_b64 s[6:7], s[4:5]
	s_cbranch_execz .LBB1_1672
.LBB1_1671:
	v_and_b32_e32 v22, 3, v12
	v_ffbh_u32_e32 v24, v22
	v_min_u32_e32 v24, 32, v24
	v_lshrrev_b16_e32 v23, 2, v12
	v_subrev_u32_e32 v25, 29, v24
	v_and_b32_e32 v23, 31, v23
	v_lshlrev_b32_e32 v25, v25, v12
	v_sub_u32_e32 v24, 30, v24
	v_and_b32_e32 v25, 3, v25
	v_cmp_eq_u16_e32 vcc, 0, v23
	v_cndmask_b32_e32 v22, v22, v25, vcc
	v_cndmask_b32_e32 v23, v23, v24, vcc
	v_lshlrev_b32_e32 v24, 24, v12
	v_mov_b32_e32 v25, 0x37800000
	v_lshlrev_b32_e32 v22, 21, v22
	v_and_b32_e32 v24, 0x80000000, v24
	v_lshl_add_u32 v23, v23, 23, v25
	v_or3_b32 v22, v24, v23, v22
.LBB1_1672:
	s_or_b64 exec, exec, s[6:7]
	flat_load_dwordx4 a[0:3], v[10:11] offset:208
	s_movk_i32 s4, 0x7f
                                        ; implicit-def: $sgpr10
	s_waitcnt vmcnt(0) lgkmcnt(0)
	v_mfma_f32_16x16x4f32 a[0:3], v21, v22, a[0:3]
	v_lshrrev_b32_e32 v22, 8, v16
	v_cmp_gt_i16_sdwa s[6:7], v22, s4 src0_sel:BYTE_0 src1_sel:DWORD
	s_mov_b64 s[4:5], 0
	s_and_saveexec_b64 s[8:9], s[6:7]
	s_xor_b64 s[6:7], exec, s[8:9]
	s_cbranch_execz .LBB1_1673
; %bb.11665:
	s_getpc_b64 s[14:15]
.Lpost_getpc1736:
	s_add_u32 s14, s14, (.LBB1_5769-.Lpost_getpc1736)&4294967295
	s_addc_u32 s15, s15, (.LBB1_5769-.Lpost_getpc1736)>>32
	s_setpc_b64 s[14:15]
.LBB1_1673:
	s_or_saveexec_b64 s[6:7], s[6:7]
	v_mov_b32_e32 v21, s10
	s_xor_b64 exec, exec, s[6:7]
	s_cbranch_execz .LBB1_1674
; %bb.11667:
	s_getpc_b64 s[14:15]
.Lpost_getpc1737:
	s_add_u32 s14, s14, (.LBB1_5772-.Lpost_getpc1737)&4294967295
	s_addc_u32 s15, s15, (.LBB1_5772-.Lpost_getpc1737)>>32
	s_setpc_b64 s[14:15]
.LBB1_1674:
	s_or_b64 exec, exec, s[6:7]
	s_and_saveexec_b64 s[6:7], s[4:5]
	s_cbranch_execz .LBB1_1676
.LBB1_1675:
	v_bfe_u32 v21, v16, 8, 3
	v_ffbh_u32_e32 v24, v21
	v_min_u32_e32 v24, 32, v24
	v_lshrrev_b16_e32 v23, 3, v22
	v_subrev_u32_e32 v25, 28, v24
	v_and_b32_e32 v23, 15, v23
	v_lshlrev_b32_e32 v22, v25, v22
	v_sub_u32_e32 v24, 29, v24
	v_and_b32_e32 v22, 7, v22
	v_cmp_eq_u16_e32 vcc, 0, v23
	v_cndmask_b32_e32 v21, v21, v22, vcc
	v_cndmask_b32_e32 v22, v23, v24, vcc
	v_lshlrev_b32_e32 v23, 16, v16
	v_mov_b32_e32 v24, 0x3b800000
	v_lshlrev_b32_e32 v21, 20, v21
	v_and_b32_e32 v23, 0x80000000, v23
	v_lshl_add_u32 v22, v22, 23, v24
	v_or3_b32 v21, v23, v22, v21
.LBB1_1676:
	s_or_b64 exec, exec, s[6:7]
	v_lshrrev_b32_e32 v22, 8, v12
	s_movk_i32 s4, 0x7f
	v_cmp_gt_i16_sdwa s[6:7], v22, s4 src0_sel:BYTE_0 src1_sel:DWORD
	s_mov_b64 s[4:5], 0
                                        ; implicit-def: $sgpr10
	s_and_saveexec_b64 s[8:9], s[6:7]
	s_xor_b64 s[6:7], exec, s[8:9]
	s_cbranch_execz .LBB1_1677
; %bb.11669:
	s_getpc_b64 s[14:15]
.Lpost_getpc1738:
	s_add_u32 s14, s14, (.LBB1_5773-.Lpost_getpc1738)&4294967295
	s_addc_u32 s15, s15, (.LBB1_5773-.Lpost_getpc1738)>>32
	s_setpc_b64 s[14:15]
.LBB1_1677:
	s_or_saveexec_b64 s[6:7], s[6:7]
	v_mov_b32_e32 v23, s10
	s_xor_b64 exec, exec, s[6:7]
	s_cbranch_execz .LBB1_1678
; %bb.11671:
	s_getpc_b64 s[14:15]
.Lpost_getpc1739:
	s_add_u32 s14, s14, (.LBB1_5776-.Lpost_getpc1739)&4294967295
	s_addc_u32 s15, s15, (.LBB1_5776-.Lpost_getpc1739)>>32
	s_setpc_b64 s[14:15]
.LBB1_1678:
	s_or_b64 exec, exec, s[6:7]
	s_and_saveexec_b64 s[6:7], s[4:5]
	s_cbranch_execz .LBB1_1680
.LBB1_1679:
	v_bfe_u32 v23, v12, 8, 2
	v_ffbh_u32_e32 v25, v23
	v_min_u32_e32 v25, 32, v25
	v_lshrrev_b16_e32 v24, 2, v22
	v_subrev_u32_e32 v26, 29, v25
	v_and_b32_e32 v24, 31, v24
	v_lshlrev_b32_e32 v22, v26, v22
	v_sub_u32_e32 v25, 30, v25
	v_and_b32_e32 v22, 3, v22
	v_cmp_eq_u16_e32 vcc, 0, v24
	v_cndmask_b32_e32 v22, v23, v22, vcc
	v_cndmask_b32_e32 v23, v24, v25, vcc
	v_lshlrev_b32_e32 v24, 16, v12
	v_mov_b32_e32 v25, 0x37800000
	v_lshlrev_b32_e32 v22, 21, v22
	v_and_b32_e32 v24, 0x80000000, v24
	v_lshl_add_u32 v23, v23, 23, v25
	v_or3_b32 v23, v24, v23, v22
.LBB1_1680:
	s_or_b64 exec, exec, s[6:7]
	s_nop 0
	v_mfma_f32_16x16x4f32 a[0:3], v21, v23, a[0:3]
	s_movk_i32 s4, 0xff
	v_and_b32_sdwa v22, v16, s4 dst_sel:DWORD dst_unused:UNUSED_PAD src0_sel:WORD_1 src1_sel:DWORD
	s_movk_i32 s4, 0x7f
	v_cmp_lt_i16_e32 vcc, s4, v22
	s_mov_b64 s[4:5], 0
                                        ; implicit-def: $sgpr10
	s_and_saveexec_b64 s[6:7], vcc
	s_xor_b64 s[6:7], exec, s[6:7]
	s_cbranch_execz .LBB1_1681
; %bb.11673:
	s_getpc_b64 s[14:15]
.Lpost_getpc1740:
	s_add_u32 s14, s14, (.LBB1_5777-.Lpost_getpc1740)&4294967295
	s_addc_u32 s15, s15, (.LBB1_5777-.Lpost_getpc1740)>>32
	s_setpc_b64 s[14:15]
.LBB1_1681:
	s_or_saveexec_b64 s[6:7], s[6:7]
	v_mov_b32_e32 v21, s10
	s_xor_b64 exec, exec, s[6:7]
	s_cbranch_execz .LBB1_1682
; %bb.11675:
	s_getpc_b64 s[14:15]
.Lpost_getpc1741:
	s_add_u32 s14, s14, (.LBB1_5780-.Lpost_getpc1741)&4294967295
	s_addc_u32 s15, s15, (.LBB1_5780-.Lpost_getpc1741)>>32
	s_setpc_b64 s[14:15]
.LBB1_1682:
	s_or_b64 exec, exec, s[6:7]
	s_and_saveexec_b64 s[6:7], s[4:5]
	s_cbranch_execz .LBB1_1684
.LBB1_1683:
	v_bfe_u32 v21, v16, 16, 3
	v_ffbh_u32_e32 v24, v21
	v_min_u32_e32 v24, 32, v24
	v_lshrrev_b32_e32 v22, 19, v16
	v_subrev_u32_e32 v25, 28, v24
	v_and_b32_e32 v22, 15, v22
	v_lshlrev_b32_sdwa v25, v25, v16 dst_sel:DWORD dst_unused:UNUSED_PAD src0_sel:DWORD src1_sel:WORD_1
	v_bfe_u32 v23, v16, 19, 4
	v_sub_u32_e32 v24, 29, v24
	v_and_b32_e32 v25, 7, v25
	v_cmp_eq_u16_e32 vcc, 0, v22
	v_cndmask_b32_e32 v21, v21, v25, vcc
	v_cndmask_b32_e32 v22, v23, v24, vcc
	v_lshlrev_b32_e32 v23, 8, v16
	v_mov_b32_e32 v24, 0x3b800000
	v_lshlrev_b32_e32 v21, 20, v21
	v_and_b32_e32 v23, 0x80000000, v23
	v_lshl_add_u32 v22, v22, 23, v24
	v_or3_b32 v21, v23, v22, v21
.LBB1_1684:
	s_or_b64 exec, exec, s[6:7]
	s_movk_i32 s4, 0xff
	v_and_b32_sdwa v22, v12, s4 dst_sel:DWORD dst_unused:UNUSED_PAD src0_sel:WORD_1 src1_sel:DWORD
	s_movk_i32 s4, 0x7f
	v_cmp_lt_i16_e32 vcc, s4, v22
	s_mov_b64 s[4:5], 0
                                        ; implicit-def: $sgpr10
	s_and_saveexec_b64 s[6:7], vcc
	s_xor_b64 s[6:7], exec, s[6:7]
	s_cbranch_execz .LBB1_1685
; %bb.11677:
	s_getpc_b64 s[14:15]
.Lpost_getpc1742:
	s_add_u32 s14, s14, (.LBB1_5781-.Lpost_getpc1742)&4294967295
	s_addc_u32 s15, s15, (.LBB1_5781-.Lpost_getpc1742)>>32
	s_setpc_b64 s[14:15]
.LBB1_1685:
	s_or_saveexec_b64 s[6:7], s[6:7]
	v_mov_b32_e32 v23, s10
	s_xor_b64 exec, exec, s[6:7]
	s_cbranch_execz .LBB1_1686
; %bb.11679:
	s_getpc_b64 s[14:15]
.Lpost_getpc1743:
	s_add_u32 s14, s14, (.LBB1_5784-.Lpost_getpc1743)&4294967295
	s_addc_u32 s15, s15, (.LBB1_5784-.Lpost_getpc1743)>>32
	s_setpc_b64 s[14:15]
.LBB1_1686:
	s_or_b64 exec, exec, s[6:7]
	s_and_saveexec_b64 s[6:7], s[4:5]
	s_cbranch_execz .LBB1_1688
.LBB1_1687:
	v_bfe_u32 v22, v12, 16, 2
	v_ffbh_u32_e32 v25, v22
	v_min_u32_e32 v25, 32, v25
	v_lshrrev_b32_e32 v23, 18, v12
	v_subrev_u32_e32 v26, 29, v25
	v_and_b32_e32 v23, 31, v23
	v_lshlrev_b32_sdwa v26, v26, v12 dst_sel:DWORD dst_unused:UNUSED_PAD src0_sel:DWORD src1_sel:WORD_1
	v_bfe_u32 v24, v12, 18, 5
	v_sub_u32_e32 v25, 30, v25
	v_and_b32_e32 v26, 3, v26
	v_cmp_eq_u16_e32 vcc, 0, v23
	v_cndmask_b32_e32 v22, v22, v26, vcc
	v_cndmask_b32_e32 v23, v24, v25, vcc
	v_lshlrev_b32_e32 v24, 8, v12
	v_mov_b32_e32 v25, 0x37800000
	v_lshlrev_b32_e32 v22, 21, v22
	v_and_b32_e32 v24, 0x80000000, v24
	v_lshl_add_u32 v23, v23, 23, v25
	v_or3_b32 v23, v24, v23, v22
.LBB1_1688:
	s_or_b64 exec, exec, s[6:7]
	s_nop 0
	v_mfma_f32_16x16x4f32 a[0:3], v21, v23, a[0:3]
	s_movk_i32 s4, 0x7f
	v_cmp_gt_i16_sdwa s[6:7], v16, s4 src0_sel:BYTE_3 src1_sel:DWORD
	s_mov_b64 s[4:5], 0
                                        ; implicit-def: $sgpr10
	s_and_saveexec_b64 s[8:9], s[6:7]
	s_xor_b64 s[6:7], exec, s[8:9]
	s_cbranch_execz .LBB1_1689
; %bb.11681:
	s_getpc_b64 s[14:15]
.Lpost_getpc1744:
	s_add_u32 s14, s14, (.LBB1_5785-.Lpost_getpc1744)&4294967295
	s_addc_u32 s15, s15, (.LBB1_5785-.Lpost_getpc1744)>>32
	s_setpc_b64 s[14:15]
.LBB1_1689:
	s_or_saveexec_b64 s[6:7], s[6:7]
	v_mov_b32_e32 v21, s10
	s_xor_b64 exec, exec, s[6:7]
	s_cbranch_execz .LBB1_1690
; %bb.11683:
	s_getpc_b64 s[14:15]
.Lpost_getpc1745:
	s_add_u32 s14, s14, (.LBB1_5788-.Lpost_getpc1745)&4294967295
	s_addc_u32 s15, s15, (.LBB1_5788-.Lpost_getpc1745)>>32
	s_setpc_b64 s[14:15]
.LBB1_1690:
	s_or_b64 exec, exec, s[6:7]
	s_and_saveexec_b64 s[6:7], s[4:5]
	s_cbranch_execz .LBB1_1692
.LBB1_1691:
	v_bfe_u32 v21, v16, 24, 3
	v_ffbh_u32_e32 v25, v21
	v_min_u32_e32 v25, 32, v25
	v_lshrrev_b32_e32 v23, 27, v16
	v_subrev_u32_e32 v26, 28, v25
	v_and_b32_e32 v22, 0x80000000, v16
	v_and_b32_e32 v23, 15, v23
	v_bfe_u32 v24, v16, 27, 4
	v_lshlrev_b32_sdwa v16, v26, v16 dst_sel:DWORD dst_unused:UNUSED_PAD src0_sel:DWORD src1_sel:BYTE_3
	v_sub_u32_e32 v25, 29, v25
	v_and_b32_e32 v16, 7, v16
	v_cmp_eq_u16_e32 vcc, 0, v23
	v_cndmask_b32_e32 v16, v21, v16, vcc
	v_cndmask_b32_e32 v21, v24, v25, vcc
	v_mov_b32_e32 v23, 0x3b800000
	v_lshlrev_b32_e32 v16, 20, v16
	v_lshl_add_u32 v21, v21, 23, v23
	v_or3_b32 v21, v22, v21, v16
.LBB1_1692:
	s_or_b64 exec, exec, s[6:7]
	s_movk_i32 s4, 0x7f
	v_cmp_gt_i16_sdwa s[6:7], v12, s4 src0_sel:BYTE_3 src1_sel:DWORD
	s_mov_b64 s[4:5], 0
                                        ; implicit-def: $sgpr10
	s_and_saveexec_b64 s[8:9], s[6:7]
	s_xor_b64 s[6:7], exec, s[8:9]
	s_cbranch_execz .LBB1_1693
; %bb.11685:
	s_getpc_b64 s[14:15]
.Lpost_getpc1746:
	s_add_u32 s14, s14, (.LBB1_5789-.Lpost_getpc1746)&4294967295
	s_addc_u32 s15, s15, (.LBB1_5789-.Lpost_getpc1746)>>32
	s_setpc_b64 s[14:15]
.LBB1_1693:
	s_or_saveexec_b64 s[6:7], s[6:7]
	v_mov_b32_e32 v16, s10
	s_xor_b64 exec, exec, s[6:7]
	s_cbranch_execz .LBB1_1694
; %bb.11687:
	s_getpc_b64 s[14:15]
.Lpost_getpc1747:
	s_add_u32 s14, s14, (.LBB1_5792-.Lpost_getpc1747)&4294967295
	s_addc_u32 s15, s15, (.LBB1_5792-.Lpost_getpc1747)>>32
	s_setpc_b64 s[14:15]
.LBB1_1694:
	s_or_b64 exec, exec, s[6:7]
	s_and_saveexec_b64 s[6:7], s[4:5]
	s_cbranch_execz .LBB1_1696
.LBB1_1695:
	v_bfe_u32 v16, v12, 24, 2
	v_ffbh_u32_e32 v25, v16
	v_min_u32_e32 v25, 32, v25
	v_lshrrev_b32_e32 v23, 26, v12
	v_subrev_u32_e32 v26, 29, v25
	v_and_b32_e32 v22, 0x80000000, v12
	v_and_b32_e32 v23, 31, v23
	v_bfe_u32 v24, v12, 26, 5
	v_lshlrev_b32_sdwa v12, v26, v12 dst_sel:DWORD dst_unused:UNUSED_PAD src0_sel:DWORD src1_sel:BYTE_3
	v_sub_u32_e32 v25, 30, v25
	v_and_b32_e32 v12, 3, v12
	v_cmp_eq_u16_e32 vcc, 0, v23
	v_cndmask_b32_e32 v12, v16, v12, vcc
	v_cndmask_b32_e32 v16, v24, v25, vcc
	v_mov_b32_e32 v23, 0x37800000
	v_lshlrev_b32_e32 v12, 21, v12
	v_lshl_add_u32 v16, v16, 23, v23
	v_or3_b32 v16, v22, v16, v12
.LBB1_1696:
	s_or_b64 exec, exec, s[6:7]
	s_nop 0
	v_mfma_f32_16x16x4f32 a[0:3], v21, v16, a[0:3]
	s_movk_i32 s4, 0x7f
	v_cmp_gt_i16_sdwa s[6:7], v17, s4 src0_sel:BYTE_0 src1_sel:DWORD
	s_mov_b64 s[4:5], 0
                                        ; implicit-def: $sgpr10
	s_and_saveexec_b64 s[8:9], s[6:7]
	s_xor_b64 s[6:7], exec, s[8:9]
	s_cbranch_execz .LBB1_1697
; %bb.11689:
	s_getpc_b64 s[14:15]
.Lpost_getpc1748:
	s_add_u32 s14, s14, (.LBB1_5793-.Lpost_getpc1748)&4294967295
	s_addc_u32 s15, s15, (.LBB1_5793-.Lpost_getpc1748)>>32
	s_setpc_b64 s[14:15]
.LBB1_1697:
	s_or_saveexec_b64 s[6:7], s[6:7]
	v_mov_b32_e32 v12, s10
	s_xor_b64 exec, exec, s[6:7]
	s_cbranch_execz .LBB1_1698
; %bb.11691:
	s_getpc_b64 s[14:15]
.Lpost_getpc1749:
	s_add_u32 s14, s14, (.LBB1_5796-.Lpost_getpc1749)&4294967295
	s_addc_u32 s15, s15, (.LBB1_5796-.Lpost_getpc1749)>>32
	s_setpc_b64 s[14:15]
.LBB1_1698:
	s_or_b64 exec, exec, s[6:7]
	s_and_saveexec_b64 s[6:7], s[4:5]
	s_cbranch_execz .LBB1_1700
.LBB1_1699:
	v_and_b32_e32 v12, 7, v17
	v_ffbh_u32_e32 v21, v12
	v_min_u32_e32 v21, 32, v21
	v_lshrrev_b16_e32 v16, 3, v17
	v_subrev_u32_e32 v22, 28, v21
	v_and_b32_e32 v16, 15, v16
	v_lshlrev_b32_e32 v22, v22, v17
	v_sub_u32_e32 v21, 29, v21
	v_and_b32_e32 v22, 7, v22
	v_cmp_eq_u16_e32 vcc, 0, v16
	v_cndmask_b32_e32 v12, v12, v22, vcc
	v_cndmask_b32_e32 v16, v16, v21, vcc
	v_lshlrev_b32_e32 v21, 24, v17
	v_mov_b32_e32 v22, 0x3b800000
	v_lshlrev_b32_e32 v12, 20, v12
	v_and_b32_e32 v21, 0x80000000, v21
	v_lshl_add_u32 v16, v16, 23, v22
	v_or3_b32 v12, v21, v16, v12
.LBB1_1700:
	s_or_b64 exec, exec, s[6:7]
	s_movk_i32 s4, 0x7f
	v_cmp_gt_i16_sdwa s[6:7], v13, s4 src0_sel:BYTE_0 src1_sel:DWORD
	s_mov_b64 s[4:5], 0
                                        ; implicit-def: $sgpr10
	s_and_saveexec_b64 s[8:9], s[6:7]
	s_xor_b64 s[6:7], exec, s[8:9]
	s_cbranch_execz .LBB1_1701
; %bb.11693:
	s_getpc_b64 s[14:15]
.Lpost_getpc1750:
	s_add_u32 s14, s14, (.LBB1_5797-.Lpost_getpc1750)&4294967295
	s_addc_u32 s15, s15, (.LBB1_5797-.Lpost_getpc1750)>>32
	s_setpc_b64 s[14:15]
.LBB1_1701:
	s_or_saveexec_b64 s[6:7], s[6:7]
	v_mov_b32_e32 v16, s10
	s_xor_b64 exec, exec, s[6:7]
	s_cbranch_execz .LBB1_1702
; %bb.11695:
	s_getpc_b64 s[14:15]
.Lpost_getpc1751:
	s_add_u32 s14, s14, (.LBB1_5800-.Lpost_getpc1751)&4294967295
	s_addc_u32 s15, s15, (.LBB1_5800-.Lpost_getpc1751)>>32
	s_setpc_b64 s[14:15]
.LBB1_1702:
	s_or_b64 exec, exec, s[6:7]
	s_and_saveexec_b64 s[6:7], s[4:5]
	s_cbranch_execz .LBB1_1704
.LBB1_1703:
	v_and_b32_e32 v16, 3, v13
	v_ffbh_u32_e32 v22, v16
	v_min_u32_e32 v22, 32, v22
	v_lshrrev_b16_e32 v21, 2, v13
	v_subrev_u32_e32 v23, 29, v22
	v_and_b32_e32 v21, 31, v21
	v_lshlrev_b32_e32 v23, v23, v13
	v_sub_u32_e32 v22, 30, v22
	v_and_b32_e32 v23, 3, v23
	v_cmp_eq_u16_e32 vcc, 0, v21
	v_cndmask_b32_e32 v16, v16, v23, vcc
	v_cndmask_b32_e32 v21, v21, v22, vcc
	v_lshlrev_b32_e32 v22, 24, v13
	v_mov_b32_e32 v23, 0x37800000
	v_lshlrev_b32_e32 v16, 21, v16
	v_and_b32_e32 v22, 0x80000000, v22
	v_lshl_add_u32 v21, v21, 23, v23
	v_or3_b32 v16, v22, v21, v16
.LBB1_1704:
	s_or_b64 exec, exec, s[6:7]
	s_nop 0
	v_mfma_f32_16x16x4f32 a[0:3], v12, v16, a[0:3]
	v_lshrrev_b32_e32 v16, 8, v17
	s_movk_i32 s4, 0x7f
	v_cmp_gt_i16_sdwa s[6:7], v16, s4 src0_sel:BYTE_0 src1_sel:DWORD
	s_mov_b64 s[4:5], 0
                                        ; implicit-def: $sgpr10
	s_and_saveexec_b64 s[8:9], s[6:7]
	s_xor_b64 s[6:7], exec, s[8:9]
	s_cbranch_execz .LBB1_1705
; %bb.11697:
	s_getpc_b64 s[14:15]
.Lpost_getpc1752:
	s_add_u32 s14, s14, (.LBB1_5801-.Lpost_getpc1752)&4294967295
	s_addc_u32 s15, s15, (.LBB1_5801-.Lpost_getpc1752)>>32
	s_setpc_b64 s[14:15]
.LBB1_1705:
	s_or_saveexec_b64 s[6:7], s[6:7]
	v_mov_b32_e32 v12, s10
	s_xor_b64 exec, exec, s[6:7]
	s_cbranch_execz .LBB1_1706
; %bb.11699:
	s_getpc_b64 s[14:15]
.Lpost_getpc1753:
	s_add_u32 s14, s14, (.LBB1_5804-.Lpost_getpc1753)&4294967295
	s_addc_u32 s15, s15, (.LBB1_5804-.Lpost_getpc1753)>>32
	s_setpc_b64 s[14:15]
.LBB1_1706:
	s_or_b64 exec, exec, s[6:7]
	s_and_saveexec_b64 s[6:7], s[4:5]
	s_cbranch_execz .LBB1_1708
.LBB1_1707:
	v_bfe_u32 v12, v17, 8, 3
	v_ffbh_u32_e32 v22, v12
	v_min_u32_e32 v22, 32, v22
	v_lshrrev_b16_e32 v21, 3, v16
	v_subrev_u32_e32 v23, 28, v22
	v_and_b32_e32 v21, 15, v21
	v_lshlrev_b32_e32 v16, v23, v16
	v_sub_u32_e32 v22, 29, v22
	v_and_b32_e32 v16, 7, v16
	v_cmp_eq_u16_e32 vcc, 0, v21
	v_cndmask_b32_e32 v12, v12, v16, vcc
	v_cndmask_b32_e32 v16, v21, v22, vcc
	v_lshlrev_b32_e32 v21, 16, v17
	v_mov_b32_e32 v22, 0x3b800000
	v_lshlrev_b32_e32 v12, 20, v12
	v_and_b32_e32 v21, 0x80000000, v21
	v_lshl_add_u32 v16, v16, 23, v22
	v_or3_b32 v12, v21, v16, v12
.LBB1_1708:
	s_or_b64 exec, exec, s[6:7]
	v_lshrrev_b32_e32 v16, 8, v13
	s_movk_i32 s4, 0x7f
	v_cmp_gt_i16_sdwa s[6:7], v16, s4 src0_sel:BYTE_0 src1_sel:DWORD
	s_mov_b64 s[4:5], 0
                                        ; implicit-def: $sgpr10
	s_and_saveexec_b64 s[8:9], s[6:7]
	s_xor_b64 s[6:7], exec, s[8:9]
	s_cbranch_execz .LBB1_1709
; %bb.11701:
	s_getpc_b64 s[14:15]
.Lpost_getpc1754:
	s_add_u32 s14, s14, (.LBB1_5805-.Lpost_getpc1754)&4294967295
	s_addc_u32 s15, s15, (.LBB1_5805-.Lpost_getpc1754)>>32
	s_setpc_b64 s[14:15]
.LBB1_1709:
	s_or_saveexec_b64 s[6:7], s[6:7]
	v_mov_b32_e32 v21, s10
	s_xor_b64 exec, exec, s[6:7]
	s_cbranch_execz .LBB1_1710
; %bb.11703:
	s_getpc_b64 s[14:15]
.Lpost_getpc1755:
	s_add_u32 s14, s14, (.LBB1_5808-.Lpost_getpc1755)&4294967295
	s_addc_u32 s15, s15, (.LBB1_5808-.Lpost_getpc1755)>>32
	s_setpc_b64 s[14:15]
.LBB1_1710:
	s_or_b64 exec, exec, s[6:7]
	s_and_saveexec_b64 s[6:7], s[4:5]
	s_cbranch_execz .LBB1_1712
.LBB1_1711:
	v_bfe_u32 v21, v13, 8, 2
	v_ffbh_u32_e32 v23, v21
	v_min_u32_e32 v23, 32, v23
	v_lshrrev_b16_e32 v22, 2, v16
	v_subrev_u32_e32 v24, 29, v23
	v_and_b32_e32 v22, 31, v22
	v_lshlrev_b32_e32 v16, v24, v16
	v_sub_u32_e32 v23, 30, v23
	v_and_b32_e32 v16, 3, v16
	v_cmp_eq_u16_e32 vcc, 0, v22
	v_cndmask_b32_e32 v16, v21, v16, vcc
	v_cndmask_b32_e32 v21, v22, v23, vcc
	v_lshlrev_b32_e32 v22, 16, v13
	v_mov_b32_e32 v23, 0x37800000
	v_lshlrev_b32_e32 v16, 21, v16
	v_and_b32_e32 v22, 0x80000000, v22
	v_lshl_add_u32 v21, v21, 23, v23
	v_or3_b32 v21, v22, v21, v16
.LBB1_1712:
	s_or_b64 exec, exec, s[6:7]
	s_nop 0
	v_mfma_f32_16x16x4f32 a[0:3], v12, v21, a[0:3]
	s_movk_i32 s4, 0xff
	v_and_b32_sdwa v16, v17, s4 dst_sel:DWORD dst_unused:UNUSED_PAD src0_sel:WORD_1 src1_sel:DWORD
	s_movk_i32 s4, 0x7f
	v_cmp_lt_i16_e32 vcc, s4, v16
	s_mov_b64 s[4:5], 0
                                        ; implicit-def: $sgpr10
	s_and_saveexec_b64 s[6:7], vcc
	s_xor_b64 s[6:7], exec, s[6:7]
	s_cbranch_execz .LBB1_1713
; %bb.11705:
	s_getpc_b64 s[14:15]
.Lpost_getpc1756:
	s_add_u32 s14, s14, (.LBB1_5809-.Lpost_getpc1756)&4294967295
	s_addc_u32 s15, s15, (.LBB1_5809-.Lpost_getpc1756)>>32
	s_setpc_b64 s[14:15]
.LBB1_1713:
	s_or_saveexec_b64 s[6:7], s[6:7]
	v_mov_b32_e32 v12, s10
	s_xor_b64 exec, exec, s[6:7]
	s_cbranch_execz .LBB1_1714
; %bb.11707:
	s_getpc_b64 s[14:15]
.Lpost_getpc1757:
	s_add_u32 s14, s14, (.LBB1_5812-.Lpost_getpc1757)&4294967295
	s_addc_u32 s15, s15, (.LBB1_5812-.Lpost_getpc1757)>>32
	s_setpc_b64 s[14:15]
.LBB1_1714:
	s_or_b64 exec, exec, s[6:7]
	s_and_saveexec_b64 s[6:7], s[4:5]
	s_cbranch_execz .LBB1_1716
.LBB1_1715:
	v_bfe_u32 v12, v17, 16, 3
	v_ffbh_u32_e32 v22, v12
	v_min_u32_e32 v22, 32, v22
	v_lshrrev_b32_e32 v16, 19, v17
	v_subrev_u32_e32 v23, 28, v22
	v_and_b32_e32 v16, 15, v16
	v_lshlrev_b32_sdwa v23, v23, v17 dst_sel:DWORD dst_unused:UNUSED_PAD src0_sel:DWORD src1_sel:WORD_1
	v_bfe_u32 v21, v17, 19, 4
	v_sub_u32_e32 v22, 29, v22
	v_and_b32_e32 v23, 7, v23
	v_cmp_eq_u16_e32 vcc, 0, v16
	v_cndmask_b32_e32 v12, v12, v23, vcc
	v_cndmask_b32_e32 v16, v21, v22, vcc
	v_lshlrev_b32_e32 v21, 8, v17
	v_mov_b32_e32 v22, 0x3b800000
	v_lshlrev_b32_e32 v12, 20, v12
	v_and_b32_e32 v21, 0x80000000, v21
	v_lshl_add_u32 v16, v16, 23, v22
	v_or3_b32 v12, v21, v16, v12
.LBB1_1716:
	s_or_b64 exec, exec, s[6:7]
	s_movk_i32 s4, 0xff
	v_and_b32_sdwa v16, v13, s4 dst_sel:DWORD dst_unused:UNUSED_PAD src0_sel:WORD_1 src1_sel:DWORD
	s_movk_i32 s4, 0x7f
	v_cmp_lt_i16_e32 vcc, s4, v16
	s_mov_b64 s[4:5], 0
                                        ; implicit-def: $sgpr10
	s_and_saveexec_b64 s[6:7], vcc
	s_xor_b64 s[6:7], exec, s[6:7]
	s_cbranch_execz .LBB1_1717
; %bb.11709:
	s_getpc_b64 s[14:15]
.Lpost_getpc1758:
	s_add_u32 s14, s14, (.LBB1_5813-.Lpost_getpc1758)&4294967295
	s_addc_u32 s15, s15, (.LBB1_5813-.Lpost_getpc1758)>>32
	s_setpc_b64 s[14:15]
.LBB1_1717:
	s_or_saveexec_b64 s[6:7], s[6:7]
	v_mov_b32_e32 v21, s10
	s_xor_b64 exec, exec, s[6:7]
	s_cbranch_execz .LBB1_1718
; %bb.11711:
	s_getpc_b64 s[14:15]
.Lpost_getpc1759:
	s_add_u32 s14, s14, (.LBB1_5816-.Lpost_getpc1759)&4294967295
	s_addc_u32 s15, s15, (.LBB1_5816-.Lpost_getpc1759)>>32
	s_setpc_b64 s[14:15]
.LBB1_1718:
	s_or_b64 exec, exec, s[6:7]
	s_and_saveexec_b64 s[6:7], s[4:5]
	s_cbranch_execz .LBB1_1720
.LBB1_1719:
	v_bfe_u32 v16, v13, 16, 2
	v_ffbh_u32_e32 v23, v16
	v_min_u32_e32 v23, 32, v23
	v_lshrrev_b32_e32 v21, 18, v13
	v_subrev_u32_e32 v24, 29, v23
	v_and_b32_e32 v21, 31, v21
	v_lshlrev_b32_sdwa v24, v24, v13 dst_sel:DWORD dst_unused:UNUSED_PAD src0_sel:DWORD src1_sel:WORD_1
	v_bfe_u32 v22, v13, 18, 5
	v_sub_u32_e32 v23, 30, v23
	v_and_b32_e32 v24, 3, v24
	v_cmp_eq_u16_e32 vcc, 0, v21
	v_cndmask_b32_e32 v16, v16, v24, vcc
	v_cndmask_b32_e32 v21, v22, v23, vcc
	v_lshlrev_b32_e32 v22, 8, v13
	v_mov_b32_e32 v23, 0x37800000
	v_lshlrev_b32_e32 v16, 21, v16
	v_and_b32_e32 v22, 0x80000000, v22
	v_lshl_add_u32 v21, v21, 23, v23
	v_or3_b32 v21, v22, v21, v16
.LBB1_1720:
	s_or_b64 exec, exec, s[6:7]
	s_nop 0
	v_mfma_f32_16x16x4f32 a[0:3], v12, v21, a[0:3]
	s_movk_i32 s4, 0x7f
	v_cmp_gt_i16_sdwa s[6:7], v17, s4 src0_sel:BYTE_3 src1_sel:DWORD
	s_mov_b64 s[4:5], 0
                                        ; implicit-def: $sgpr10
	s_and_saveexec_b64 s[8:9], s[6:7]
	s_xor_b64 s[6:7], exec, s[8:9]
	s_cbranch_execz .LBB1_1721
; %bb.11713:
	s_getpc_b64 s[14:15]
.Lpost_getpc1760:
	s_add_u32 s14, s14, (.LBB1_5817-.Lpost_getpc1760)&4294967295
	s_addc_u32 s15, s15, (.LBB1_5817-.Lpost_getpc1760)>>32
	s_setpc_b64 s[14:15]
.LBB1_1721:
	s_or_saveexec_b64 s[6:7], s[6:7]
	v_mov_b32_e32 v12, s10
	s_xor_b64 exec, exec, s[6:7]
	s_cbranch_execz .LBB1_1722
; %bb.11715:
	s_getpc_b64 s[14:15]
.Lpost_getpc1761:
	s_add_u32 s14, s14, (.LBB1_5820-.Lpost_getpc1761)&4294967295
	s_addc_u32 s15, s15, (.LBB1_5820-.Lpost_getpc1761)>>32
	s_setpc_b64 s[14:15]
.LBB1_1722:
	s_or_b64 exec, exec, s[6:7]
	s_and_saveexec_b64 s[6:7], s[4:5]
	s_cbranch_execz .LBB1_1724
.LBB1_1723:
	v_bfe_u32 v12, v17, 24, 3
	v_ffbh_u32_e32 v23, v12
	v_min_u32_e32 v23, 32, v23
	v_lshrrev_b32_e32 v21, 27, v17
	v_subrev_u32_e32 v24, 28, v23
	v_and_b32_e32 v16, 0x80000000, v17
	v_and_b32_e32 v21, 15, v21
	v_bfe_u32 v22, v17, 27, 4
	v_lshlrev_b32_sdwa v17, v24, v17 dst_sel:DWORD dst_unused:UNUSED_PAD src0_sel:DWORD src1_sel:BYTE_3
	v_sub_u32_e32 v23, 29, v23
	v_and_b32_e32 v17, 7, v17
	v_cmp_eq_u16_e32 vcc, 0, v21
	v_cndmask_b32_e32 v12, v12, v17, vcc
	v_cndmask_b32_e32 v17, v22, v23, vcc
	v_mov_b32_e32 v21, 0x3b800000
	v_lshlrev_b32_e32 v12, 20, v12
	v_lshl_add_u32 v17, v17, 23, v21
	v_or3_b32 v12, v16, v17, v12
.LBB1_1724:
	s_or_b64 exec, exec, s[6:7]
	s_movk_i32 s4, 0x7f
	v_cmp_gt_i16_sdwa s[6:7], v13, s4 src0_sel:BYTE_3 src1_sel:DWORD
	s_mov_b64 s[4:5], 0
                                        ; implicit-def: $sgpr10
	s_and_saveexec_b64 s[8:9], s[6:7]
	s_xor_b64 s[6:7], exec, s[8:9]
	s_cbranch_execz .LBB1_1725
; %bb.11717:
	s_getpc_b64 s[14:15]
.Lpost_getpc1762:
	s_add_u32 s14, s14, (.LBB1_5821-.Lpost_getpc1762)&4294967295
	s_addc_u32 s15, s15, (.LBB1_5821-.Lpost_getpc1762)>>32
	s_setpc_b64 s[14:15]
.LBB1_1725:
	s_or_saveexec_b64 s[6:7], s[6:7]
	v_mov_b32_e32 v16, s10
	s_xor_b64 exec, exec, s[6:7]
	s_cbranch_execz .LBB1_1726
; %bb.11719:
	s_getpc_b64 s[14:15]
.Lpost_getpc1763:
	s_add_u32 s14, s14, (.LBB1_5824-.Lpost_getpc1763)&4294967295
	s_addc_u32 s15, s15, (.LBB1_5824-.Lpost_getpc1763)>>32
	s_setpc_b64 s[14:15]
.LBB1_1726:
	s_or_b64 exec, exec, s[6:7]
	s_and_saveexec_b64 s[6:7], s[4:5]
	s_cbranch_execz .LBB1_1728
.LBB1_1727:
	v_bfe_u32 v16, v13, 24, 2
	v_ffbh_u32_e32 v23, v16
	v_min_u32_e32 v23, 32, v23
	v_lshrrev_b32_e32 v21, 26, v13
	v_subrev_u32_e32 v24, 29, v23
	v_and_b32_e32 v17, 0x80000000, v13
	v_and_b32_e32 v21, 31, v21
	v_bfe_u32 v22, v13, 26, 5
	v_lshlrev_b32_sdwa v13, v24, v13 dst_sel:DWORD dst_unused:UNUSED_PAD src0_sel:DWORD src1_sel:BYTE_3
	v_sub_u32_e32 v23, 30, v23
	v_and_b32_e32 v13, 3, v13
	v_cmp_eq_u16_e32 vcc, 0, v21
	v_cndmask_b32_e32 v13, v16, v13, vcc
	v_cndmask_b32_e32 v16, v22, v23, vcc
	v_mov_b32_e32 v21, 0x37800000
	v_lshlrev_b32_e32 v13, 21, v13
	v_lshl_add_u32 v16, v16, 23, v21
	v_or3_b32 v16, v17, v16, v13
.LBB1_1728:
	s_or_b64 exec, exec, s[6:7]
	s_nop 0
	v_mfma_f32_16x16x4f32 a[0:3], v12, v16, a[0:3]
	s_movk_i32 s4, 0x7f
	v_cmp_gt_i16_sdwa s[6:7], v18, s4 src0_sel:BYTE_0 src1_sel:DWORD
	s_mov_b64 s[4:5], 0
                                        ; implicit-def: $sgpr10
	s_and_saveexec_b64 s[8:9], s[6:7]
	s_xor_b64 s[6:7], exec, s[8:9]
	s_cbranch_execz .LBB1_1729
; %bb.11721:
	s_getpc_b64 s[14:15]
.Lpost_getpc1764:
	s_add_u32 s14, s14, (.LBB1_5825-.Lpost_getpc1764)&4294967295
	s_addc_u32 s15, s15, (.LBB1_5825-.Lpost_getpc1764)>>32
	s_setpc_b64 s[14:15]
.LBB1_1729:
	s_or_saveexec_b64 s[6:7], s[6:7]
	v_mov_b32_e32 v13, s10
	s_xor_b64 exec, exec, s[6:7]
	s_cbranch_execz .LBB1_1730
; %bb.11723:
	s_getpc_b64 s[14:15]
.Lpost_getpc1765:
	s_add_u32 s14, s14, (.LBB1_5828-.Lpost_getpc1765)&4294967295
	s_addc_u32 s15, s15, (.LBB1_5828-.Lpost_getpc1765)>>32
	s_setpc_b64 s[14:15]
.LBB1_1730:
	s_or_b64 exec, exec, s[6:7]
	s_and_saveexec_b64 s[6:7], s[4:5]
	s_cbranch_execz .LBB1_1732
.LBB1_1731:
	v_and_b32_e32 v12, 7, v18
	v_ffbh_u32_e32 v16, v12
	v_min_u32_e32 v16, 32, v16
	v_lshrrev_b16_e32 v13, 3, v18
	v_subrev_u32_e32 v17, 28, v16
	v_and_b32_e32 v13, 15, v13
	v_lshlrev_b32_e32 v17, v17, v18
	v_sub_u32_e32 v16, 29, v16
	v_and_b32_e32 v17, 7, v17
	v_cmp_eq_u16_e32 vcc, 0, v13
	v_cndmask_b32_e32 v12, v12, v17, vcc
	v_cndmask_b32_e32 v13, v13, v16, vcc
	v_lshlrev_b32_e32 v16, 24, v18
	v_mov_b32_e32 v17, 0x3b800000
	v_lshlrev_b32_e32 v12, 20, v12
	v_and_b32_e32 v16, 0x80000000, v16
	v_lshl_add_u32 v13, v13, 23, v17
	v_or3_b32 v13, v16, v13, v12
.LBB1_1732:
	s_or_b64 exec, exec, s[6:7]
	s_movk_i32 s4, 0xff
	v_mov_b32_e32 v12, 8
	v_or_b32_sdwa v16, v14, v20 dst_sel:DWORD dst_unused:UNUSED_PAD src0_sel:BYTE_0 src1_sel:DWORD
	v_lshlrev_b16_sdwa v12, v12, v14 dst_sel:DWORD dst_unused:UNUSED_PAD src0_sel:DWORD src1_sel:BYTE_3
	v_and_b32_sdwa v14, v14, s4 dst_sel:DWORD dst_unused:UNUSED_PAD src0_sel:WORD_1 src1_sel:DWORD
	s_movk_i32 s4, 0x7f
	v_or_b32_sdwa v12, v14, v12 dst_sel:WORD_1 dst_unused:UNUSED_PAD src0_sel:DWORD src1_sel:DWORD
	v_cmp_gt_i16_sdwa s[6:7], v16, s4 src0_sel:BYTE_0 src1_sel:DWORD
	s_mov_b64 s[4:5], 0
                                        ; implicit-def: $sgpr10
	s_and_saveexec_b64 s[8:9], s[6:7]
	s_xor_b64 s[6:7], exec, s[8:9]
	s_cbranch_execz .LBB1_1733
; %bb.11725:
	s_getpc_b64 s[14:15]
.Lpost_getpc1766:
	s_add_u32 s14, s14, (.LBB1_5829-.Lpost_getpc1766)&4294967295
	s_addc_u32 s15, s15, (.LBB1_5829-.Lpost_getpc1766)>>32
	s_setpc_b64 s[14:15]
.LBB1_1733:
	s_or_saveexec_b64 s[6:7], s[6:7]
	v_mov_b32_e32 v14, s10
	s_xor_b64 exec, exec, s[6:7]
	s_cbranch_execz .LBB1_1734
; %bb.11727:
	s_getpc_b64 s[14:15]
.Lpost_getpc1767:
	s_add_u32 s14, s14, (.LBB1_5832-.Lpost_getpc1767)&4294967295
	s_addc_u32 s15, s15, (.LBB1_5832-.Lpost_getpc1767)>>32
	s_setpc_b64 s[14:15]
.LBB1_1734:
	s_or_b64 exec, exec, s[6:7]
	v_or_b32_sdwa v12, v16, v12 dst_sel:DWORD dst_unused:UNUSED_PAD src0_sel:WORD_0 src1_sel:DWORD
	s_and_saveexec_b64 s[6:7], s[4:5]
	s_cbranch_execz .LBB1_1736
.LBB1_1735:
	v_and_b32_e32 v14, 3, v12
	v_ffbh_u32_e32 v17, v14
	v_min_u32_e32 v17, 32, v17
	v_lshrrev_b16_e32 v16, 2, v16
	v_subrev_u32_e32 v20, 29, v17
	v_and_b32_e32 v16, 31, v16
	v_lshlrev_b32_e32 v20, v20, v12
	v_sub_u32_e32 v17, 30, v17
	v_and_b32_e32 v20, 3, v20
	v_cmp_eq_u16_e32 vcc, 0, v16
	v_cndmask_b32_e32 v14, v14, v20, vcc
	v_cndmask_b32_e32 v16, v16, v17, vcc
	v_lshlrev_b32_e32 v17, 24, v12
	v_mov_b32_e32 v20, 0x37800000
	v_lshlrev_b32_e32 v14, 21, v14
	v_and_b32_e32 v17, 0x80000000, v17
	v_lshl_add_u32 v16, v16, 23, v20
	v_or3_b32 v14, v17, v16, v14
.LBB1_1736:
	s_or_b64 exec, exec, s[6:7]
	s_nop 0
	v_mfma_f32_16x16x4f32 a[0:3], v13, v14, a[0:3]
	v_lshrrev_b32_e32 v14, 8, v18
	s_movk_i32 s4, 0x7f
	v_cmp_gt_i16_sdwa s[6:7], v14, s4 src0_sel:BYTE_0 src1_sel:DWORD
	s_mov_b64 s[4:5], 0
                                        ; implicit-def: $sgpr10
	s_and_saveexec_b64 s[8:9], s[6:7]
	s_xor_b64 s[6:7], exec, s[8:9]
	s_cbranch_execz .LBB1_1737
; %bb.11729:
	s_getpc_b64 s[14:15]
.Lpost_getpc1768:
	s_add_u32 s14, s14, (.LBB1_5833-.Lpost_getpc1768)&4294967295
	s_addc_u32 s15, s15, (.LBB1_5833-.Lpost_getpc1768)>>32
	s_setpc_b64 s[14:15]
.LBB1_1737:
	s_or_saveexec_b64 s[6:7], s[6:7]
	v_mov_b32_e32 v13, s10
	s_xor_b64 exec, exec, s[6:7]
	s_cbranch_execz .LBB1_1738
; %bb.11731:
	s_getpc_b64 s[14:15]
.Lpost_getpc1769:
	s_add_u32 s14, s14, (.LBB1_5836-.Lpost_getpc1769)&4294967295
	s_addc_u32 s15, s15, (.LBB1_5836-.Lpost_getpc1769)>>32
	s_setpc_b64 s[14:15]
.LBB1_1738:
	s_or_b64 exec, exec, s[6:7]
	s_and_saveexec_b64 s[6:7], s[4:5]
	s_cbranch_execz .LBB1_1740
.LBB1_1739:
	v_bfe_u32 v13, v18, 8, 3
	v_ffbh_u32_e32 v17, v13
	v_min_u32_e32 v17, 32, v17
	v_lshrrev_b16_e32 v16, 3, v14
	v_subrev_u32_e32 v20, 28, v17
	v_and_b32_e32 v16, 15, v16
	v_lshlrev_b32_e32 v14, v20, v14
	v_sub_u32_e32 v17, 29, v17
	v_and_b32_e32 v14, 7, v14
	v_cmp_eq_u16_e32 vcc, 0, v16
	v_cndmask_b32_e32 v13, v13, v14, vcc
	v_cndmask_b32_e32 v14, v16, v17, vcc
	v_lshlrev_b32_e32 v16, 16, v18
	v_mov_b32_e32 v17, 0x3b800000
	v_lshlrev_b32_e32 v13, 20, v13
	v_and_b32_e32 v16, 0x80000000, v16
	v_lshl_add_u32 v14, v14, 23, v17
	v_or3_b32 v13, v16, v14, v13
.LBB1_1740:
	s_or_b64 exec, exec, s[6:7]
	v_lshrrev_b32_e32 v14, 8, v12
	s_movk_i32 s4, 0x7f
	v_cmp_gt_i16_sdwa s[6:7], v14, s4 src0_sel:BYTE_0 src1_sel:DWORD
	s_mov_b64 s[4:5], 0
                                        ; implicit-def: $sgpr10
	s_and_saveexec_b64 s[8:9], s[6:7]
	s_xor_b64 s[6:7], exec, s[8:9]
	s_cbranch_execz .LBB1_1741
; %bb.11733:
	s_getpc_b64 s[14:15]
.Lpost_getpc1770:
	s_add_u32 s14, s14, (.LBB1_5837-.Lpost_getpc1770)&4294967295
	s_addc_u32 s15, s15, (.LBB1_5837-.Lpost_getpc1770)>>32
	s_setpc_b64 s[14:15]
.LBB1_1741:
	s_or_saveexec_b64 s[6:7], s[6:7]
	v_mov_b32_e32 v16, s10
	s_xor_b64 exec, exec, s[6:7]
	s_cbranch_execz .LBB1_1742
; %bb.11735:
	s_getpc_b64 s[14:15]
.Lpost_getpc1771:
	s_add_u32 s14, s14, (.LBB1_5840-.Lpost_getpc1771)&4294967295
	s_addc_u32 s15, s15, (.LBB1_5840-.Lpost_getpc1771)>>32
	s_setpc_b64 s[14:15]
.LBB1_1742:
	s_or_b64 exec, exec, s[6:7]
	s_and_saveexec_b64 s[6:7], s[4:5]
	s_cbranch_execz .LBB1_1744
.LBB1_1743:
	v_bfe_u32 v16, v12, 8, 2
	v_ffbh_u32_e32 v20, v16
	v_min_u32_e32 v20, 32, v20
	v_lshrrev_b16_e32 v17, 2, v14
	v_subrev_u32_e32 v21, 29, v20
	v_and_b32_e32 v17, 31, v17
	v_lshlrev_b32_e32 v14, v21, v14
	v_sub_u32_e32 v20, 30, v20
	v_and_b32_e32 v14, 3, v14
	v_cmp_eq_u16_e32 vcc, 0, v17
	v_cndmask_b32_e32 v14, v16, v14, vcc
	v_cndmask_b32_e32 v16, v17, v20, vcc
	v_lshlrev_b32_e32 v17, 16, v12
	v_mov_b32_e32 v20, 0x37800000
	v_lshlrev_b32_e32 v14, 21, v14
	v_and_b32_e32 v17, 0x80000000, v17
	v_lshl_add_u32 v16, v16, 23, v20
	v_or3_b32 v16, v17, v16, v14
.LBB1_1744:
	s_or_b64 exec, exec, s[6:7]
	s_nop 0
	v_mfma_f32_16x16x4f32 a[0:3], v13, v16, a[0:3]
	s_movk_i32 s4, 0xff
	v_and_b32_sdwa v14, v18, s4 dst_sel:DWORD dst_unused:UNUSED_PAD src0_sel:WORD_1 src1_sel:DWORD
	s_movk_i32 s4, 0x7f
	v_cmp_lt_i16_e32 vcc, s4, v14
	s_mov_b64 s[4:5], 0
                                        ; implicit-def: $sgpr10
	s_and_saveexec_b64 s[6:7], vcc
	s_xor_b64 s[6:7], exec, s[6:7]
	s_cbranch_execz .LBB1_1745
; %bb.11737:
	s_getpc_b64 s[14:15]
.Lpost_getpc1772:
	s_add_u32 s14, s14, (.LBB1_5841-.Lpost_getpc1772)&4294967295
	s_addc_u32 s15, s15, (.LBB1_5841-.Lpost_getpc1772)>>32
	s_setpc_b64 s[14:15]
.LBB1_1745:
	s_or_saveexec_b64 s[6:7], s[6:7]
	v_mov_b32_e32 v13, s10
	s_xor_b64 exec, exec, s[6:7]
	s_cbranch_execz .LBB1_1746
; %bb.11739:
	s_getpc_b64 s[14:15]
.Lpost_getpc1773:
	s_add_u32 s14, s14, (.LBB1_5844-.Lpost_getpc1773)&4294967295
	s_addc_u32 s15, s15, (.LBB1_5844-.Lpost_getpc1773)>>32
	s_setpc_b64 s[14:15]
.LBB1_1746:
	s_or_b64 exec, exec, s[6:7]
	s_and_saveexec_b64 s[6:7], s[4:5]
	s_cbranch_execz .LBB1_1748
.LBB1_1747:
	v_bfe_u32 v13, v18, 16, 3
	v_ffbh_u32_e32 v17, v13
	v_min_u32_e32 v17, 32, v17
	v_lshrrev_b32_e32 v14, 19, v18
	v_subrev_u32_e32 v20, 28, v17
	v_and_b32_e32 v14, 15, v14
	v_lshlrev_b32_sdwa v20, v20, v18 dst_sel:DWORD dst_unused:UNUSED_PAD src0_sel:DWORD src1_sel:WORD_1
	v_bfe_u32 v16, v18, 19, 4
	v_sub_u32_e32 v17, 29, v17
	v_and_b32_e32 v20, 7, v20
	v_cmp_eq_u16_e32 vcc, 0, v14
	v_cndmask_b32_e32 v13, v13, v20, vcc
	v_cndmask_b32_e32 v14, v16, v17, vcc
	v_lshlrev_b32_e32 v16, 8, v18
	v_mov_b32_e32 v17, 0x3b800000
	v_lshlrev_b32_e32 v13, 20, v13
	v_and_b32_e32 v16, 0x80000000, v16
	v_lshl_add_u32 v14, v14, 23, v17
	v_or3_b32 v13, v16, v14, v13
.LBB1_1748:
	s_or_b64 exec, exec, s[6:7]
	s_movk_i32 s4, 0xff
	v_and_b32_sdwa v14, v12, s4 dst_sel:DWORD dst_unused:UNUSED_PAD src0_sel:WORD_1 src1_sel:DWORD
	s_movk_i32 s4, 0x7f
	v_cmp_lt_i16_e32 vcc, s4, v14
	s_mov_b64 s[4:5], 0
                                        ; implicit-def: $sgpr10
	s_and_saveexec_b64 s[6:7], vcc
	s_xor_b64 s[6:7], exec, s[6:7]
	s_cbranch_execz .LBB1_1749
; %bb.11741:
	s_getpc_b64 s[14:15]
.Lpost_getpc1774:
	s_add_u32 s14, s14, (.LBB1_5845-.Lpost_getpc1774)&4294967295
	s_addc_u32 s15, s15, (.LBB1_5845-.Lpost_getpc1774)>>32
	s_setpc_b64 s[14:15]
.LBB1_1749:
	s_or_saveexec_b64 s[6:7], s[6:7]
	v_mov_b32_e32 v16, s10
	s_xor_b64 exec, exec, s[6:7]
	s_cbranch_execz .LBB1_1750
; %bb.11743:
	s_getpc_b64 s[14:15]
.Lpost_getpc1775:
	s_add_u32 s14, s14, (.LBB1_5848-.Lpost_getpc1775)&4294967295
	s_addc_u32 s15, s15, (.LBB1_5848-.Lpost_getpc1775)>>32
	s_setpc_b64 s[14:15]
.LBB1_1750:
	s_or_b64 exec, exec, s[6:7]
	s_and_saveexec_b64 s[6:7], s[4:5]
	s_cbranch_execz .LBB1_1752
.LBB1_1751:
	v_bfe_u32 v14, v12, 16, 2
	v_ffbh_u32_e32 v20, v14
	v_min_u32_e32 v20, 32, v20
	v_lshrrev_b32_e32 v16, 18, v12
	v_subrev_u32_e32 v21, 29, v20
	v_and_b32_e32 v16, 31, v16
	v_lshlrev_b32_sdwa v21, v21, v12 dst_sel:DWORD dst_unused:UNUSED_PAD src0_sel:DWORD src1_sel:WORD_1
	v_bfe_u32 v17, v12, 18, 5
	v_sub_u32_e32 v20, 30, v20
	v_and_b32_e32 v21, 3, v21
	v_cmp_eq_u16_e32 vcc, 0, v16
	v_cndmask_b32_e32 v14, v14, v21, vcc
	v_cndmask_b32_e32 v16, v17, v20, vcc
	v_lshlrev_b32_e32 v17, 8, v12
	v_mov_b32_e32 v20, 0x37800000
	v_lshlrev_b32_e32 v14, 21, v14
	v_and_b32_e32 v17, 0x80000000, v17
	v_lshl_add_u32 v16, v16, 23, v20
	v_or3_b32 v16, v17, v16, v14
.LBB1_1752:
	s_or_b64 exec, exec, s[6:7]
	s_nop 0
	v_mfma_f32_16x16x4f32 a[0:3], v13, v16, a[0:3]
	s_movk_i32 s4, 0x7f
	v_cmp_gt_i16_sdwa s[6:7], v18, s4 src0_sel:BYTE_3 src1_sel:DWORD
	s_mov_b64 s[4:5], 0
                                        ; implicit-def: $sgpr10
	s_and_saveexec_b64 s[8:9], s[6:7]
	s_xor_b64 s[6:7], exec, s[8:9]
	s_cbranch_execz .LBB1_1753
; %bb.11745:
	s_getpc_b64 s[14:15]
.Lpost_getpc1776:
	s_add_u32 s14, s14, (.LBB1_5849-.Lpost_getpc1776)&4294967295
	s_addc_u32 s15, s15, (.LBB1_5849-.Lpost_getpc1776)>>32
	s_setpc_b64 s[14:15]
.LBB1_1753:
	s_or_saveexec_b64 s[6:7], s[6:7]
	v_mov_b32_e32 v13, s10
	s_xor_b64 exec, exec, s[6:7]
	s_cbranch_execz .LBB1_1754
; %bb.11747:
	s_getpc_b64 s[14:15]
.Lpost_getpc1777:
	s_add_u32 s14, s14, (.LBB1_5852-.Lpost_getpc1777)&4294967295
	s_addc_u32 s15, s15, (.LBB1_5852-.Lpost_getpc1777)>>32
	s_setpc_b64 s[14:15]
.LBB1_1754:
	s_or_b64 exec, exec, s[6:7]
	s_and_saveexec_b64 s[6:7], s[4:5]
	s_cbranch_execz .LBB1_1756
.LBB1_1755:
	v_bfe_u32 v13, v18, 24, 3
	v_ffbh_u32_e32 v20, v13
	v_min_u32_e32 v20, 32, v20
	v_lshrrev_b32_e32 v16, 27, v18
	v_subrev_u32_e32 v21, 28, v20
	v_and_b32_e32 v14, 0x80000000, v18
	v_and_b32_e32 v16, 15, v16
	v_bfe_u32 v17, v18, 27, 4
	v_lshlrev_b32_sdwa v18, v21, v18 dst_sel:DWORD dst_unused:UNUSED_PAD src0_sel:DWORD src1_sel:BYTE_3
	v_sub_u32_e32 v20, 29, v20
	v_and_b32_e32 v18, 7, v18
	v_cmp_eq_u16_e32 vcc, 0, v16
	v_cndmask_b32_e32 v13, v13, v18, vcc
	v_cndmask_b32_e32 v16, v17, v20, vcc
	v_mov_b32_e32 v17, 0x3b800000
	v_lshlrev_b32_e32 v13, 20, v13
	v_lshl_add_u32 v16, v16, 23, v17
	v_or3_b32 v13, v14, v16, v13
.LBB1_1756:
	s_or_b64 exec, exec, s[6:7]
	s_movk_i32 s4, 0x7f
	v_cmp_gt_i16_sdwa s[6:7], v12, s4 src0_sel:BYTE_3 src1_sel:DWORD
	s_mov_b64 s[4:5], 0
                                        ; implicit-def: $sgpr10
	s_and_saveexec_b64 s[8:9], s[6:7]
	s_xor_b64 s[6:7], exec, s[8:9]
	s_cbranch_execz .LBB1_1757
; %bb.11749:
	s_getpc_b64 s[14:15]
.Lpost_getpc1778:
	s_add_u32 s14, s14, (.LBB1_5853-.Lpost_getpc1778)&4294967295
	s_addc_u32 s15, s15, (.LBB1_5853-.Lpost_getpc1778)>>32
	s_setpc_b64 s[14:15]
.LBB1_1757:
	s_or_saveexec_b64 s[6:7], s[6:7]
	v_mov_b32_e32 v14, s10
	s_xor_b64 exec, exec, s[6:7]
	s_cbranch_execz .LBB1_1758
; %bb.11751:
	s_getpc_b64 s[14:15]
.Lpost_getpc1779:
	s_add_u32 s14, s14, (.LBB1_5856-.Lpost_getpc1779)&4294967295
	s_addc_u32 s15, s15, (.LBB1_5856-.Lpost_getpc1779)>>32
	s_setpc_b64 s[14:15]
.LBB1_1758:
	s_or_b64 exec, exec, s[6:7]
	s_and_saveexec_b64 s[6:7], s[4:5]
	s_cbranch_execz .LBB1_1760
.LBB1_1759:
	v_bfe_u32 v14, v12, 24, 2
	v_ffbh_u32_e32 v20, v14
	v_min_u32_e32 v20, 32, v20
	v_lshrrev_b32_e32 v17, 26, v12
	v_subrev_u32_e32 v21, 29, v20
	v_and_b32_e32 v16, 0x80000000, v12
	v_and_b32_e32 v17, 31, v17
	v_bfe_u32 v18, v12, 26, 5
	v_lshlrev_b32_sdwa v12, v21, v12 dst_sel:DWORD dst_unused:UNUSED_PAD src0_sel:DWORD src1_sel:BYTE_3
	v_sub_u32_e32 v20, 30, v20
	v_and_b32_e32 v12, 3, v12
	v_cmp_eq_u16_e32 vcc, 0, v17
	v_cndmask_b32_e32 v12, v14, v12, vcc
	v_cndmask_b32_e32 v14, v18, v20, vcc
	v_mov_b32_e32 v17, 0x37800000
	v_lshlrev_b32_e32 v12, 21, v12
	v_lshl_add_u32 v14, v14, 23, v17
	v_or3_b32 v14, v16, v14, v12
.LBB1_1760:
	s_or_b64 exec, exec, s[6:7]
	s_nop 0
	v_mfma_f32_16x16x4f32 a[0:3], v13, v14, a[0:3]
	s_movk_i32 s4, 0x7f
	v_cmp_gt_i16_sdwa s[6:7], v19, s4 src0_sel:BYTE_0 src1_sel:DWORD
	s_mov_b64 s[4:5], 0
                                        ; implicit-def: $sgpr10
	s_and_saveexec_b64 s[8:9], s[6:7]
	s_xor_b64 s[6:7], exec, s[8:9]
	s_cbranch_execz .LBB1_1761
; %bb.11753:
	s_getpc_b64 s[14:15]
.Lpost_getpc1780:
	s_add_u32 s14, s14, (.LBB1_5857-.Lpost_getpc1780)&4294967295
	s_addc_u32 s15, s15, (.LBB1_5857-.Lpost_getpc1780)>>32
	s_setpc_b64 s[14:15]
.LBB1_1761:
	s_or_saveexec_b64 s[6:7], s[6:7]
	v_mov_b32_e32 v12, s10
	s_xor_b64 exec, exec, s[6:7]
	s_cbranch_execz .LBB1_1762
; %bb.11755:
	s_getpc_b64 s[14:15]
.Lpost_getpc1781:
	s_add_u32 s14, s14, (.LBB1_5860-.Lpost_getpc1781)&4294967295
	s_addc_u32 s15, s15, (.LBB1_5860-.Lpost_getpc1781)>>32
	s_setpc_b64 s[14:15]
.LBB1_1762:
	s_or_b64 exec, exec, s[6:7]
	s_and_saveexec_b64 s[6:7], s[4:5]
	s_cbranch_execz .LBB1_1764
.LBB1_1763:
	v_mov_b32_e32 v12, 8
	v_and_b32_e32 v13, 7, v19
	v_lshrrev_b32_sdwa v12, v12, v19 dst_sel:BYTE_1 dst_unused:UNUSED_PAD src0_sel:DWORD src1_sel:DWORD
	v_ffbh_u32_e32 v14, v13
	v_or_b32_sdwa v12, v19, v12 dst_sel:DWORD dst_unused:UNUSED_PAD src0_sel:BYTE_0 src1_sel:DWORD
	v_min_u32_e32 v14, 32, v14
	v_lshrrev_b16_e32 v12, 3, v12
	v_subrev_u32_e32 v16, 28, v14
	v_and_b32_e32 v12, 15, v12
	v_lshlrev_b32_e32 v16, v16, v19
	v_sub_u32_e32 v14, 29, v14
	v_and_b32_e32 v16, 7, v16
	v_cmp_eq_u16_e32 vcc, 0, v12
	v_cndmask_b32_e32 v13, v13, v16, vcc
	v_cndmask_b32_e32 v12, v12, v14, vcc
	v_lshlrev_b32_e32 v14, 24, v19
	v_mov_b32_e32 v16, 0x3b800000
	v_lshlrev_b32_e32 v13, 20, v13
	v_and_b32_e32 v14, 0x80000000, v14
	v_lshl_add_u32 v12, v12, 23, v16
	v_or3_b32 v12, v14, v12, v13
.LBB1_1764:
	s_or_b64 exec, exec, s[6:7]
	s_movk_i32 s4, 0x7f
	v_cmp_gt_i16_sdwa s[6:7], v15, s4 src0_sel:BYTE_0 src1_sel:DWORD
	s_mov_b64 s[4:5], 0
                                        ; implicit-def: $sgpr10
	s_and_saveexec_b64 s[8:9], s[6:7]
	s_xor_b64 s[6:7], exec, s[8:9]
	s_cbranch_execz .LBB1_1765
; %bb.11757:
	s_getpc_b64 s[14:15]
.Lpost_getpc1782:
	s_add_u32 s14, s14, (.LBB1_5861-.Lpost_getpc1782)&4294967295
	s_addc_u32 s15, s15, (.LBB1_5861-.Lpost_getpc1782)>>32
	s_setpc_b64 s[14:15]
.LBB1_1765:
	s_or_saveexec_b64 s[6:7], s[6:7]
	v_mov_b32_e32 v13, s10
	s_xor_b64 exec, exec, s[6:7]
	s_cbranch_execz .LBB1_1766
; %bb.11759:
	s_getpc_b64 s[14:15]
.Lpost_getpc1783:
	s_add_u32 s14, s14, (.LBB1_5864-.Lpost_getpc1783)&4294967295
	s_addc_u32 s15, s15, (.LBB1_5864-.Lpost_getpc1783)>>32
	s_setpc_b64 s[14:15]
.LBB1_1766:
	s_or_b64 exec, exec, s[6:7]
	s_and_saveexec_b64 s[6:7], s[4:5]
	s_cbranch_execz .LBB1_1768
.LBB1_1767:
	v_and_b32_e32 v13, 3, v15
	v_ffbh_u32_e32 v16, v13
	v_min_u32_e32 v16, 32, v16
	v_lshrrev_b16_e32 v14, 2, v15
	v_subrev_u32_e32 v17, 29, v16
	v_and_b32_e32 v14, 31, v14
	v_lshlrev_b32_e32 v17, v17, v15
	v_sub_u32_e32 v16, 30, v16
	v_and_b32_e32 v17, 3, v17
	v_cmp_eq_u16_e32 vcc, 0, v14
	v_cndmask_b32_e32 v13, v13, v17, vcc
	v_cndmask_b32_e32 v14, v14, v16, vcc
	v_lshlrev_b32_e32 v16, 24, v15
	v_mov_b32_e32 v17, 0x37800000
	v_lshlrev_b32_e32 v13, 21, v13
	v_and_b32_e32 v16, 0x80000000, v16
	v_lshl_add_u32 v14, v14, 23, v17
	v_or3_b32 v13, v16, v14, v13
.LBB1_1768:
	s_or_b64 exec, exec, s[6:7]
	s_nop 0
	v_mfma_f32_16x16x4f32 a[0:3], v12, v13, a[0:3]
	v_lshrrev_b32_e32 v13, 8, v19
	s_movk_i32 s4, 0x7f
	v_cmp_gt_i16_sdwa s[6:7], v13, s4 src0_sel:BYTE_0 src1_sel:DWORD
	s_mov_b64 s[4:5], 0
                                        ; implicit-def: $sgpr10
	s_and_saveexec_b64 s[8:9], s[6:7]
	s_xor_b64 s[6:7], exec, s[8:9]
	s_cbranch_execz .LBB1_1769
; %bb.11761:
	s_getpc_b64 s[14:15]
.Lpost_getpc1784:
	s_add_u32 s14, s14, (.LBB1_5865-.Lpost_getpc1784)&4294967295
	s_addc_u32 s15, s15, (.LBB1_5865-.Lpost_getpc1784)>>32
	s_setpc_b64 s[14:15]
.LBB1_1769:
	s_or_saveexec_b64 s[6:7], s[6:7]
	v_mov_b32_e32 v12, s10
	s_xor_b64 exec, exec, s[6:7]
	s_cbranch_execz .LBB1_1770
; %bb.11763:
	s_getpc_b64 s[14:15]
.Lpost_getpc1785:
	s_add_u32 s14, s14, (.LBB1_5868-.Lpost_getpc1785)&4294967295
	s_addc_u32 s15, s15, (.LBB1_5868-.Lpost_getpc1785)>>32
	s_setpc_b64 s[14:15]
.LBB1_1770:
	s_or_b64 exec, exec, s[6:7]
	s_and_saveexec_b64 s[6:7], s[4:5]
	s_cbranch_execz .LBB1_1772
.LBB1_1771:
	v_bfe_u32 v12, v19, 8, 3
	v_ffbh_u32_e32 v16, v12
	v_min_u32_e32 v16, 32, v16
	v_lshrrev_b16_e32 v14, 3, v13
	v_subrev_u32_e32 v17, 28, v16
	v_and_b32_e32 v14, 15, v14
	v_lshlrev_b32_e32 v13, v17, v13
	v_sub_u32_e32 v16, 29, v16
	v_and_b32_e32 v13, 7, v13
	v_cmp_eq_u16_e32 vcc, 0, v14
	v_cndmask_b32_e32 v12, v12, v13, vcc
	v_cndmask_b32_e32 v13, v14, v16, vcc
	v_lshlrev_b32_e32 v14, 16, v19
	v_mov_b32_e32 v16, 0x3b800000
	v_lshlrev_b32_e32 v12, 20, v12
	v_and_b32_e32 v14, 0x80000000, v14
	v_lshl_add_u32 v13, v13, 23, v16
	v_or3_b32 v12, v14, v13, v12
.LBB1_1772:
	s_or_b64 exec, exec, s[6:7]
	v_lshrrev_b32_e32 v13, 8, v15
	s_movk_i32 s4, 0x7f
	v_cmp_gt_i16_sdwa s[6:7], v13, s4 src0_sel:BYTE_0 src1_sel:DWORD
	s_mov_b64 s[4:5], 0
                                        ; implicit-def: $sgpr10
	s_and_saveexec_b64 s[8:9], s[6:7]
	s_xor_b64 s[6:7], exec, s[8:9]
	s_cbranch_execz .LBB1_1773
; %bb.11765:
	s_getpc_b64 s[14:15]
.Lpost_getpc1786:
	s_add_u32 s14, s14, (.LBB1_5869-.Lpost_getpc1786)&4294967295
	s_addc_u32 s15, s15, (.LBB1_5869-.Lpost_getpc1786)>>32
	s_setpc_b64 s[14:15]
.LBB1_1773:
	s_or_saveexec_b64 s[6:7], s[6:7]
	v_mov_b32_e32 v14, s10
	s_xor_b64 exec, exec, s[6:7]
	s_cbranch_execz .LBB1_1774
; %bb.11767:
	s_getpc_b64 s[14:15]
.Lpost_getpc1787:
	s_add_u32 s14, s14, (.LBB1_5872-.Lpost_getpc1787)&4294967295
	s_addc_u32 s15, s15, (.LBB1_5872-.Lpost_getpc1787)>>32
	s_setpc_b64 s[14:15]
.LBB1_1774:
	s_or_b64 exec, exec, s[6:7]
	s_and_saveexec_b64 s[6:7], s[4:5]
	s_cbranch_execz .LBB1_1776
.LBB1_1775:
	v_bfe_u32 v14, v15, 8, 2
	v_ffbh_u32_e32 v17, v14
	v_min_u32_e32 v17, 32, v17
	v_lshrrev_b16_e32 v16, 2, v13
	v_subrev_u32_e32 v18, 29, v17
	v_and_b32_e32 v16, 31, v16
	v_lshlrev_b32_e32 v13, v18, v13
	v_sub_u32_e32 v17, 30, v17
	v_and_b32_e32 v13, 3, v13
	v_cmp_eq_u16_e32 vcc, 0, v16
	v_cndmask_b32_e32 v13, v14, v13, vcc
	v_cndmask_b32_e32 v14, v16, v17, vcc
	v_lshlrev_b32_e32 v16, 16, v15
	v_mov_b32_e32 v17, 0x37800000
	v_lshlrev_b32_e32 v13, 21, v13
	v_and_b32_e32 v16, 0x80000000, v16
	v_lshl_add_u32 v14, v14, 23, v17
	v_or3_b32 v14, v16, v14, v13
.LBB1_1776:
	s_or_b64 exec, exec, s[6:7]
	s_nop 0
	v_mfma_f32_16x16x4f32 a[0:3], v12, v14, a[0:3]
	s_movk_i32 s4, 0xff
	v_and_b32_sdwa v13, v19, s4 dst_sel:DWORD dst_unused:UNUSED_PAD src0_sel:WORD_1 src1_sel:DWORD
	s_movk_i32 s4, 0x7f
	v_cmp_lt_i16_e32 vcc, s4, v13
	s_mov_b64 s[4:5], 0
                                        ; implicit-def: $sgpr10
	s_and_saveexec_b64 s[6:7], vcc
	s_xor_b64 s[6:7], exec, s[6:7]
	s_cbranch_execz .LBB1_1777
; %bb.11769:
	s_getpc_b64 s[14:15]
.Lpost_getpc1788:
	s_add_u32 s14, s14, (.LBB1_5873-.Lpost_getpc1788)&4294967295
	s_addc_u32 s15, s15, (.LBB1_5873-.Lpost_getpc1788)>>32
	s_setpc_b64 s[14:15]
.LBB1_1777:
	s_or_saveexec_b64 s[6:7], s[6:7]
	v_mov_b32_e32 v12, s10
	s_xor_b64 exec, exec, s[6:7]
	s_cbranch_execz .LBB1_1778
; %bb.11771:
	s_getpc_b64 s[14:15]
.Lpost_getpc1789:
	s_add_u32 s14, s14, (.LBB1_5876-.Lpost_getpc1789)&4294967295
	s_addc_u32 s15, s15, (.LBB1_5876-.Lpost_getpc1789)>>32
	s_setpc_b64 s[14:15]
.LBB1_1778:
	s_or_b64 exec, exec, s[6:7]
	s_and_saveexec_b64 s[6:7], s[4:5]
	s_cbranch_execz .LBB1_1780
.LBB1_1779:
	v_bfe_u32 v12, v19, 16, 3
	v_ffbh_u32_e32 v16, v12
	v_min_u32_e32 v16, 32, v16
	v_lshrrev_b32_e32 v13, 19, v19
	v_subrev_u32_e32 v17, 28, v16
	v_and_b32_e32 v13, 15, v13
	v_lshlrev_b32_sdwa v17, v17, v19 dst_sel:DWORD dst_unused:UNUSED_PAD src0_sel:DWORD src1_sel:WORD_1
	v_bfe_u32 v14, v19, 19, 4
	v_sub_u32_e32 v16, 29, v16
	v_and_b32_e32 v17, 7, v17
	v_cmp_eq_u16_e32 vcc, 0, v13
	v_cndmask_b32_e32 v12, v12, v17, vcc
	v_cndmask_b32_e32 v13, v14, v16, vcc
	v_lshlrev_b32_e32 v14, 8, v19
	v_mov_b32_e32 v16, 0x3b800000
	v_lshlrev_b32_e32 v12, 20, v12
	v_and_b32_e32 v14, 0x80000000, v14
	v_lshl_add_u32 v13, v13, 23, v16
	v_or3_b32 v12, v14, v13, v12
.LBB1_1780:
	s_or_b64 exec, exec, s[6:7]
	s_movk_i32 s4, 0xff
	v_and_b32_sdwa v13, v15, s4 dst_sel:DWORD dst_unused:UNUSED_PAD src0_sel:WORD_1 src1_sel:DWORD
	s_movk_i32 s4, 0x7f
	v_cmp_lt_i16_e32 vcc, s4, v13
	s_mov_b64 s[4:5], 0
                                        ; implicit-def: $sgpr10
	s_and_saveexec_b64 s[6:7], vcc
	s_xor_b64 s[6:7], exec, s[6:7]
	s_cbranch_execz .LBB1_1781
; %bb.11773:
	s_getpc_b64 s[14:15]
.Lpost_getpc1790:
	s_add_u32 s14, s14, (.LBB1_5877-.Lpost_getpc1790)&4294967295
	s_addc_u32 s15, s15, (.LBB1_5877-.Lpost_getpc1790)>>32
	s_setpc_b64 s[14:15]
.LBB1_1781:
	s_or_saveexec_b64 s[6:7], s[6:7]
	v_mov_b32_e32 v14, s10
	s_xor_b64 exec, exec, s[6:7]
	s_cbranch_execz .LBB1_1782
; %bb.11775:
	s_getpc_b64 s[14:15]
.Lpost_getpc1791:
	s_add_u32 s14, s14, (.LBB1_5880-.Lpost_getpc1791)&4294967295
	s_addc_u32 s15, s15, (.LBB1_5880-.Lpost_getpc1791)>>32
	s_setpc_b64 s[14:15]
.LBB1_1782:
	s_or_b64 exec, exec, s[6:7]
	s_and_saveexec_b64 s[6:7], s[4:5]
	s_cbranch_execz .LBB1_1784
.LBB1_1783:
	v_bfe_u32 v13, v15, 16, 2
	v_ffbh_u32_e32 v17, v13
	v_min_u32_e32 v17, 32, v17
	v_lshrrev_b32_e32 v14, 18, v15
	v_subrev_u32_e32 v18, 29, v17
	v_and_b32_e32 v14, 31, v14
	v_lshlrev_b32_sdwa v18, v18, v15 dst_sel:DWORD dst_unused:UNUSED_PAD src0_sel:DWORD src1_sel:WORD_1
	v_bfe_u32 v16, v15, 18, 5
	v_sub_u32_e32 v17, 30, v17
	v_and_b32_e32 v18, 3, v18
	v_cmp_eq_u16_e32 vcc, 0, v14
	v_cndmask_b32_e32 v13, v13, v18, vcc
	v_cndmask_b32_e32 v14, v16, v17, vcc
	v_lshlrev_b32_e32 v16, 8, v15
	v_mov_b32_e32 v17, 0x37800000
	v_lshlrev_b32_e32 v13, 21, v13
	v_and_b32_e32 v16, 0x80000000, v16
	v_lshl_add_u32 v14, v14, 23, v17
	v_or3_b32 v14, v16, v14, v13
.LBB1_1784:
	s_or_b64 exec, exec, s[6:7]
	s_nop 0
	v_mfma_f32_16x16x4f32 a[0:3], v12, v14, a[0:3]
	s_movk_i32 s4, 0x7f
	v_cmp_gt_i16_sdwa s[6:7], v19, s4 src0_sel:BYTE_3 src1_sel:DWORD
	s_mov_b64 s[4:5], 0
                                        ; implicit-def: $sgpr10
	s_and_saveexec_b64 s[8:9], s[6:7]
	s_xor_b64 s[6:7], exec, s[8:9]
	s_cbranch_execz .LBB1_1785
; %bb.11777:
	s_getpc_b64 s[14:15]
.Lpost_getpc1792:
	s_add_u32 s14, s14, (.LBB1_5881-.Lpost_getpc1792)&4294967295
	s_addc_u32 s15, s15, (.LBB1_5881-.Lpost_getpc1792)>>32
	s_setpc_b64 s[14:15]
.LBB1_1785:
	s_or_saveexec_b64 s[6:7], s[6:7]
	v_mov_b32_e32 v12, s10
	s_xor_b64 exec, exec, s[6:7]
	s_cbranch_execz .LBB1_1786
; %bb.11779:
	s_getpc_b64 s[14:15]
.Lpost_getpc1793:
	s_add_u32 s14, s14, (.LBB1_5884-.Lpost_getpc1793)&4294967295
	s_addc_u32 s15, s15, (.LBB1_5884-.Lpost_getpc1793)>>32
	s_setpc_b64 s[14:15]
.LBB1_1786:
	s_or_b64 exec, exec, s[6:7]
	s_and_saveexec_b64 s[6:7], s[4:5]
	s_cbranch_execz .LBB1_1788
.LBB1_1787:
	v_bfe_u32 v12, v19, 24, 3
	v_ffbh_u32_e32 v17, v12
	v_min_u32_e32 v17, 32, v17
	v_lshrrev_b32_e32 v14, 27, v19
	v_subrev_u32_e32 v18, 28, v17
	v_and_b32_e32 v14, 15, v14
	v_lshlrev_b32_sdwa v18, v18, v19 dst_sel:DWORD dst_unused:UNUSED_PAD src0_sel:DWORD src1_sel:BYTE_3
	v_bfe_u32 v16, v19, 27, 4
	v_sub_u32_e32 v17, 29, v17
	v_and_b32_e32 v18, 7, v18
	v_cmp_eq_u16_e32 vcc, 0, v14
	v_cndmask_b32_e32 v12, v12, v18, vcc
	v_cndmask_b32_e32 v14, v16, v17, vcc
	v_mov_b32_e32 v16, 0x3b800000
	v_and_b32_e32 v13, 0x80000000, v19
	v_lshlrev_b32_e32 v12, 20, v12
	v_lshl_add_u32 v14, v14, 23, v16
	v_or3_b32 v12, v13, v14, v12
.LBB1_1788:
	s_or_b64 exec, exec, s[6:7]
	s_movk_i32 s4, 0x7f
	v_cmp_gt_i16_sdwa s[6:7], v15, s4 src0_sel:BYTE_3 src1_sel:DWORD
	s_mov_b64 s[4:5], 0
                                        ; implicit-def: $sgpr10
	s_and_saveexec_b64 s[8:9], s[6:7]
	s_xor_b64 s[6:7], exec, s[8:9]
	s_cbranch_execz .LBB1_1789
; %bb.11781:
	s_getpc_b64 s[14:15]
.Lpost_getpc1794:
	s_add_u32 s14, s14, (.LBB1_5885-.Lpost_getpc1794)&4294967295
	s_addc_u32 s15, s15, (.LBB1_5885-.Lpost_getpc1794)>>32
	s_setpc_b64 s[14:15]
.LBB1_1789:
	s_or_saveexec_b64 s[6:7], s[6:7]
	v_mov_b32_e32 v13, s10
	s_xor_b64 exec, exec, s[6:7]
	s_cbranch_execz .LBB1_1790
; %bb.11783:
	s_getpc_b64 s[14:15]
.Lpost_getpc1795:
	s_add_u32 s14, s14, (.LBB1_5888-.Lpost_getpc1795)&4294967295
	s_addc_u32 s15, s15, (.LBB1_5888-.Lpost_getpc1795)>>32
	s_setpc_b64 s[14:15]
.LBB1_1790:
	s_or_b64 exec, exec, s[6:7]
	s_and_saveexec_b64 s[6:7], s[4:5]
	s_cbranch_execz .LBB1_1792
.LBB1_1791:
	v_bfe_u32 v13, v15, 24, 2
	v_ffbh_u32_e32 v18, v13
	v_min_u32_e32 v18, 32, v18
	v_lshrrev_b32_e32 v16, 26, v15
	v_subrev_u32_e32 v19, 29, v18
	v_and_b32_e32 v14, 0x80000000, v15
	v_and_b32_e32 v16, 31, v16
	v_bfe_u32 v17, v15, 26, 5
	v_lshlrev_b32_sdwa v15, v19, v15 dst_sel:DWORD dst_unused:UNUSED_PAD src0_sel:DWORD src1_sel:BYTE_3
	v_sub_u32_e32 v18, 30, v18
	v_and_b32_e32 v15, 3, v15
	v_cmp_eq_u16_e32 vcc, 0, v16
	v_cndmask_b32_e32 v13, v13, v15, vcc
	v_cndmask_b32_e32 v15, v17, v18, vcc
	v_mov_b32_e32 v16, 0x37800000
	v_lshlrev_b32_e32 v13, 21, v13
	v_lshl_add_u32 v15, v15, 23, v16
	v_or3_b32 v13, v14, v15, v13
.LBB1_1792:
	s_or_b64 exec, exec, s[6:7]
	s_nop 0
	v_mfma_f32_16x16x4f32 a[0:3], v12, v13, a[0:3]
	v_mov_b32_e32 v16, 8
	s_movk_i32 s4, 0x7f
                                        ; implicit-def: $sgpr10
	s_nop 7
	s_nop 0
	flat_store_dwordx4 v[10:11], a[0:3] offset:208
	flat_load_dword v14, v[0:1] offset:544
	flat_load_dwordx2 v[12:13], v[6:7]
	s_waitcnt vmcnt(0) lgkmcnt(0)
	v_ashrrev_i32_e32 v15, 31, v14
	v_add_co_u32_e32 v12, vcc, v12, v14
	v_addc_co_u32_e32 v13, vcc, v13, v15, vcc
	flat_load_dwordx4 v[12:15], v[12:13] offset:1024
	s_waitcnt vmcnt(0) lgkmcnt(0)
	v_lshrrev_b32_sdwa v20, v16, v14 dst_sel:BYTE_1 dst_unused:UNUSED_PAD src0_sel:DWORD src1_sel:DWORD
	flat_store_dwordx4 v[8:9], v[12:15]
	flat_load_dwordx4 v[16:19], v[4:5]
	s_waitcnt vmcnt(0) lgkmcnt(0)
	v_cmp_gt_i16_sdwa s[6:7], v16, s4 src0_sel:BYTE_0 src1_sel:DWORD
	s_mov_b64 s[4:5], 0
	s_and_saveexec_b64 s[8:9], s[6:7]
	s_xor_b64 s[6:7], exec, s[8:9]
	s_cbranch_execz .LBB1_1793
; %bb.11785:
	s_getpc_b64 s[14:15]
.Lpost_getpc1796:
	s_add_u32 s14, s14, (.LBB1_5889-.Lpost_getpc1796)&4294967295
	s_addc_u32 s15, s15, (.LBB1_5889-.Lpost_getpc1796)>>32
	s_setpc_b64 s[14:15]
.LBB1_1793:
	s_or_saveexec_b64 s[6:7], s[6:7]
	v_mov_b32_e32 v21, s10
	s_xor_b64 exec, exec, s[6:7]
	s_cbranch_execz .LBB1_1794
; %bb.11787:
	s_getpc_b64 s[14:15]
.Lpost_getpc1797:
	s_add_u32 s14, s14, (.LBB1_5892-.Lpost_getpc1797)&4294967295
	s_addc_u32 s15, s15, (.LBB1_5892-.Lpost_getpc1797)>>32
	s_setpc_b64 s[14:15]
.LBB1_1794:
	s_or_b64 exec, exec, s[6:7]
	s_and_saveexec_b64 s[6:7], s[4:5]
	s_cbranch_execz .LBB1_1796
.LBB1_1795:
	v_and_b32_e32 v21, 7, v16
	v_ffbh_u32_e32 v23, v21
	v_min_u32_e32 v23, 32, v23
	v_lshrrev_b16_e32 v22, 3, v16
	v_subrev_u32_e32 v24, 28, v23
	v_and_b32_e32 v22, 15, v22
	v_lshlrev_b32_e32 v24, v24, v16
	v_sub_u32_e32 v23, 29, v23
	v_and_b32_e32 v24, 7, v24
	v_cmp_eq_u16_e32 vcc, 0, v22
	v_cndmask_b32_e32 v21, v21, v24, vcc
	v_cndmask_b32_e32 v22, v22, v23, vcc
	v_lshlrev_b32_e32 v23, 24, v16
	v_mov_b32_e32 v24, 0x3b800000
	v_lshlrev_b32_e32 v21, 20, v21
	v_and_b32_e32 v23, 0x80000000, v23
	v_lshl_add_u32 v22, v22, 23, v24
	v_or3_b32 v21, v23, v22, v21
.LBB1_1796:
	s_or_b64 exec, exec, s[6:7]
	s_movk_i32 s4, 0x7f
	v_cmp_gt_i16_sdwa s[6:7], v12, s4 src0_sel:BYTE_0 src1_sel:DWORD
	s_mov_b64 s[4:5], 0
                                        ; implicit-def: $sgpr10
	s_and_saveexec_b64 s[8:9], s[6:7]
	s_xor_b64 s[6:7], exec, s[8:9]
	s_cbranch_execz .LBB1_1797
; %bb.11789:
	s_getpc_b64 s[14:15]
.Lpost_getpc1798:
	s_add_u32 s14, s14, (.LBB1_5893-.Lpost_getpc1798)&4294967295
	s_addc_u32 s15, s15, (.LBB1_5893-.Lpost_getpc1798)>>32
	s_setpc_b64 s[14:15]
.LBB1_1797:
	s_or_saveexec_b64 s[6:7], s[6:7]
	v_mov_b32_e32 v22, s10
	s_xor_b64 exec, exec, s[6:7]
	s_cbranch_execz .LBB1_1798
; %bb.11791:
	s_getpc_b64 s[14:15]
.Lpost_getpc1799:
	s_add_u32 s14, s14, (.LBB1_5896-.Lpost_getpc1799)&4294967295
	s_addc_u32 s15, s15, (.LBB1_5896-.Lpost_getpc1799)>>32
	s_setpc_b64 s[14:15]
.LBB1_1798:
	s_or_b64 exec, exec, s[6:7]
	s_and_saveexec_b64 s[6:7], s[4:5]
	s_cbranch_execz .LBB1_1800
.LBB1_1799:
	v_and_b32_e32 v22, 3, v12
	v_ffbh_u32_e32 v24, v22
	v_min_u32_e32 v24, 32, v24
	v_lshrrev_b16_e32 v23, 2, v12
	v_subrev_u32_e32 v25, 29, v24
	v_and_b32_e32 v23, 31, v23
	v_lshlrev_b32_e32 v25, v25, v12
	v_sub_u32_e32 v24, 30, v24
	v_and_b32_e32 v25, 3, v25
	v_cmp_eq_u16_e32 vcc, 0, v23
	v_cndmask_b32_e32 v22, v22, v25, vcc
	v_cndmask_b32_e32 v23, v23, v24, vcc
	v_lshlrev_b32_e32 v24, 24, v12
	v_mov_b32_e32 v25, 0x37800000
	v_lshlrev_b32_e32 v22, 21, v22
	v_and_b32_e32 v24, 0x80000000, v24
	v_lshl_add_u32 v23, v23, 23, v25
	v_or3_b32 v22, v24, v23, v22
.LBB1_1800:
	s_or_b64 exec, exec, s[6:7]
	flat_load_dwordx4 a[0:3], v[10:11] offset:224
	s_movk_i32 s4, 0x7f
                                        ; implicit-def: $sgpr10
	s_waitcnt vmcnt(0) lgkmcnt(0)
	v_mfma_f32_16x16x4f32 a[0:3], v21, v22, a[0:3]
	v_lshrrev_b32_e32 v22, 8, v16
	v_cmp_gt_i16_sdwa s[6:7], v22, s4 src0_sel:BYTE_0 src1_sel:DWORD
	s_mov_b64 s[4:5], 0
	s_and_saveexec_b64 s[8:9], s[6:7]
	s_xor_b64 s[6:7], exec, s[8:9]
	s_cbranch_execz .LBB1_1801
; %bb.11793:
	s_getpc_b64 s[14:15]
.Lpost_getpc1800:
	s_add_u32 s14, s14, (.LBB1_5897-.Lpost_getpc1800)&4294967295
	s_addc_u32 s15, s15, (.LBB1_5897-.Lpost_getpc1800)>>32
	s_setpc_b64 s[14:15]
.LBB1_1801:
	s_or_saveexec_b64 s[6:7], s[6:7]
	v_mov_b32_e32 v21, s10
	s_xor_b64 exec, exec, s[6:7]
	s_cbranch_execz .LBB1_1802
; %bb.11795:
	s_getpc_b64 s[14:15]
.Lpost_getpc1801:
	s_add_u32 s14, s14, (.LBB1_5900-.Lpost_getpc1801)&4294967295
	s_addc_u32 s15, s15, (.LBB1_5900-.Lpost_getpc1801)>>32
	s_setpc_b64 s[14:15]
.LBB1_1802:
	s_or_b64 exec, exec, s[6:7]
	s_and_saveexec_b64 s[6:7], s[4:5]
	s_cbranch_execz .LBB1_1804
.LBB1_1803:
	v_bfe_u32 v21, v16, 8, 3
	v_ffbh_u32_e32 v24, v21
	v_min_u32_e32 v24, 32, v24
	v_lshrrev_b16_e32 v23, 3, v22
	v_subrev_u32_e32 v25, 28, v24
	v_and_b32_e32 v23, 15, v23
	v_lshlrev_b32_e32 v22, v25, v22
	v_sub_u32_e32 v24, 29, v24
	v_and_b32_e32 v22, 7, v22
	v_cmp_eq_u16_e32 vcc, 0, v23
	v_cndmask_b32_e32 v21, v21, v22, vcc
	v_cndmask_b32_e32 v22, v23, v24, vcc
	v_lshlrev_b32_e32 v23, 16, v16
	v_mov_b32_e32 v24, 0x3b800000
	v_lshlrev_b32_e32 v21, 20, v21
	v_and_b32_e32 v23, 0x80000000, v23
	v_lshl_add_u32 v22, v22, 23, v24
	v_or3_b32 v21, v23, v22, v21
.LBB1_1804:
	s_or_b64 exec, exec, s[6:7]
	v_lshrrev_b32_e32 v22, 8, v12
	s_movk_i32 s4, 0x7f
	v_cmp_gt_i16_sdwa s[6:7], v22, s4 src0_sel:BYTE_0 src1_sel:DWORD
	s_mov_b64 s[4:5], 0
                                        ; implicit-def: $sgpr10
	s_and_saveexec_b64 s[8:9], s[6:7]
	s_xor_b64 s[6:7], exec, s[8:9]
	s_cbranch_execz .LBB1_1805
; %bb.11797:
	s_getpc_b64 s[14:15]
.Lpost_getpc1802:
	s_add_u32 s14, s14, (.LBB1_5901-.Lpost_getpc1802)&4294967295
	s_addc_u32 s15, s15, (.LBB1_5901-.Lpost_getpc1802)>>32
	s_setpc_b64 s[14:15]
.LBB1_1805:
	s_or_saveexec_b64 s[6:7], s[6:7]
	v_mov_b32_e32 v23, s10
	s_xor_b64 exec, exec, s[6:7]
	s_cbranch_execz .LBB1_1806
; %bb.11799:
	s_getpc_b64 s[14:15]
.Lpost_getpc1803:
	s_add_u32 s14, s14, (.LBB1_5904-.Lpost_getpc1803)&4294967295
	s_addc_u32 s15, s15, (.LBB1_5904-.Lpost_getpc1803)>>32
	s_setpc_b64 s[14:15]
.LBB1_1806:
	s_or_b64 exec, exec, s[6:7]
	s_and_saveexec_b64 s[6:7], s[4:5]
	s_cbranch_execz .LBB1_1808
.LBB1_1807:
	v_bfe_u32 v23, v12, 8, 2
	v_ffbh_u32_e32 v25, v23
	v_min_u32_e32 v25, 32, v25
	v_lshrrev_b16_e32 v24, 2, v22
	v_subrev_u32_e32 v26, 29, v25
	v_and_b32_e32 v24, 31, v24
	v_lshlrev_b32_e32 v22, v26, v22
	v_sub_u32_e32 v25, 30, v25
	v_and_b32_e32 v22, 3, v22
	v_cmp_eq_u16_e32 vcc, 0, v24
	v_cndmask_b32_e32 v22, v23, v22, vcc
	v_cndmask_b32_e32 v23, v24, v25, vcc
	v_lshlrev_b32_e32 v24, 16, v12
	v_mov_b32_e32 v25, 0x37800000
	v_lshlrev_b32_e32 v22, 21, v22
	v_and_b32_e32 v24, 0x80000000, v24
	v_lshl_add_u32 v23, v23, 23, v25
	v_or3_b32 v23, v24, v23, v22
.LBB1_1808:
	s_or_b64 exec, exec, s[6:7]
	s_nop 0
	v_mfma_f32_16x16x4f32 a[0:3], v21, v23, a[0:3]
	s_movk_i32 s4, 0xff
	v_and_b32_sdwa v22, v16, s4 dst_sel:DWORD dst_unused:UNUSED_PAD src0_sel:WORD_1 src1_sel:DWORD
	s_movk_i32 s4, 0x7f
	v_cmp_lt_i16_e32 vcc, s4, v22
	s_mov_b64 s[4:5], 0
                                        ; implicit-def: $sgpr10
	s_and_saveexec_b64 s[6:7], vcc
	s_xor_b64 s[6:7], exec, s[6:7]
	s_cbranch_execz .LBB1_1809
; %bb.11801:
	s_getpc_b64 s[14:15]
.Lpost_getpc1804:
	s_add_u32 s14, s14, (.LBB1_5905-.Lpost_getpc1804)&4294967295
	s_addc_u32 s15, s15, (.LBB1_5905-.Lpost_getpc1804)>>32
	s_setpc_b64 s[14:15]
.LBB1_1809:
	s_or_saveexec_b64 s[6:7], s[6:7]
	v_mov_b32_e32 v21, s10
	s_xor_b64 exec, exec, s[6:7]
	s_cbranch_execz .LBB1_1810
; %bb.11803:
	s_getpc_b64 s[14:15]
.Lpost_getpc1805:
	s_add_u32 s14, s14, (.LBB1_5908-.Lpost_getpc1805)&4294967295
	s_addc_u32 s15, s15, (.LBB1_5908-.Lpost_getpc1805)>>32
	s_setpc_b64 s[14:15]
.LBB1_1810:
	s_or_b64 exec, exec, s[6:7]
	s_and_saveexec_b64 s[6:7], s[4:5]
	s_cbranch_execz .LBB1_1812
.LBB1_1811:
	v_bfe_u32 v21, v16, 16, 3
	v_ffbh_u32_e32 v24, v21
	v_min_u32_e32 v24, 32, v24
	v_lshrrev_b32_e32 v22, 19, v16
	v_subrev_u32_e32 v25, 28, v24
	v_and_b32_e32 v22, 15, v22
	v_lshlrev_b32_sdwa v25, v25, v16 dst_sel:DWORD dst_unused:UNUSED_PAD src0_sel:DWORD src1_sel:WORD_1
	v_bfe_u32 v23, v16, 19, 4
	v_sub_u32_e32 v24, 29, v24
	v_and_b32_e32 v25, 7, v25
	v_cmp_eq_u16_e32 vcc, 0, v22
	v_cndmask_b32_e32 v21, v21, v25, vcc
	v_cndmask_b32_e32 v22, v23, v24, vcc
	v_lshlrev_b32_e32 v23, 8, v16
	v_mov_b32_e32 v24, 0x3b800000
	v_lshlrev_b32_e32 v21, 20, v21
	v_and_b32_e32 v23, 0x80000000, v23
	v_lshl_add_u32 v22, v22, 23, v24
	v_or3_b32 v21, v23, v22, v21
.LBB1_1812:
	s_or_b64 exec, exec, s[6:7]
	s_movk_i32 s4, 0xff
	v_and_b32_sdwa v22, v12, s4 dst_sel:DWORD dst_unused:UNUSED_PAD src0_sel:WORD_1 src1_sel:DWORD
	s_movk_i32 s4, 0x7f
	v_cmp_lt_i16_e32 vcc, s4, v22
	s_mov_b64 s[4:5], 0
                                        ; implicit-def: $sgpr10
	s_and_saveexec_b64 s[6:7], vcc
	s_xor_b64 s[6:7], exec, s[6:7]
	s_cbranch_execz .LBB1_1813
; %bb.11805:
	s_getpc_b64 s[14:15]
.Lpost_getpc1806:
	s_add_u32 s14, s14, (.LBB1_5909-.Lpost_getpc1806)&4294967295
	s_addc_u32 s15, s15, (.LBB1_5909-.Lpost_getpc1806)>>32
	s_setpc_b64 s[14:15]
.LBB1_1813:
	s_or_saveexec_b64 s[6:7], s[6:7]
	v_mov_b32_e32 v23, s10
	s_xor_b64 exec, exec, s[6:7]
	s_cbranch_execz .LBB1_1814
; %bb.11807:
	s_getpc_b64 s[14:15]
.Lpost_getpc1807:
	s_add_u32 s14, s14, (.LBB1_5912-.Lpost_getpc1807)&4294967295
	s_addc_u32 s15, s15, (.LBB1_5912-.Lpost_getpc1807)>>32
	s_setpc_b64 s[14:15]
.LBB1_1814:
	s_or_b64 exec, exec, s[6:7]
	s_and_saveexec_b64 s[6:7], s[4:5]
	s_cbranch_execz .LBB1_1816
.LBB1_1815:
	v_bfe_u32 v22, v12, 16, 2
	v_ffbh_u32_e32 v25, v22
	v_min_u32_e32 v25, 32, v25
	v_lshrrev_b32_e32 v23, 18, v12
	v_subrev_u32_e32 v26, 29, v25
	v_and_b32_e32 v23, 31, v23
	v_lshlrev_b32_sdwa v26, v26, v12 dst_sel:DWORD dst_unused:UNUSED_PAD src0_sel:DWORD src1_sel:WORD_1
	v_bfe_u32 v24, v12, 18, 5
	v_sub_u32_e32 v25, 30, v25
	v_and_b32_e32 v26, 3, v26
	v_cmp_eq_u16_e32 vcc, 0, v23
	v_cndmask_b32_e32 v22, v22, v26, vcc
	v_cndmask_b32_e32 v23, v24, v25, vcc
	v_lshlrev_b32_e32 v24, 8, v12
	v_mov_b32_e32 v25, 0x37800000
	v_lshlrev_b32_e32 v22, 21, v22
	v_and_b32_e32 v24, 0x80000000, v24
	v_lshl_add_u32 v23, v23, 23, v25
	v_or3_b32 v23, v24, v23, v22
.LBB1_1816:
	s_or_b64 exec, exec, s[6:7]
	s_nop 0
	v_mfma_f32_16x16x4f32 a[0:3], v21, v23, a[0:3]
	s_movk_i32 s4, 0x7f
	v_cmp_gt_i16_sdwa s[6:7], v16, s4 src0_sel:BYTE_3 src1_sel:DWORD
	s_mov_b64 s[4:5], 0
                                        ; implicit-def: $sgpr10
	s_and_saveexec_b64 s[8:9], s[6:7]
	s_xor_b64 s[6:7], exec, s[8:9]
	s_cbranch_execz .LBB1_1817
; %bb.11809:
	s_getpc_b64 s[14:15]
.Lpost_getpc1808:
	s_add_u32 s14, s14, (.LBB1_5913-.Lpost_getpc1808)&4294967295
	s_addc_u32 s15, s15, (.LBB1_5913-.Lpost_getpc1808)>>32
	s_setpc_b64 s[14:15]
.LBB1_1817:
	s_or_saveexec_b64 s[6:7], s[6:7]
	v_mov_b32_e32 v21, s10
	s_xor_b64 exec, exec, s[6:7]
	s_cbranch_execz .LBB1_1818
; %bb.11811:
	s_getpc_b64 s[14:15]
.Lpost_getpc1809:
	s_add_u32 s14, s14, (.LBB1_5916-.Lpost_getpc1809)&4294967295
	s_addc_u32 s15, s15, (.LBB1_5916-.Lpost_getpc1809)>>32
	s_setpc_b64 s[14:15]
.LBB1_1818:
	s_or_b64 exec, exec, s[6:7]
	s_and_saveexec_b64 s[6:7], s[4:5]
	s_cbranch_execz .LBB1_1820
.LBB1_1819:
	v_bfe_u32 v21, v16, 24, 3
	v_ffbh_u32_e32 v25, v21
	v_min_u32_e32 v25, 32, v25
	v_lshrrev_b32_e32 v23, 27, v16
	v_subrev_u32_e32 v26, 28, v25
	v_and_b32_e32 v22, 0x80000000, v16
	v_and_b32_e32 v23, 15, v23
	v_bfe_u32 v24, v16, 27, 4
	v_lshlrev_b32_sdwa v16, v26, v16 dst_sel:DWORD dst_unused:UNUSED_PAD src0_sel:DWORD src1_sel:BYTE_3
	v_sub_u32_e32 v25, 29, v25
	v_and_b32_e32 v16, 7, v16
	v_cmp_eq_u16_e32 vcc, 0, v23
	v_cndmask_b32_e32 v16, v21, v16, vcc
	v_cndmask_b32_e32 v21, v24, v25, vcc
	v_mov_b32_e32 v23, 0x3b800000
	v_lshlrev_b32_e32 v16, 20, v16
	v_lshl_add_u32 v21, v21, 23, v23
	v_or3_b32 v21, v22, v21, v16
.LBB1_1820:
	s_or_b64 exec, exec, s[6:7]
	s_movk_i32 s4, 0x7f
	v_cmp_gt_i16_sdwa s[6:7], v12, s4 src0_sel:BYTE_3 src1_sel:DWORD
	s_mov_b64 s[4:5], 0
                                        ; implicit-def: $sgpr10
	s_and_saveexec_b64 s[8:9], s[6:7]
	s_xor_b64 s[6:7], exec, s[8:9]
	s_cbranch_execz .LBB1_1821
; %bb.11813:
	s_getpc_b64 s[14:15]
.Lpost_getpc1810:
	s_add_u32 s14, s14, (.LBB1_5917-.Lpost_getpc1810)&4294967295
	s_addc_u32 s15, s15, (.LBB1_5917-.Lpost_getpc1810)>>32
	s_setpc_b64 s[14:15]
.LBB1_1821:
	s_or_saveexec_b64 s[6:7], s[6:7]
	v_mov_b32_e32 v16, s10
	s_xor_b64 exec, exec, s[6:7]
	s_cbranch_execz .LBB1_1822
; %bb.11815:
	s_getpc_b64 s[14:15]
.Lpost_getpc1811:
	s_add_u32 s14, s14, (.LBB1_5920-.Lpost_getpc1811)&4294967295
	s_addc_u32 s15, s15, (.LBB1_5920-.Lpost_getpc1811)>>32
	s_setpc_b64 s[14:15]
.LBB1_1822:
	s_or_b64 exec, exec, s[6:7]
	s_and_saveexec_b64 s[6:7], s[4:5]
	s_cbranch_execz .LBB1_1824
.LBB1_1823:
	v_bfe_u32 v16, v12, 24, 2
	v_ffbh_u32_e32 v25, v16
	v_min_u32_e32 v25, 32, v25
	v_lshrrev_b32_e32 v23, 26, v12
	v_subrev_u32_e32 v26, 29, v25
	v_and_b32_e32 v22, 0x80000000, v12
	v_and_b32_e32 v23, 31, v23
	v_bfe_u32 v24, v12, 26, 5
	v_lshlrev_b32_sdwa v12, v26, v12 dst_sel:DWORD dst_unused:UNUSED_PAD src0_sel:DWORD src1_sel:BYTE_3
	v_sub_u32_e32 v25, 30, v25
	v_and_b32_e32 v12, 3, v12
	v_cmp_eq_u16_e32 vcc, 0, v23
	v_cndmask_b32_e32 v12, v16, v12, vcc
	v_cndmask_b32_e32 v16, v24, v25, vcc
	v_mov_b32_e32 v23, 0x37800000
	v_lshlrev_b32_e32 v12, 21, v12
	v_lshl_add_u32 v16, v16, 23, v23
	v_or3_b32 v16, v22, v16, v12
.LBB1_1824:
	s_or_b64 exec, exec, s[6:7]
	s_nop 0
	v_mfma_f32_16x16x4f32 a[0:3], v21, v16, a[0:3]
	s_movk_i32 s4, 0x7f
	v_cmp_gt_i16_sdwa s[6:7], v17, s4 src0_sel:BYTE_0 src1_sel:DWORD
	s_mov_b64 s[4:5], 0
                                        ; implicit-def: $sgpr10
	s_and_saveexec_b64 s[8:9], s[6:7]
	s_xor_b64 s[6:7], exec, s[8:9]
	s_cbranch_execz .LBB1_1825
; %bb.11817:
	s_getpc_b64 s[14:15]
.Lpost_getpc1812:
	s_add_u32 s14, s14, (.LBB1_5921-.Lpost_getpc1812)&4294967295
	s_addc_u32 s15, s15, (.LBB1_5921-.Lpost_getpc1812)>>32
	s_setpc_b64 s[14:15]
.LBB1_1825:
	s_or_saveexec_b64 s[6:7], s[6:7]
	v_mov_b32_e32 v12, s10
	s_xor_b64 exec, exec, s[6:7]
	s_cbranch_execz .LBB1_1826
; %bb.11819:
	s_getpc_b64 s[14:15]
.Lpost_getpc1813:
	s_add_u32 s14, s14, (.LBB1_5924-.Lpost_getpc1813)&4294967295
	s_addc_u32 s15, s15, (.LBB1_5924-.Lpost_getpc1813)>>32
	s_setpc_b64 s[14:15]
.LBB1_1826:
	s_or_b64 exec, exec, s[6:7]
	s_and_saveexec_b64 s[6:7], s[4:5]
	s_cbranch_execz .LBB1_1828
.LBB1_1827:
	v_and_b32_e32 v12, 7, v17
	v_ffbh_u32_e32 v21, v12
	v_min_u32_e32 v21, 32, v21
	v_lshrrev_b16_e32 v16, 3, v17
	v_subrev_u32_e32 v22, 28, v21
	v_and_b32_e32 v16, 15, v16
	v_lshlrev_b32_e32 v22, v22, v17
	v_sub_u32_e32 v21, 29, v21
	v_and_b32_e32 v22, 7, v22
	v_cmp_eq_u16_e32 vcc, 0, v16
	v_cndmask_b32_e32 v12, v12, v22, vcc
	v_cndmask_b32_e32 v16, v16, v21, vcc
	v_lshlrev_b32_e32 v21, 24, v17
	v_mov_b32_e32 v22, 0x3b800000
	v_lshlrev_b32_e32 v12, 20, v12
	v_and_b32_e32 v21, 0x80000000, v21
	v_lshl_add_u32 v16, v16, 23, v22
	v_or3_b32 v12, v21, v16, v12
.LBB1_1828:
	s_or_b64 exec, exec, s[6:7]
	s_movk_i32 s4, 0x7f
	v_cmp_gt_i16_sdwa s[6:7], v13, s4 src0_sel:BYTE_0 src1_sel:DWORD
	s_mov_b64 s[4:5], 0
                                        ; implicit-def: $sgpr10
	s_and_saveexec_b64 s[8:9], s[6:7]
	s_xor_b64 s[6:7], exec, s[8:9]
	s_cbranch_execz .LBB1_1829
; %bb.11821:
	s_getpc_b64 s[14:15]
.Lpost_getpc1814:
	s_add_u32 s14, s14, (.LBB1_5925-.Lpost_getpc1814)&4294967295
	s_addc_u32 s15, s15, (.LBB1_5925-.Lpost_getpc1814)>>32
	s_setpc_b64 s[14:15]
.LBB1_1829:
	s_or_saveexec_b64 s[6:7], s[6:7]
	v_mov_b32_e32 v16, s10
	s_xor_b64 exec, exec, s[6:7]
	s_cbranch_execz .LBB1_1830
; %bb.11823:
	s_getpc_b64 s[14:15]
.Lpost_getpc1815:
	s_add_u32 s14, s14, (.LBB1_5928-.Lpost_getpc1815)&4294967295
	s_addc_u32 s15, s15, (.LBB1_5928-.Lpost_getpc1815)>>32
	s_setpc_b64 s[14:15]
.LBB1_1830:
	s_or_b64 exec, exec, s[6:7]
	s_and_saveexec_b64 s[6:7], s[4:5]
	s_cbranch_execz .LBB1_1832
.LBB1_1831:
	v_and_b32_e32 v16, 3, v13
	v_ffbh_u32_e32 v22, v16
	v_min_u32_e32 v22, 32, v22
	v_lshrrev_b16_e32 v21, 2, v13
	v_subrev_u32_e32 v23, 29, v22
	v_and_b32_e32 v21, 31, v21
	v_lshlrev_b32_e32 v23, v23, v13
	v_sub_u32_e32 v22, 30, v22
	v_and_b32_e32 v23, 3, v23
	v_cmp_eq_u16_e32 vcc, 0, v21
	v_cndmask_b32_e32 v16, v16, v23, vcc
	v_cndmask_b32_e32 v21, v21, v22, vcc
	v_lshlrev_b32_e32 v22, 24, v13
	v_mov_b32_e32 v23, 0x37800000
	v_lshlrev_b32_e32 v16, 21, v16
	v_and_b32_e32 v22, 0x80000000, v22
	v_lshl_add_u32 v21, v21, 23, v23
	v_or3_b32 v16, v22, v21, v16
.LBB1_1832:
	s_or_b64 exec, exec, s[6:7]
	s_nop 0
	v_mfma_f32_16x16x4f32 a[0:3], v12, v16, a[0:3]
	v_lshrrev_b32_e32 v16, 8, v17
	s_movk_i32 s4, 0x7f
	v_cmp_gt_i16_sdwa s[6:7], v16, s4 src0_sel:BYTE_0 src1_sel:DWORD
	s_mov_b64 s[4:5], 0
                                        ; implicit-def: $sgpr10
	s_and_saveexec_b64 s[8:9], s[6:7]
	s_xor_b64 s[6:7], exec, s[8:9]
	s_cbranch_execz .LBB1_1833
; %bb.11825:
	s_getpc_b64 s[14:15]
.Lpost_getpc1816:
	s_add_u32 s14, s14, (.LBB1_5929-.Lpost_getpc1816)&4294967295
	s_addc_u32 s15, s15, (.LBB1_5929-.Lpost_getpc1816)>>32
	s_setpc_b64 s[14:15]
.LBB1_1833:
	s_or_saveexec_b64 s[6:7], s[6:7]
	v_mov_b32_e32 v12, s10
	s_xor_b64 exec, exec, s[6:7]
	s_cbranch_execz .LBB1_1834
; %bb.11827:
	s_getpc_b64 s[14:15]
.Lpost_getpc1817:
	s_add_u32 s14, s14, (.LBB1_5932-.Lpost_getpc1817)&4294967295
	s_addc_u32 s15, s15, (.LBB1_5932-.Lpost_getpc1817)>>32
	s_setpc_b64 s[14:15]
.LBB1_1834:
	s_or_b64 exec, exec, s[6:7]
	s_and_saveexec_b64 s[6:7], s[4:5]
	s_cbranch_execz .LBB1_1836
.LBB1_1835:
	v_bfe_u32 v12, v17, 8, 3
	v_ffbh_u32_e32 v22, v12
	v_min_u32_e32 v22, 32, v22
	v_lshrrev_b16_e32 v21, 3, v16
	v_subrev_u32_e32 v23, 28, v22
	v_and_b32_e32 v21, 15, v21
	v_lshlrev_b32_e32 v16, v23, v16
	v_sub_u32_e32 v22, 29, v22
	v_and_b32_e32 v16, 7, v16
	v_cmp_eq_u16_e32 vcc, 0, v21
	v_cndmask_b32_e32 v12, v12, v16, vcc
	v_cndmask_b32_e32 v16, v21, v22, vcc
	v_lshlrev_b32_e32 v21, 16, v17
	v_mov_b32_e32 v22, 0x3b800000
	v_lshlrev_b32_e32 v12, 20, v12
	v_and_b32_e32 v21, 0x80000000, v21
	v_lshl_add_u32 v16, v16, 23, v22
	v_or3_b32 v12, v21, v16, v12
.LBB1_1836:
	s_or_b64 exec, exec, s[6:7]
	v_lshrrev_b32_e32 v16, 8, v13
	s_movk_i32 s4, 0x7f
	v_cmp_gt_i16_sdwa s[6:7], v16, s4 src0_sel:BYTE_0 src1_sel:DWORD
	s_mov_b64 s[4:5], 0
                                        ; implicit-def: $sgpr10
	s_and_saveexec_b64 s[8:9], s[6:7]
	s_xor_b64 s[6:7], exec, s[8:9]
	s_cbranch_execz .LBB1_1837
; %bb.11829:
	s_getpc_b64 s[14:15]
.Lpost_getpc1818:
	s_add_u32 s14, s14, (.LBB1_5933-.Lpost_getpc1818)&4294967295
	s_addc_u32 s15, s15, (.LBB1_5933-.Lpost_getpc1818)>>32
	s_setpc_b64 s[14:15]
.LBB1_1837:
	s_or_saveexec_b64 s[6:7], s[6:7]
	v_mov_b32_e32 v21, s10
	s_xor_b64 exec, exec, s[6:7]
	s_cbranch_execz .LBB1_1838
; %bb.11831:
	s_getpc_b64 s[14:15]
.Lpost_getpc1819:
	s_add_u32 s14, s14, (.LBB1_5936-.Lpost_getpc1819)&4294967295
	s_addc_u32 s15, s15, (.LBB1_5936-.Lpost_getpc1819)>>32
	s_setpc_b64 s[14:15]
.LBB1_1838:
	s_or_b64 exec, exec, s[6:7]
	s_and_saveexec_b64 s[6:7], s[4:5]
	s_cbranch_execz .LBB1_1840
.LBB1_1839:
	v_bfe_u32 v21, v13, 8, 2
	v_ffbh_u32_e32 v23, v21
	v_min_u32_e32 v23, 32, v23
	v_lshrrev_b16_e32 v22, 2, v16
	v_subrev_u32_e32 v24, 29, v23
	v_and_b32_e32 v22, 31, v22
	v_lshlrev_b32_e32 v16, v24, v16
	v_sub_u32_e32 v23, 30, v23
	v_and_b32_e32 v16, 3, v16
	v_cmp_eq_u16_e32 vcc, 0, v22
	v_cndmask_b32_e32 v16, v21, v16, vcc
	v_cndmask_b32_e32 v21, v22, v23, vcc
	v_lshlrev_b32_e32 v22, 16, v13
	v_mov_b32_e32 v23, 0x37800000
	v_lshlrev_b32_e32 v16, 21, v16
	v_and_b32_e32 v22, 0x80000000, v22
	v_lshl_add_u32 v21, v21, 23, v23
	v_or3_b32 v21, v22, v21, v16
.LBB1_1840:
	s_or_b64 exec, exec, s[6:7]
	s_nop 0
	v_mfma_f32_16x16x4f32 a[0:3], v12, v21, a[0:3]
	s_movk_i32 s4, 0xff
	v_and_b32_sdwa v16, v17, s4 dst_sel:DWORD dst_unused:UNUSED_PAD src0_sel:WORD_1 src1_sel:DWORD
	s_movk_i32 s4, 0x7f
	v_cmp_lt_i16_e32 vcc, s4, v16
	s_mov_b64 s[4:5], 0
                                        ; implicit-def: $sgpr10
	s_and_saveexec_b64 s[6:7], vcc
	s_xor_b64 s[6:7], exec, s[6:7]
	s_cbranch_execz .LBB1_1841
; %bb.11833:
	s_getpc_b64 s[14:15]
.Lpost_getpc1820:
	s_add_u32 s14, s14, (.LBB1_5937-.Lpost_getpc1820)&4294967295
	s_addc_u32 s15, s15, (.LBB1_5937-.Lpost_getpc1820)>>32
	s_setpc_b64 s[14:15]
.LBB1_1841:
	s_or_saveexec_b64 s[6:7], s[6:7]
	v_mov_b32_e32 v12, s10
	s_xor_b64 exec, exec, s[6:7]
	s_cbranch_execz .LBB1_1842
; %bb.11835:
	s_getpc_b64 s[14:15]
.Lpost_getpc1821:
	s_add_u32 s14, s14, (.LBB1_5940-.Lpost_getpc1821)&4294967295
	s_addc_u32 s15, s15, (.LBB1_5940-.Lpost_getpc1821)>>32
	s_setpc_b64 s[14:15]
.LBB1_1842:
	s_or_b64 exec, exec, s[6:7]
	s_and_saveexec_b64 s[6:7], s[4:5]
	s_cbranch_execz .LBB1_1844
.LBB1_1843:
	v_bfe_u32 v12, v17, 16, 3
	v_ffbh_u32_e32 v22, v12
	v_min_u32_e32 v22, 32, v22
	v_lshrrev_b32_e32 v16, 19, v17
	v_subrev_u32_e32 v23, 28, v22
	v_and_b32_e32 v16, 15, v16
	v_lshlrev_b32_sdwa v23, v23, v17 dst_sel:DWORD dst_unused:UNUSED_PAD src0_sel:DWORD src1_sel:WORD_1
	v_bfe_u32 v21, v17, 19, 4
	v_sub_u32_e32 v22, 29, v22
	v_and_b32_e32 v23, 7, v23
	v_cmp_eq_u16_e32 vcc, 0, v16
	v_cndmask_b32_e32 v12, v12, v23, vcc
	v_cndmask_b32_e32 v16, v21, v22, vcc
	v_lshlrev_b32_e32 v21, 8, v17
	v_mov_b32_e32 v22, 0x3b800000
	v_lshlrev_b32_e32 v12, 20, v12
	v_and_b32_e32 v21, 0x80000000, v21
	v_lshl_add_u32 v16, v16, 23, v22
	v_or3_b32 v12, v21, v16, v12
.LBB1_1844:
	s_or_b64 exec, exec, s[6:7]
	s_movk_i32 s4, 0xff
	v_and_b32_sdwa v16, v13, s4 dst_sel:DWORD dst_unused:UNUSED_PAD src0_sel:WORD_1 src1_sel:DWORD
	s_movk_i32 s4, 0x7f
	v_cmp_lt_i16_e32 vcc, s4, v16
	s_mov_b64 s[4:5], 0
                                        ; implicit-def: $sgpr10
	s_and_saveexec_b64 s[6:7], vcc
	s_xor_b64 s[6:7], exec, s[6:7]
	s_cbranch_execz .LBB1_1845
; %bb.11837:
	s_getpc_b64 s[14:15]
.Lpost_getpc1822:
	s_add_u32 s14, s14, (.LBB1_5941-.Lpost_getpc1822)&4294967295
	s_addc_u32 s15, s15, (.LBB1_5941-.Lpost_getpc1822)>>32
	s_setpc_b64 s[14:15]
.LBB1_1845:
	s_or_saveexec_b64 s[6:7], s[6:7]
	v_mov_b32_e32 v21, s10
	s_xor_b64 exec, exec, s[6:7]
	s_cbranch_execz .LBB1_1846
; %bb.11839:
	s_getpc_b64 s[14:15]
.Lpost_getpc1823:
	s_add_u32 s14, s14, (.LBB1_5944-.Lpost_getpc1823)&4294967295
	s_addc_u32 s15, s15, (.LBB1_5944-.Lpost_getpc1823)>>32
	s_setpc_b64 s[14:15]
.LBB1_1846:
	s_or_b64 exec, exec, s[6:7]
	s_and_saveexec_b64 s[6:7], s[4:5]
	s_cbranch_execz .LBB1_1848
.LBB1_1847:
	v_bfe_u32 v16, v13, 16, 2
	v_ffbh_u32_e32 v23, v16
	v_min_u32_e32 v23, 32, v23
	v_lshrrev_b32_e32 v21, 18, v13
	v_subrev_u32_e32 v24, 29, v23
	v_and_b32_e32 v21, 31, v21
	v_lshlrev_b32_sdwa v24, v24, v13 dst_sel:DWORD dst_unused:UNUSED_PAD src0_sel:DWORD src1_sel:WORD_1
	v_bfe_u32 v22, v13, 18, 5
	v_sub_u32_e32 v23, 30, v23
	v_and_b32_e32 v24, 3, v24
	v_cmp_eq_u16_e32 vcc, 0, v21
	v_cndmask_b32_e32 v16, v16, v24, vcc
	v_cndmask_b32_e32 v21, v22, v23, vcc
	v_lshlrev_b32_e32 v22, 8, v13
	v_mov_b32_e32 v23, 0x37800000
	v_lshlrev_b32_e32 v16, 21, v16
	v_and_b32_e32 v22, 0x80000000, v22
	v_lshl_add_u32 v21, v21, 23, v23
	v_or3_b32 v21, v22, v21, v16
.LBB1_1848:
	s_or_b64 exec, exec, s[6:7]
	s_nop 0
	v_mfma_f32_16x16x4f32 a[0:3], v12, v21, a[0:3]
	s_movk_i32 s4, 0x7f
	v_cmp_gt_i16_sdwa s[6:7], v17, s4 src0_sel:BYTE_3 src1_sel:DWORD
	s_mov_b64 s[4:5], 0
                                        ; implicit-def: $sgpr10
	s_and_saveexec_b64 s[8:9], s[6:7]
	s_xor_b64 s[6:7], exec, s[8:9]
	s_cbranch_execz .LBB1_1849
; %bb.11841:
	s_getpc_b64 s[14:15]
.Lpost_getpc1824:
	s_add_u32 s14, s14, (.LBB1_5945-.Lpost_getpc1824)&4294967295
	s_addc_u32 s15, s15, (.LBB1_5945-.Lpost_getpc1824)>>32
	s_setpc_b64 s[14:15]
.LBB1_1849:
	s_or_saveexec_b64 s[6:7], s[6:7]
	v_mov_b32_e32 v12, s10
	s_xor_b64 exec, exec, s[6:7]
	s_cbranch_execz .LBB1_1850
; %bb.11843:
	s_getpc_b64 s[14:15]
.Lpost_getpc1825:
	s_add_u32 s14, s14, (.LBB1_5948-.Lpost_getpc1825)&4294967295
	s_addc_u32 s15, s15, (.LBB1_5948-.Lpost_getpc1825)>>32
	s_setpc_b64 s[14:15]
.LBB1_1850:
	s_or_b64 exec, exec, s[6:7]
	s_and_saveexec_b64 s[6:7], s[4:5]
	s_cbranch_execz .LBB1_1852
.LBB1_1851:
	v_bfe_u32 v12, v17, 24, 3
	v_ffbh_u32_e32 v23, v12
	v_min_u32_e32 v23, 32, v23
	v_lshrrev_b32_e32 v21, 27, v17
	v_subrev_u32_e32 v24, 28, v23
	v_and_b32_e32 v16, 0x80000000, v17
	v_and_b32_e32 v21, 15, v21
	v_bfe_u32 v22, v17, 27, 4
	v_lshlrev_b32_sdwa v17, v24, v17 dst_sel:DWORD dst_unused:UNUSED_PAD src0_sel:DWORD src1_sel:BYTE_3
	v_sub_u32_e32 v23, 29, v23
	v_and_b32_e32 v17, 7, v17
	v_cmp_eq_u16_e32 vcc, 0, v21
	v_cndmask_b32_e32 v12, v12, v17, vcc
	v_cndmask_b32_e32 v17, v22, v23, vcc
	v_mov_b32_e32 v21, 0x3b800000
	v_lshlrev_b32_e32 v12, 20, v12
	v_lshl_add_u32 v17, v17, 23, v21
	v_or3_b32 v12, v16, v17, v12
.LBB1_1852:
	s_or_b64 exec, exec, s[6:7]
	s_movk_i32 s4, 0x7f
	v_cmp_gt_i16_sdwa s[6:7], v13, s4 src0_sel:BYTE_3 src1_sel:DWORD
	s_mov_b64 s[4:5], 0
                                        ; implicit-def: $sgpr10
	s_and_saveexec_b64 s[8:9], s[6:7]
	s_xor_b64 s[6:7], exec, s[8:9]
	s_cbranch_execz .LBB1_1853
; %bb.11845:
	s_getpc_b64 s[14:15]
.Lpost_getpc1826:
	s_add_u32 s14, s14, (.LBB1_5949-.Lpost_getpc1826)&4294967295
	s_addc_u32 s15, s15, (.LBB1_5949-.Lpost_getpc1826)>>32
	s_setpc_b64 s[14:15]
.LBB1_1853:
	s_or_saveexec_b64 s[6:7], s[6:7]
	v_mov_b32_e32 v16, s10
	s_xor_b64 exec, exec, s[6:7]
	s_cbranch_execz .LBB1_1854
; %bb.11847:
	s_getpc_b64 s[14:15]
.Lpost_getpc1827:
	s_add_u32 s14, s14, (.LBB1_5952-.Lpost_getpc1827)&4294967295
	s_addc_u32 s15, s15, (.LBB1_5952-.Lpost_getpc1827)>>32
	s_setpc_b64 s[14:15]
.LBB1_1854:
	s_or_b64 exec, exec, s[6:7]
	s_and_saveexec_b64 s[6:7], s[4:5]
	s_cbranch_execz .LBB1_1856
.LBB1_1855:
	v_bfe_u32 v16, v13, 24, 2
	v_ffbh_u32_e32 v23, v16
	v_min_u32_e32 v23, 32, v23
	v_lshrrev_b32_e32 v21, 26, v13
	v_subrev_u32_e32 v24, 29, v23
	v_and_b32_e32 v17, 0x80000000, v13
	v_and_b32_e32 v21, 31, v21
	v_bfe_u32 v22, v13, 26, 5
	v_lshlrev_b32_sdwa v13, v24, v13 dst_sel:DWORD dst_unused:UNUSED_PAD src0_sel:DWORD src1_sel:BYTE_3
	v_sub_u32_e32 v23, 30, v23
	v_and_b32_e32 v13, 3, v13
	v_cmp_eq_u16_e32 vcc, 0, v21
	v_cndmask_b32_e32 v13, v16, v13, vcc
	v_cndmask_b32_e32 v16, v22, v23, vcc
	v_mov_b32_e32 v21, 0x37800000
	v_lshlrev_b32_e32 v13, 21, v13
	v_lshl_add_u32 v16, v16, 23, v21
	v_or3_b32 v16, v17, v16, v13
.LBB1_1856:
	s_or_b64 exec, exec, s[6:7]
	s_nop 0
	v_mfma_f32_16x16x4f32 a[0:3], v12, v16, a[0:3]
	s_movk_i32 s4, 0x7f
	v_cmp_gt_i16_sdwa s[6:7], v18, s4 src0_sel:BYTE_0 src1_sel:DWORD
	s_mov_b64 s[4:5], 0
                                        ; implicit-def: $sgpr10
	s_and_saveexec_b64 s[8:9], s[6:7]
	s_xor_b64 s[6:7], exec, s[8:9]
	s_cbranch_execz .LBB1_1857
; %bb.11849:
	s_getpc_b64 s[14:15]
.Lpost_getpc1828:
	s_add_u32 s14, s14, (.LBB1_5953-.Lpost_getpc1828)&4294967295
	s_addc_u32 s15, s15, (.LBB1_5953-.Lpost_getpc1828)>>32
	s_setpc_b64 s[14:15]
.LBB1_1857:
	s_or_saveexec_b64 s[6:7], s[6:7]
	v_mov_b32_e32 v13, s10
	s_xor_b64 exec, exec, s[6:7]
	s_cbranch_execz .LBB1_1858
; %bb.11851:
	s_getpc_b64 s[14:15]
.Lpost_getpc1829:
	s_add_u32 s14, s14, (.LBB1_5956-.Lpost_getpc1829)&4294967295
	s_addc_u32 s15, s15, (.LBB1_5956-.Lpost_getpc1829)>>32
	s_setpc_b64 s[14:15]
.LBB1_1858:
	s_or_b64 exec, exec, s[6:7]
	s_and_saveexec_b64 s[6:7], s[4:5]
	s_cbranch_execz .LBB1_1860
.LBB1_1859:
	v_and_b32_e32 v12, 7, v18
	v_ffbh_u32_e32 v16, v12
	v_min_u32_e32 v16, 32, v16
	v_lshrrev_b16_e32 v13, 3, v18
	v_subrev_u32_e32 v17, 28, v16
	v_and_b32_e32 v13, 15, v13
	v_lshlrev_b32_e32 v17, v17, v18
	v_sub_u32_e32 v16, 29, v16
	v_and_b32_e32 v17, 7, v17
	v_cmp_eq_u16_e32 vcc, 0, v13
	v_cndmask_b32_e32 v12, v12, v17, vcc
	v_cndmask_b32_e32 v13, v13, v16, vcc
	v_lshlrev_b32_e32 v16, 24, v18
	v_mov_b32_e32 v17, 0x3b800000
	v_lshlrev_b32_e32 v12, 20, v12
	v_and_b32_e32 v16, 0x80000000, v16
	v_lshl_add_u32 v13, v13, 23, v17
	v_or3_b32 v13, v16, v13, v12
.LBB1_1860:
	s_or_b64 exec, exec, s[6:7]
	s_movk_i32 s4, 0xff
	v_mov_b32_e32 v12, 8
	v_or_b32_sdwa v16, v14, v20 dst_sel:DWORD dst_unused:UNUSED_PAD src0_sel:BYTE_0 src1_sel:DWORD
	v_lshlrev_b16_sdwa v12, v12, v14 dst_sel:DWORD dst_unused:UNUSED_PAD src0_sel:DWORD src1_sel:BYTE_3
	v_and_b32_sdwa v14, v14, s4 dst_sel:DWORD dst_unused:UNUSED_PAD src0_sel:WORD_1 src1_sel:DWORD
	s_movk_i32 s4, 0x7f
	v_or_b32_sdwa v12, v14, v12 dst_sel:WORD_1 dst_unused:UNUSED_PAD src0_sel:DWORD src1_sel:DWORD
	v_cmp_gt_i16_sdwa s[6:7], v16, s4 src0_sel:BYTE_0 src1_sel:DWORD
	s_mov_b64 s[4:5], 0
                                        ; implicit-def: $sgpr10
	s_and_saveexec_b64 s[8:9], s[6:7]
	s_xor_b64 s[6:7], exec, s[8:9]
	s_cbranch_execz .LBB1_1861
; %bb.11853:
	s_getpc_b64 s[14:15]
.Lpost_getpc1830:
	s_add_u32 s14, s14, (.LBB1_5957-.Lpost_getpc1830)&4294967295
	s_addc_u32 s15, s15, (.LBB1_5957-.Lpost_getpc1830)>>32
	s_setpc_b64 s[14:15]
.LBB1_1861:
	s_or_saveexec_b64 s[6:7], s[6:7]
	v_mov_b32_e32 v14, s10
	s_xor_b64 exec, exec, s[6:7]
	s_cbranch_execz .LBB1_1862
; %bb.11855:
	s_getpc_b64 s[14:15]
.Lpost_getpc1831:
	s_add_u32 s14, s14, (.LBB1_5960-.Lpost_getpc1831)&4294967295
	s_addc_u32 s15, s15, (.LBB1_5960-.Lpost_getpc1831)>>32
	s_setpc_b64 s[14:15]
.LBB1_1862:
	s_or_b64 exec, exec, s[6:7]
	v_or_b32_sdwa v12, v16, v12 dst_sel:DWORD dst_unused:UNUSED_PAD src0_sel:WORD_0 src1_sel:DWORD
	s_and_saveexec_b64 s[6:7], s[4:5]
	s_cbranch_execz .LBB1_1864
.LBB1_1863:
	v_and_b32_e32 v14, 3, v12
	v_ffbh_u32_e32 v17, v14
	v_min_u32_e32 v17, 32, v17
	v_lshrrev_b16_e32 v16, 2, v16
	v_subrev_u32_e32 v20, 29, v17
	v_and_b32_e32 v16, 31, v16
	v_lshlrev_b32_e32 v20, v20, v12
	v_sub_u32_e32 v17, 30, v17
	v_and_b32_e32 v20, 3, v20
	v_cmp_eq_u16_e32 vcc, 0, v16
	v_cndmask_b32_e32 v14, v14, v20, vcc
	v_cndmask_b32_e32 v16, v16, v17, vcc
	v_lshlrev_b32_e32 v17, 24, v12
	v_mov_b32_e32 v20, 0x37800000
	v_lshlrev_b32_e32 v14, 21, v14
	v_and_b32_e32 v17, 0x80000000, v17
	v_lshl_add_u32 v16, v16, 23, v20
	v_or3_b32 v14, v17, v16, v14
.LBB1_1864:
	s_or_b64 exec, exec, s[6:7]
	s_nop 0
	v_mfma_f32_16x16x4f32 a[0:3], v13, v14, a[0:3]
	v_lshrrev_b32_e32 v14, 8, v18
	s_movk_i32 s4, 0x7f
	v_cmp_gt_i16_sdwa s[6:7], v14, s4 src0_sel:BYTE_0 src1_sel:DWORD
	s_mov_b64 s[4:5], 0
                                        ; implicit-def: $sgpr10
	s_and_saveexec_b64 s[8:9], s[6:7]
	s_xor_b64 s[6:7], exec, s[8:9]
	s_cbranch_execz .LBB1_1865
; %bb.11857:
	s_getpc_b64 s[14:15]
.Lpost_getpc1832:
	s_add_u32 s14, s14, (.LBB1_5961-.Lpost_getpc1832)&4294967295
	s_addc_u32 s15, s15, (.LBB1_5961-.Lpost_getpc1832)>>32
	s_setpc_b64 s[14:15]
.LBB1_1865:
	s_or_saveexec_b64 s[6:7], s[6:7]
	v_mov_b32_e32 v13, s10
	s_xor_b64 exec, exec, s[6:7]
	s_cbranch_execz .LBB1_1866
; %bb.11859:
	s_getpc_b64 s[14:15]
.Lpost_getpc1833:
	s_add_u32 s14, s14, (.LBB1_5964-.Lpost_getpc1833)&4294967295
	s_addc_u32 s15, s15, (.LBB1_5964-.Lpost_getpc1833)>>32
	s_setpc_b64 s[14:15]
.LBB1_1866:
	s_or_b64 exec, exec, s[6:7]
	s_and_saveexec_b64 s[6:7], s[4:5]
	s_cbranch_execz .LBB1_1868
.LBB1_1867:
	v_bfe_u32 v13, v18, 8, 3
	v_ffbh_u32_e32 v17, v13
	v_min_u32_e32 v17, 32, v17
	v_lshrrev_b16_e32 v16, 3, v14
	v_subrev_u32_e32 v20, 28, v17
	v_and_b32_e32 v16, 15, v16
	v_lshlrev_b32_e32 v14, v20, v14
	v_sub_u32_e32 v17, 29, v17
	v_and_b32_e32 v14, 7, v14
	v_cmp_eq_u16_e32 vcc, 0, v16
	v_cndmask_b32_e32 v13, v13, v14, vcc
	v_cndmask_b32_e32 v14, v16, v17, vcc
	v_lshlrev_b32_e32 v16, 16, v18
	v_mov_b32_e32 v17, 0x3b800000
	v_lshlrev_b32_e32 v13, 20, v13
	v_and_b32_e32 v16, 0x80000000, v16
	v_lshl_add_u32 v14, v14, 23, v17
	v_or3_b32 v13, v16, v14, v13
.LBB1_1868:
	s_or_b64 exec, exec, s[6:7]
	v_lshrrev_b32_e32 v14, 8, v12
	s_movk_i32 s4, 0x7f
	v_cmp_gt_i16_sdwa s[6:7], v14, s4 src0_sel:BYTE_0 src1_sel:DWORD
	s_mov_b64 s[4:5], 0
                                        ; implicit-def: $sgpr10
	s_and_saveexec_b64 s[8:9], s[6:7]
	s_xor_b64 s[6:7], exec, s[8:9]
	s_cbranch_execz .LBB1_1869
; %bb.11861:
	s_getpc_b64 s[14:15]
.Lpost_getpc1834:
	s_add_u32 s14, s14, (.LBB1_5965-.Lpost_getpc1834)&4294967295
	s_addc_u32 s15, s15, (.LBB1_5965-.Lpost_getpc1834)>>32
	s_setpc_b64 s[14:15]
.LBB1_1869:
	s_or_saveexec_b64 s[6:7], s[6:7]
	v_mov_b32_e32 v16, s10
	s_xor_b64 exec, exec, s[6:7]
	s_cbranch_execz .LBB1_1870
; %bb.11863:
	s_getpc_b64 s[14:15]
.Lpost_getpc1835:
	s_add_u32 s14, s14, (.LBB1_5968-.Lpost_getpc1835)&4294967295
	s_addc_u32 s15, s15, (.LBB1_5968-.Lpost_getpc1835)>>32
	s_setpc_b64 s[14:15]
.LBB1_1870:
	s_or_b64 exec, exec, s[6:7]
	s_and_saveexec_b64 s[6:7], s[4:5]
	s_cbranch_execz .LBB1_1872
.LBB1_1871:
	v_bfe_u32 v16, v12, 8, 2
	v_ffbh_u32_e32 v20, v16
	v_min_u32_e32 v20, 32, v20
	v_lshrrev_b16_e32 v17, 2, v14
	v_subrev_u32_e32 v21, 29, v20
	v_and_b32_e32 v17, 31, v17
	v_lshlrev_b32_e32 v14, v21, v14
	v_sub_u32_e32 v20, 30, v20
	v_and_b32_e32 v14, 3, v14
	v_cmp_eq_u16_e32 vcc, 0, v17
	v_cndmask_b32_e32 v14, v16, v14, vcc
	v_cndmask_b32_e32 v16, v17, v20, vcc
	v_lshlrev_b32_e32 v17, 16, v12
	v_mov_b32_e32 v20, 0x37800000
	v_lshlrev_b32_e32 v14, 21, v14
	v_and_b32_e32 v17, 0x80000000, v17
	v_lshl_add_u32 v16, v16, 23, v20
	v_or3_b32 v16, v17, v16, v14
.LBB1_1872:
	s_or_b64 exec, exec, s[6:7]
	s_nop 0
	v_mfma_f32_16x16x4f32 a[0:3], v13, v16, a[0:3]
	s_movk_i32 s4, 0xff
	v_and_b32_sdwa v14, v18, s4 dst_sel:DWORD dst_unused:UNUSED_PAD src0_sel:WORD_1 src1_sel:DWORD
	s_movk_i32 s4, 0x7f
	v_cmp_lt_i16_e32 vcc, s4, v14
	s_mov_b64 s[4:5], 0
                                        ; implicit-def: $sgpr10
	s_and_saveexec_b64 s[6:7], vcc
	s_xor_b64 s[6:7], exec, s[6:7]
	s_cbranch_execz .LBB1_1873
; %bb.11865:
	s_getpc_b64 s[14:15]
.Lpost_getpc1836:
	s_add_u32 s14, s14, (.LBB1_5969-.Lpost_getpc1836)&4294967295
	s_addc_u32 s15, s15, (.LBB1_5969-.Lpost_getpc1836)>>32
	s_setpc_b64 s[14:15]
.LBB1_1873:
	s_or_saveexec_b64 s[6:7], s[6:7]
	v_mov_b32_e32 v13, s10
	s_xor_b64 exec, exec, s[6:7]
	s_cbranch_execz .LBB1_1874
; %bb.11867:
	s_getpc_b64 s[14:15]
.Lpost_getpc1837:
	s_add_u32 s14, s14, (.LBB1_5972-.Lpost_getpc1837)&4294967295
	s_addc_u32 s15, s15, (.LBB1_5972-.Lpost_getpc1837)>>32
	s_setpc_b64 s[14:15]
.LBB1_1874:
	s_or_b64 exec, exec, s[6:7]
	s_and_saveexec_b64 s[6:7], s[4:5]
	s_cbranch_execz .LBB1_1876
.LBB1_1875:
	v_bfe_u32 v13, v18, 16, 3
	v_ffbh_u32_e32 v17, v13
	v_min_u32_e32 v17, 32, v17
	v_lshrrev_b32_e32 v14, 19, v18
	v_subrev_u32_e32 v20, 28, v17
	v_and_b32_e32 v14, 15, v14
	v_lshlrev_b32_sdwa v20, v20, v18 dst_sel:DWORD dst_unused:UNUSED_PAD src0_sel:DWORD src1_sel:WORD_1
	v_bfe_u32 v16, v18, 19, 4
	v_sub_u32_e32 v17, 29, v17
	v_and_b32_e32 v20, 7, v20
	v_cmp_eq_u16_e32 vcc, 0, v14
	v_cndmask_b32_e32 v13, v13, v20, vcc
	v_cndmask_b32_e32 v14, v16, v17, vcc
	v_lshlrev_b32_e32 v16, 8, v18
	v_mov_b32_e32 v17, 0x3b800000
	v_lshlrev_b32_e32 v13, 20, v13
	v_and_b32_e32 v16, 0x80000000, v16
	v_lshl_add_u32 v14, v14, 23, v17
	v_or3_b32 v13, v16, v14, v13
.LBB1_1876:
	s_or_b64 exec, exec, s[6:7]
	s_movk_i32 s4, 0xff
	v_and_b32_sdwa v14, v12, s4 dst_sel:DWORD dst_unused:UNUSED_PAD src0_sel:WORD_1 src1_sel:DWORD
	s_movk_i32 s4, 0x7f
	v_cmp_lt_i16_e32 vcc, s4, v14
	s_mov_b64 s[4:5], 0
                                        ; implicit-def: $sgpr10
	s_and_saveexec_b64 s[6:7], vcc
	s_xor_b64 s[6:7], exec, s[6:7]
	s_cbranch_execz .LBB1_1877
; %bb.11869:
	s_getpc_b64 s[14:15]
.Lpost_getpc1838:
	s_add_u32 s14, s14, (.LBB1_5973-.Lpost_getpc1838)&4294967295
	s_addc_u32 s15, s15, (.LBB1_5973-.Lpost_getpc1838)>>32
	s_setpc_b64 s[14:15]
.LBB1_1877:
	s_or_saveexec_b64 s[6:7], s[6:7]
	v_mov_b32_e32 v16, s10
	s_xor_b64 exec, exec, s[6:7]
	s_cbranch_execz .LBB1_1878
; %bb.11871:
	s_getpc_b64 s[14:15]
.Lpost_getpc1839:
	s_add_u32 s14, s14, (.LBB1_5976-.Lpost_getpc1839)&4294967295
	s_addc_u32 s15, s15, (.LBB1_5976-.Lpost_getpc1839)>>32
	s_setpc_b64 s[14:15]
.LBB1_1878:
	s_or_b64 exec, exec, s[6:7]
	s_and_saveexec_b64 s[6:7], s[4:5]
	s_cbranch_execz .LBB1_1880
.LBB1_1879:
	v_bfe_u32 v14, v12, 16, 2
	v_ffbh_u32_e32 v20, v14
	v_min_u32_e32 v20, 32, v20
	v_lshrrev_b32_e32 v16, 18, v12
	v_subrev_u32_e32 v21, 29, v20
	v_and_b32_e32 v16, 31, v16
	v_lshlrev_b32_sdwa v21, v21, v12 dst_sel:DWORD dst_unused:UNUSED_PAD src0_sel:DWORD src1_sel:WORD_1
	v_bfe_u32 v17, v12, 18, 5
	v_sub_u32_e32 v20, 30, v20
	v_and_b32_e32 v21, 3, v21
	v_cmp_eq_u16_e32 vcc, 0, v16
	v_cndmask_b32_e32 v14, v14, v21, vcc
	v_cndmask_b32_e32 v16, v17, v20, vcc
	v_lshlrev_b32_e32 v17, 8, v12
	v_mov_b32_e32 v20, 0x37800000
	v_lshlrev_b32_e32 v14, 21, v14
	v_and_b32_e32 v17, 0x80000000, v17
	v_lshl_add_u32 v16, v16, 23, v20
	v_or3_b32 v16, v17, v16, v14
.LBB1_1880:
	s_or_b64 exec, exec, s[6:7]
	s_nop 0
	v_mfma_f32_16x16x4f32 a[0:3], v13, v16, a[0:3]
	s_movk_i32 s4, 0x7f
	v_cmp_gt_i16_sdwa s[6:7], v18, s4 src0_sel:BYTE_3 src1_sel:DWORD
	s_mov_b64 s[4:5], 0
                                        ; implicit-def: $sgpr10
	s_and_saveexec_b64 s[8:9], s[6:7]
	s_xor_b64 s[6:7], exec, s[8:9]
	s_cbranch_execz .LBB1_1881
; %bb.11873:
	s_getpc_b64 s[14:15]
.Lpost_getpc1840:
	s_add_u32 s14, s14, (.LBB1_5977-.Lpost_getpc1840)&4294967295
	s_addc_u32 s15, s15, (.LBB1_5977-.Lpost_getpc1840)>>32
	s_setpc_b64 s[14:15]
.LBB1_1881:
	s_or_saveexec_b64 s[6:7], s[6:7]
	v_mov_b32_e32 v13, s10
	s_xor_b64 exec, exec, s[6:7]
	s_cbranch_execz .LBB1_1882
; %bb.11875:
	s_getpc_b64 s[14:15]
.Lpost_getpc1841:
	s_add_u32 s14, s14, (.LBB1_5980-.Lpost_getpc1841)&4294967295
	s_addc_u32 s15, s15, (.LBB1_5980-.Lpost_getpc1841)>>32
	s_setpc_b64 s[14:15]
.LBB1_1882:
	s_or_b64 exec, exec, s[6:7]
	s_and_saveexec_b64 s[6:7], s[4:5]
	s_cbranch_execz .LBB1_1884
.LBB1_1883:
	v_bfe_u32 v13, v18, 24, 3
	v_ffbh_u32_e32 v20, v13
	v_min_u32_e32 v20, 32, v20
	v_lshrrev_b32_e32 v16, 27, v18
	v_subrev_u32_e32 v21, 28, v20
	v_and_b32_e32 v14, 0x80000000, v18
	v_and_b32_e32 v16, 15, v16
	v_bfe_u32 v17, v18, 27, 4
	v_lshlrev_b32_sdwa v18, v21, v18 dst_sel:DWORD dst_unused:UNUSED_PAD src0_sel:DWORD src1_sel:BYTE_3
	v_sub_u32_e32 v20, 29, v20
	v_and_b32_e32 v18, 7, v18
	v_cmp_eq_u16_e32 vcc, 0, v16
	v_cndmask_b32_e32 v13, v13, v18, vcc
	v_cndmask_b32_e32 v16, v17, v20, vcc
	v_mov_b32_e32 v17, 0x3b800000
	v_lshlrev_b32_e32 v13, 20, v13
	v_lshl_add_u32 v16, v16, 23, v17
	v_or3_b32 v13, v14, v16, v13
.LBB1_1884:
	s_or_b64 exec, exec, s[6:7]
	s_movk_i32 s4, 0x7f
	v_cmp_gt_i16_sdwa s[6:7], v12, s4 src0_sel:BYTE_3 src1_sel:DWORD
	s_mov_b64 s[4:5], 0
                                        ; implicit-def: $sgpr10
	s_and_saveexec_b64 s[8:9], s[6:7]
	s_xor_b64 s[6:7], exec, s[8:9]
	s_cbranch_execz .LBB1_1885
; %bb.11877:
	s_getpc_b64 s[14:15]
.Lpost_getpc1842:
	s_add_u32 s14, s14, (.LBB1_5981-.Lpost_getpc1842)&4294967295
	s_addc_u32 s15, s15, (.LBB1_5981-.Lpost_getpc1842)>>32
	s_setpc_b64 s[14:15]
.LBB1_1885:
	s_or_saveexec_b64 s[6:7], s[6:7]
	v_mov_b32_e32 v14, s10
	s_xor_b64 exec, exec, s[6:7]
	s_cbranch_execz .LBB1_1886
; %bb.11879:
	s_getpc_b64 s[14:15]
.Lpost_getpc1843:
	s_add_u32 s14, s14, (.LBB1_5984-.Lpost_getpc1843)&4294967295
	s_addc_u32 s15, s15, (.LBB1_5984-.Lpost_getpc1843)>>32
	s_setpc_b64 s[14:15]
.LBB1_1886:
	s_or_b64 exec, exec, s[6:7]
	s_and_saveexec_b64 s[6:7], s[4:5]
	s_cbranch_execz .LBB1_1888
.LBB1_1887:
	v_bfe_u32 v14, v12, 24, 2
	v_ffbh_u32_e32 v20, v14
	v_min_u32_e32 v20, 32, v20
	v_lshrrev_b32_e32 v17, 26, v12
	v_subrev_u32_e32 v21, 29, v20
	v_and_b32_e32 v16, 0x80000000, v12
	v_and_b32_e32 v17, 31, v17
	v_bfe_u32 v18, v12, 26, 5
	v_lshlrev_b32_sdwa v12, v21, v12 dst_sel:DWORD dst_unused:UNUSED_PAD src0_sel:DWORD src1_sel:BYTE_3
	v_sub_u32_e32 v20, 30, v20
	v_and_b32_e32 v12, 3, v12
	v_cmp_eq_u16_e32 vcc, 0, v17
	v_cndmask_b32_e32 v12, v14, v12, vcc
	v_cndmask_b32_e32 v14, v18, v20, vcc
	v_mov_b32_e32 v17, 0x37800000
	v_lshlrev_b32_e32 v12, 21, v12
	v_lshl_add_u32 v14, v14, 23, v17
	v_or3_b32 v14, v16, v14, v12
.LBB1_1888:
	s_or_b64 exec, exec, s[6:7]
	s_nop 0
	v_mfma_f32_16x16x4f32 a[0:3], v13, v14, a[0:3]
	s_movk_i32 s4, 0x7f
	v_cmp_gt_i16_sdwa s[6:7], v19, s4 src0_sel:BYTE_0 src1_sel:DWORD
	s_mov_b64 s[4:5], 0
                                        ; implicit-def: $sgpr10
	s_and_saveexec_b64 s[8:9], s[6:7]
	s_xor_b64 s[6:7], exec, s[8:9]
	s_cbranch_execz .LBB1_1889
; %bb.11881:
	s_getpc_b64 s[14:15]
.Lpost_getpc1844:
	s_add_u32 s14, s14, (.LBB1_5985-.Lpost_getpc1844)&4294967295
	s_addc_u32 s15, s15, (.LBB1_5985-.Lpost_getpc1844)>>32
	s_setpc_b64 s[14:15]
.LBB1_1889:
	s_or_saveexec_b64 s[6:7], s[6:7]
	v_mov_b32_e32 v12, s10
	s_xor_b64 exec, exec, s[6:7]
	s_cbranch_execz .LBB1_1890
; %bb.11883:
	s_getpc_b64 s[14:15]
.Lpost_getpc1845:
	s_add_u32 s14, s14, (.LBB1_5988-.Lpost_getpc1845)&4294967295
	s_addc_u32 s15, s15, (.LBB1_5988-.Lpost_getpc1845)>>32
	s_setpc_b64 s[14:15]
.LBB1_1890:
	s_or_b64 exec, exec, s[6:7]
	s_and_saveexec_b64 s[6:7], s[4:5]
	s_cbranch_execz .LBB1_1892
.LBB1_1891:
	v_mov_b32_e32 v12, 8
	v_and_b32_e32 v13, 7, v19
	v_lshrrev_b32_sdwa v12, v12, v19 dst_sel:BYTE_1 dst_unused:UNUSED_PAD src0_sel:DWORD src1_sel:DWORD
	v_ffbh_u32_e32 v14, v13
	v_or_b32_sdwa v12, v19, v12 dst_sel:DWORD dst_unused:UNUSED_PAD src0_sel:BYTE_0 src1_sel:DWORD
	v_min_u32_e32 v14, 32, v14
	v_lshrrev_b16_e32 v12, 3, v12
	v_subrev_u32_e32 v16, 28, v14
	v_and_b32_e32 v12, 15, v12
	v_lshlrev_b32_e32 v16, v16, v19
	v_sub_u32_e32 v14, 29, v14
	v_and_b32_e32 v16, 7, v16
	v_cmp_eq_u16_e32 vcc, 0, v12
	v_cndmask_b32_e32 v13, v13, v16, vcc
	v_cndmask_b32_e32 v12, v12, v14, vcc
	v_lshlrev_b32_e32 v14, 24, v19
	v_mov_b32_e32 v16, 0x3b800000
	v_lshlrev_b32_e32 v13, 20, v13
	v_and_b32_e32 v14, 0x80000000, v14
	v_lshl_add_u32 v12, v12, 23, v16
	v_or3_b32 v12, v14, v12, v13
.LBB1_1892:
	s_or_b64 exec, exec, s[6:7]
	s_movk_i32 s4, 0x7f
	v_cmp_gt_i16_sdwa s[6:7], v15, s4 src0_sel:BYTE_0 src1_sel:DWORD
	s_mov_b64 s[4:5], 0
                                        ; implicit-def: $sgpr10
	s_and_saveexec_b64 s[8:9], s[6:7]
	s_xor_b64 s[6:7], exec, s[8:9]
	s_cbranch_execz .LBB1_1893
; %bb.11885:
	s_getpc_b64 s[14:15]
.Lpost_getpc1846:
	s_add_u32 s14, s14, (.LBB1_5989-.Lpost_getpc1846)&4294967295
	s_addc_u32 s15, s15, (.LBB1_5989-.Lpost_getpc1846)>>32
	s_setpc_b64 s[14:15]
.LBB1_1893:
	s_or_saveexec_b64 s[6:7], s[6:7]
	v_mov_b32_e32 v13, s10
	s_xor_b64 exec, exec, s[6:7]
	s_cbranch_execz .LBB1_1894
; %bb.11887:
	s_getpc_b64 s[14:15]
.Lpost_getpc1847:
	s_add_u32 s14, s14, (.LBB1_5992-.Lpost_getpc1847)&4294967295
	s_addc_u32 s15, s15, (.LBB1_5992-.Lpost_getpc1847)>>32
	s_setpc_b64 s[14:15]
.LBB1_1894:
	s_or_b64 exec, exec, s[6:7]
	s_and_saveexec_b64 s[6:7], s[4:5]
	s_cbranch_execz .LBB1_1896
.LBB1_1895:
	v_and_b32_e32 v13, 3, v15
	v_ffbh_u32_e32 v16, v13
	v_min_u32_e32 v16, 32, v16
	v_lshrrev_b16_e32 v14, 2, v15
	v_subrev_u32_e32 v17, 29, v16
	v_and_b32_e32 v14, 31, v14
	v_lshlrev_b32_e32 v17, v17, v15
	v_sub_u32_e32 v16, 30, v16
	v_and_b32_e32 v17, 3, v17
	v_cmp_eq_u16_e32 vcc, 0, v14
	v_cndmask_b32_e32 v13, v13, v17, vcc
	v_cndmask_b32_e32 v14, v14, v16, vcc
	v_lshlrev_b32_e32 v16, 24, v15
	v_mov_b32_e32 v17, 0x37800000
	v_lshlrev_b32_e32 v13, 21, v13
	v_and_b32_e32 v16, 0x80000000, v16
	v_lshl_add_u32 v14, v14, 23, v17
	v_or3_b32 v13, v16, v14, v13
.LBB1_1896:
	s_or_b64 exec, exec, s[6:7]
	s_nop 0
	v_mfma_f32_16x16x4f32 a[0:3], v12, v13, a[0:3]
	v_lshrrev_b32_e32 v13, 8, v19
	s_movk_i32 s4, 0x7f
	v_cmp_gt_i16_sdwa s[6:7], v13, s4 src0_sel:BYTE_0 src1_sel:DWORD
	s_mov_b64 s[4:5], 0
                                        ; implicit-def: $sgpr10
	s_and_saveexec_b64 s[8:9], s[6:7]
	s_xor_b64 s[6:7], exec, s[8:9]
	s_cbranch_execz .LBB1_1897
; %bb.11889:
	s_getpc_b64 s[14:15]
.Lpost_getpc1848:
	s_add_u32 s14, s14, (.LBB1_5993-.Lpost_getpc1848)&4294967295
	s_addc_u32 s15, s15, (.LBB1_5993-.Lpost_getpc1848)>>32
	s_setpc_b64 s[14:15]
.LBB1_1897:
	s_or_saveexec_b64 s[6:7], s[6:7]
	v_mov_b32_e32 v12, s10
	s_xor_b64 exec, exec, s[6:7]
	s_cbranch_execz .LBB1_1898
; %bb.11891:
	s_getpc_b64 s[14:15]
.Lpost_getpc1849:
	s_add_u32 s14, s14, (.LBB1_5996-.Lpost_getpc1849)&4294967295
	s_addc_u32 s15, s15, (.LBB1_5996-.Lpost_getpc1849)>>32
	s_setpc_b64 s[14:15]
.LBB1_1898:
	s_or_b64 exec, exec, s[6:7]
	s_and_saveexec_b64 s[6:7], s[4:5]
	s_cbranch_execz .LBB1_1900
.LBB1_1899:
	v_bfe_u32 v12, v19, 8, 3
	v_ffbh_u32_e32 v16, v12
	v_min_u32_e32 v16, 32, v16
	v_lshrrev_b16_e32 v14, 3, v13
	v_subrev_u32_e32 v17, 28, v16
	v_and_b32_e32 v14, 15, v14
	v_lshlrev_b32_e32 v13, v17, v13
	v_sub_u32_e32 v16, 29, v16
	v_and_b32_e32 v13, 7, v13
	v_cmp_eq_u16_e32 vcc, 0, v14
	v_cndmask_b32_e32 v12, v12, v13, vcc
	v_cndmask_b32_e32 v13, v14, v16, vcc
	v_lshlrev_b32_e32 v14, 16, v19
	v_mov_b32_e32 v16, 0x3b800000
	v_lshlrev_b32_e32 v12, 20, v12
	v_and_b32_e32 v14, 0x80000000, v14
	v_lshl_add_u32 v13, v13, 23, v16
	v_or3_b32 v12, v14, v13, v12
.LBB1_1900:
	s_or_b64 exec, exec, s[6:7]
	v_lshrrev_b32_e32 v13, 8, v15
	s_movk_i32 s4, 0x7f
	v_cmp_gt_i16_sdwa s[6:7], v13, s4 src0_sel:BYTE_0 src1_sel:DWORD
	s_mov_b64 s[4:5], 0
                                        ; implicit-def: $sgpr10
	s_and_saveexec_b64 s[8:9], s[6:7]
	s_xor_b64 s[6:7], exec, s[8:9]
	s_cbranch_execz .LBB1_1901
; %bb.11893:
	s_getpc_b64 s[14:15]
.Lpost_getpc1850:
	s_add_u32 s14, s14, (.LBB1_5997-.Lpost_getpc1850)&4294967295
	s_addc_u32 s15, s15, (.LBB1_5997-.Lpost_getpc1850)>>32
	s_setpc_b64 s[14:15]
.LBB1_1901:
	s_or_saveexec_b64 s[6:7], s[6:7]
	v_mov_b32_e32 v14, s10
	s_xor_b64 exec, exec, s[6:7]
	s_cbranch_execz .LBB1_1902
; %bb.11895:
	s_getpc_b64 s[14:15]
.Lpost_getpc1851:
	s_add_u32 s14, s14, (.LBB1_6000-.Lpost_getpc1851)&4294967295
	s_addc_u32 s15, s15, (.LBB1_6000-.Lpost_getpc1851)>>32
	s_setpc_b64 s[14:15]
.LBB1_1902:
	s_or_b64 exec, exec, s[6:7]
	s_and_saveexec_b64 s[6:7], s[4:5]
	s_cbranch_execz .LBB1_1904
.LBB1_1903:
	v_bfe_u32 v14, v15, 8, 2
	v_ffbh_u32_e32 v17, v14
	v_min_u32_e32 v17, 32, v17
	v_lshrrev_b16_e32 v16, 2, v13
	v_subrev_u32_e32 v18, 29, v17
	v_and_b32_e32 v16, 31, v16
	v_lshlrev_b32_e32 v13, v18, v13
	v_sub_u32_e32 v17, 30, v17
	v_and_b32_e32 v13, 3, v13
	v_cmp_eq_u16_e32 vcc, 0, v16
	v_cndmask_b32_e32 v13, v14, v13, vcc
	v_cndmask_b32_e32 v14, v16, v17, vcc
	v_lshlrev_b32_e32 v16, 16, v15
	v_mov_b32_e32 v17, 0x37800000
	v_lshlrev_b32_e32 v13, 21, v13
	v_and_b32_e32 v16, 0x80000000, v16
	v_lshl_add_u32 v14, v14, 23, v17
	v_or3_b32 v14, v16, v14, v13
.LBB1_1904:
	s_or_b64 exec, exec, s[6:7]
	s_nop 0
	v_mfma_f32_16x16x4f32 a[0:3], v12, v14, a[0:3]
	s_movk_i32 s4, 0xff
	v_and_b32_sdwa v13, v19, s4 dst_sel:DWORD dst_unused:UNUSED_PAD src0_sel:WORD_1 src1_sel:DWORD
	s_movk_i32 s4, 0x7f
	v_cmp_lt_i16_e32 vcc, s4, v13
	s_mov_b64 s[4:5], 0
                                        ; implicit-def: $sgpr10
	s_and_saveexec_b64 s[6:7], vcc
	s_xor_b64 s[6:7], exec, s[6:7]
	s_cbranch_execz .LBB1_1905
; %bb.11897:
	s_getpc_b64 s[14:15]
.Lpost_getpc1852:
	s_add_u32 s14, s14, (.LBB1_6001-.Lpost_getpc1852)&4294967295
	s_addc_u32 s15, s15, (.LBB1_6001-.Lpost_getpc1852)>>32
	s_setpc_b64 s[14:15]
.LBB1_1905:
	s_or_saveexec_b64 s[6:7], s[6:7]
	v_mov_b32_e32 v12, s10
	s_xor_b64 exec, exec, s[6:7]
	s_cbranch_execz .LBB1_1906
; %bb.11899:
	s_getpc_b64 s[14:15]
.Lpost_getpc1853:
	s_add_u32 s14, s14, (.LBB1_6004-.Lpost_getpc1853)&4294967295
	s_addc_u32 s15, s15, (.LBB1_6004-.Lpost_getpc1853)>>32
	s_setpc_b64 s[14:15]
.LBB1_1906:
	s_or_b64 exec, exec, s[6:7]
	s_and_saveexec_b64 s[6:7], s[4:5]
	s_cbranch_execz .LBB1_1908
.LBB1_1907:
	v_bfe_u32 v12, v19, 16, 3
	v_ffbh_u32_e32 v16, v12
	v_min_u32_e32 v16, 32, v16
	v_lshrrev_b32_e32 v13, 19, v19
	v_subrev_u32_e32 v17, 28, v16
	v_and_b32_e32 v13, 15, v13
	v_lshlrev_b32_sdwa v17, v17, v19 dst_sel:DWORD dst_unused:UNUSED_PAD src0_sel:DWORD src1_sel:WORD_1
	v_bfe_u32 v14, v19, 19, 4
	v_sub_u32_e32 v16, 29, v16
	v_and_b32_e32 v17, 7, v17
	v_cmp_eq_u16_e32 vcc, 0, v13
	v_cndmask_b32_e32 v12, v12, v17, vcc
	v_cndmask_b32_e32 v13, v14, v16, vcc
	v_lshlrev_b32_e32 v14, 8, v19
	v_mov_b32_e32 v16, 0x3b800000
	v_lshlrev_b32_e32 v12, 20, v12
	v_and_b32_e32 v14, 0x80000000, v14
	v_lshl_add_u32 v13, v13, 23, v16
	v_or3_b32 v12, v14, v13, v12
.LBB1_1908:
	s_or_b64 exec, exec, s[6:7]
	s_movk_i32 s4, 0xff
	v_and_b32_sdwa v13, v15, s4 dst_sel:DWORD dst_unused:UNUSED_PAD src0_sel:WORD_1 src1_sel:DWORD
	s_movk_i32 s4, 0x7f
	v_cmp_lt_i16_e32 vcc, s4, v13
	s_mov_b64 s[4:5], 0
                                        ; implicit-def: $sgpr10
	s_and_saveexec_b64 s[6:7], vcc
	s_xor_b64 s[6:7], exec, s[6:7]
	s_cbranch_execz .LBB1_1909
; %bb.11901:
	s_getpc_b64 s[14:15]
.Lpost_getpc1854:
	s_add_u32 s14, s14, (.LBB1_6005-.Lpost_getpc1854)&4294967295
	s_addc_u32 s15, s15, (.LBB1_6005-.Lpost_getpc1854)>>32
	s_setpc_b64 s[14:15]
.LBB1_1909:
	s_or_saveexec_b64 s[6:7], s[6:7]
	v_mov_b32_e32 v14, s10
	s_xor_b64 exec, exec, s[6:7]
	s_cbranch_execz .LBB1_1910
; %bb.11903:
	s_getpc_b64 s[14:15]
.Lpost_getpc1855:
	s_add_u32 s14, s14, (.LBB1_6008-.Lpost_getpc1855)&4294967295
	s_addc_u32 s15, s15, (.LBB1_6008-.Lpost_getpc1855)>>32
	s_setpc_b64 s[14:15]
.LBB1_1910:
	s_or_b64 exec, exec, s[6:7]
	s_and_saveexec_b64 s[6:7], s[4:5]
	s_cbranch_execz .LBB1_1912
.LBB1_1911:
	v_bfe_u32 v13, v15, 16, 2
	v_ffbh_u32_e32 v17, v13
	v_min_u32_e32 v17, 32, v17
	v_lshrrev_b32_e32 v14, 18, v15
	v_subrev_u32_e32 v18, 29, v17
	v_and_b32_e32 v14, 31, v14
	v_lshlrev_b32_sdwa v18, v18, v15 dst_sel:DWORD dst_unused:UNUSED_PAD src0_sel:DWORD src1_sel:WORD_1
	v_bfe_u32 v16, v15, 18, 5
	v_sub_u32_e32 v17, 30, v17
	v_and_b32_e32 v18, 3, v18
	v_cmp_eq_u16_e32 vcc, 0, v14
	v_cndmask_b32_e32 v13, v13, v18, vcc
	v_cndmask_b32_e32 v14, v16, v17, vcc
	v_lshlrev_b32_e32 v16, 8, v15
	v_mov_b32_e32 v17, 0x37800000
	v_lshlrev_b32_e32 v13, 21, v13
	v_and_b32_e32 v16, 0x80000000, v16
	v_lshl_add_u32 v14, v14, 23, v17
	v_or3_b32 v14, v16, v14, v13
.LBB1_1912:
	s_or_b64 exec, exec, s[6:7]
	s_nop 0
	v_mfma_f32_16x16x4f32 a[0:3], v12, v14, a[0:3]
	s_movk_i32 s4, 0x7f
	v_cmp_gt_i16_sdwa s[6:7], v19, s4 src0_sel:BYTE_3 src1_sel:DWORD
	s_mov_b64 s[4:5], 0
                                        ; implicit-def: $sgpr10
	s_and_saveexec_b64 s[8:9], s[6:7]
	s_xor_b64 s[6:7], exec, s[8:9]
	s_cbranch_execz .LBB1_1913
; %bb.11905:
	s_getpc_b64 s[14:15]
.Lpost_getpc1856:
	s_add_u32 s14, s14, (.LBB1_6009-.Lpost_getpc1856)&4294967295
	s_addc_u32 s15, s15, (.LBB1_6009-.Lpost_getpc1856)>>32
	s_setpc_b64 s[14:15]
.LBB1_1913:
	s_or_saveexec_b64 s[6:7], s[6:7]
	v_mov_b32_e32 v12, s10
	s_xor_b64 exec, exec, s[6:7]
	s_cbranch_execz .LBB1_1914
; %bb.11907:
	s_getpc_b64 s[14:15]
.Lpost_getpc1857:
	s_add_u32 s14, s14, (.LBB1_6012-.Lpost_getpc1857)&4294967295
	s_addc_u32 s15, s15, (.LBB1_6012-.Lpost_getpc1857)>>32
	s_setpc_b64 s[14:15]
.LBB1_1914:
	s_or_b64 exec, exec, s[6:7]
	s_and_saveexec_b64 s[6:7], s[4:5]
	s_cbranch_execz .LBB1_1916
.LBB1_1915:
	v_bfe_u32 v12, v19, 24, 3
	v_ffbh_u32_e32 v17, v12
	v_min_u32_e32 v17, 32, v17
	v_lshrrev_b32_e32 v14, 27, v19
	v_subrev_u32_e32 v18, 28, v17
	v_and_b32_e32 v14, 15, v14
	v_lshlrev_b32_sdwa v18, v18, v19 dst_sel:DWORD dst_unused:UNUSED_PAD src0_sel:DWORD src1_sel:BYTE_3
	v_bfe_u32 v16, v19, 27, 4
	v_sub_u32_e32 v17, 29, v17
	v_and_b32_e32 v18, 7, v18
	v_cmp_eq_u16_e32 vcc, 0, v14
	v_cndmask_b32_e32 v12, v12, v18, vcc
	v_cndmask_b32_e32 v14, v16, v17, vcc
	v_mov_b32_e32 v16, 0x3b800000
	v_and_b32_e32 v13, 0x80000000, v19
	v_lshlrev_b32_e32 v12, 20, v12
	v_lshl_add_u32 v14, v14, 23, v16
	v_or3_b32 v12, v13, v14, v12
.LBB1_1916:
	s_or_b64 exec, exec, s[6:7]
	s_movk_i32 s4, 0x7f
	v_cmp_gt_i16_sdwa s[6:7], v15, s4 src0_sel:BYTE_3 src1_sel:DWORD
	s_mov_b64 s[4:5], 0
                                        ; implicit-def: $sgpr10
	s_and_saveexec_b64 s[8:9], s[6:7]
	s_xor_b64 s[6:7], exec, s[8:9]
	s_cbranch_execz .LBB1_1917
; %bb.11909:
	s_getpc_b64 s[14:15]
.Lpost_getpc1858:
	s_add_u32 s14, s14, (.LBB1_6013-.Lpost_getpc1858)&4294967295
	s_addc_u32 s15, s15, (.LBB1_6013-.Lpost_getpc1858)>>32
	s_setpc_b64 s[14:15]
.LBB1_1917:
	s_or_saveexec_b64 s[6:7], s[6:7]
	v_mov_b32_e32 v13, s10
	s_xor_b64 exec, exec, s[6:7]
	s_cbranch_execz .LBB1_1918
; %bb.11911:
	s_getpc_b64 s[14:15]
.Lpost_getpc1859:
	s_add_u32 s14, s14, (.LBB1_6016-.Lpost_getpc1859)&4294967295
	s_addc_u32 s15, s15, (.LBB1_6016-.Lpost_getpc1859)>>32
	s_setpc_b64 s[14:15]
.LBB1_1918:
	s_or_b64 exec, exec, s[6:7]
	s_and_saveexec_b64 s[6:7], s[4:5]
	s_cbranch_execz .LBB1_1920
.LBB1_1919:
	v_bfe_u32 v13, v15, 24, 2
	v_ffbh_u32_e32 v18, v13
	v_min_u32_e32 v18, 32, v18
	v_lshrrev_b32_e32 v16, 26, v15
	v_subrev_u32_e32 v19, 29, v18
	v_and_b32_e32 v14, 0x80000000, v15
	v_and_b32_e32 v16, 31, v16
	v_bfe_u32 v17, v15, 26, 5
	v_lshlrev_b32_sdwa v15, v19, v15 dst_sel:DWORD dst_unused:UNUSED_PAD src0_sel:DWORD src1_sel:BYTE_3
	v_sub_u32_e32 v18, 30, v18
	v_and_b32_e32 v15, 3, v15
	v_cmp_eq_u16_e32 vcc, 0, v16
	v_cndmask_b32_e32 v13, v13, v15, vcc
	v_cndmask_b32_e32 v15, v17, v18, vcc
	v_mov_b32_e32 v16, 0x37800000
	v_lshlrev_b32_e32 v13, 21, v13
	v_lshl_add_u32 v15, v15, 23, v16
	v_or3_b32 v13, v14, v15, v13
.LBB1_1920:
	s_or_b64 exec, exec, s[6:7]
	s_nop 0
	v_mfma_f32_16x16x4f32 a[0:3], v12, v13, a[0:3]
	v_mov_b32_e32 v16, 8
	s_movk_i32 s4, 0x7f
                                        ; implicit-def: $sgpr10
	s_nop 7
	s_nop 0
	flat_store_dwordx4 v[10:11], a[0:3] offset:224
	flat_load_dword v14, v[0:1] offset:544
	flat_load_dwordx2 v[12:13], v[6:7]
	s_waitcnt vmcnt(0) lgkmcnt(0)
	v_ashrrev_i32_e32 v15, 31, v14
	v_add_co_u32_e32 v12, vcc, v12, v14
	v_addc_co_u32_e32 v13, vcc, v13, v15, vcc
	flat_load_dwordx4 v[12:15], v[12:13] offset:1536
	s_waitcnt vmcnt(0) lgkmcnt(0)
	v_lshrrev_b32_sdwa v20, v16, v14 dst_sel:BYTE_1 dst_unused:UNUSED_PAD src0_sel:DWORD src1_sel:DWORD
	flat_store_dwordx4 v[8:9], v[12:15]
	flat_load_dwordx4 v[16:19], v[4:5]
	s_waitcnt vmcnt(0) lgkmcnt(0)
	v_cmp_gt_i16_sdwa s[6:7], v16, s4 src0_sel:BYTE_0 src1_sel:DWORD
	s_mov_b64 s[4:5], 0
	s_and_saveexec_b64 s[8:9], s[6:7]
	s_xor_b64 s[6:7], exec, s[8:9]
	s_cbranch_execz .LBB1_1921
; %bb.11913:
	s_getpc_b64 s[14:15]
.Lpost_getpc1860:
	s_add_u32 s14, s14, (.LBB1_6017-.Lpost_getpc1860)&4294967295
	s_addc_u32 s15, s15, (.LBB1_6017-.Lpost_getpc1860)>>32
	s_setpc_b64 s[14:15]
.LBB1_1921:
	s_or_saveexec_b64 s[6:7], s[6:7]
	v_mov_b32_e32 v21, s10
	s_xor_b64 exec, exec, s[6:7]
	s_cbranch_execz .LBB1_1922
; %bb.11915:
	s_getpc_b64 s[14:15]
.Lpost_getpc1861:
	s_add_u32 s14, s14, (.LBB1_6020-.Lpost_getpc1861)&4294967295
	s_addc_u32 s15, s15, (.LBB1_6020-.Lpost_getpc1861)>>32
	s_setpc_b64 s[14:15]
.LBB1_1922:
	s_or_b64 exec, exec, s[6:7]
	s_and_saveexec_b64 s[6:7], s[4:5]
	s_cbranch_execz .LBB1_1924
.LBB1_1923:
	v_and_b32_e32 v21, 7, v16
	v_ffbh_u32_e32 v23, v21
	v_min_u32_e32 v23, 32, v23
	v_lshrrev_b16_e32 v22, 3, v16
	v_subrev_u32_e32 v24, 28, v23
	v_and_b32_e32 v22, 15, v22
	v_lshlrev_b32_e32 v24, v24, v16
	v_sub_u32_e32 v23, 29, v23
	v_and_b32_e32 v24, 7, v24
	v_cmp_eq_u16_e32 vcc, 0, v22
	v_cndmask_b32_e32 v21, v21, v24, vcc
	v_cndmask_b32_e32 v22, v22, v23, vcc
	v_lshlrev_b32_e32 v23, 24, v16
	v_mov_b32_e32 v24, 0x3b800000
	v_lshlrev_b32_e32 v21, 20, v21
	v_and_b32_e32 v23, 0x80000000, v23
	v_lshl_add_u32 v22, v22, 23, v24
	v_or3_b32 v21, v23, v22, v21
.LBB1_1924:
	s_or_b64 exec, exec, s[6:7]
	s_movk_i32 s4, 0x7f
	v_cmp_gt_i16_sdwa s[6:7], v12, s4 src0_sel:BYTE_0 src1_sel:DWORD
	s_mov_b64 s[4:5], 0
                                        ; implicit-def: $sgpr10
	s_and_saveexec_b64 s[8:9], s[6:7]
	s_xor_b64 s[6:7], exec, s[8:9]
	s_cbranch_execz .LBB1_1925
; %bb.11917:
	s_getpc_b64 s[14:15]
.Lpost_getpc1862:
	s_add_u32 s14, s14, (.LBB1_6021-.Lpost_getpc1862)&4294967295
	s_addc_u32 s15, s15, (.LBB1_6021-.Lpost_getpc1862)>>32
	s_setpc_b64 s[14:15]
.LBB1_1925:
	s_or_saveexec_b64 s[6:7], s[6:7]
	v_mov_b32_e32 v22, s10
	s_xor_b64 exec, exec, s[6:7]
	s_cbranch_execz .LBB1_1926
; %bb.11919:
	s_getpc_b64 s[14:15]
.Lpost_getpc1863:
	s_add_u32 s14, s14, (.LBB1_6024-.Lpost_getpc1863)&4294967295
	s_addc_u32 s15, s15, (.LBB1_6024-.Lpost_getpc1863)>>32
	s_setpc_b64 s[14:15]
.LBB1_1926:
	s_or_b64 exec, exec, s[6:7]
	s_and_saveexec_b64 s[6:7], s[4:5]
	s_cbranch_execz .LBB1_1928
.LBB1_1927:
	v_and_b32_e32 v22, 3, v12
	v_ffbh_u32_e32 v24, v22
	v_min_u32_e32 v24, 32, v24
	v_lshrrev_b16_e32 v23, 2, v12
	v_subrev_u32_e32 v25, 29, v24
	v_and_b32_e32 v23, 31, v23
	v_lshlrev_b32_e32 v25, v25, v12
	v_sub_u32_e32 v24, 30, v24
	v_and_b32_e32 v25, 3, v25
	v_cmp_eq_u16_e32 vcc, 0, v23
	v_cndmask_b32_e32 v22, v22, v25, vcc
	v_cndmask_b32_e32 v23, v23, v24, vcc
	v_lshlrev_b32_e32 v24, 24, v12
	v_mov_b32_e32 v25, 0x37800000
	v_lshlrev_b32_e32 v22, 21, v22
	v_and_b32_e32 v24, 0x80000000, v24
	v_lshl_add_u32 v23, v23, 23, v25
	v_or3_b32 v22, v24, v23, v22
.LBB1_1928:
	s_or_b64 exec, exec, s[6:7]
	flat_load_dwordx4 a[0:3], v[10:11] offset:240
	s_movk_i32 s4, 0x7f
                                        ; implicit-def: $sgpr10
	s_waitcnt vmcnt(0) lgkmcnt(0)
	v_mfma_f32_16x16x4f32 a[0:3], v21, v22, a[0:3]
	v_lshrrev_b32_e32 v22, 8, v16
	v_cmp_gt_i16_sdwa s[6:7], v22, s4 src0_sel:BYTE_0 src1_sel:DWORD
	s_mov_b64 s[4:5], 0
	s_and_saveexec_b64 s[8:9], s[6:7]
	s_xor_b64 s[6:7], exec, s[8:9]
	s_cbranch_execz .LBB1_1929
; %bb.11921:
	s_getpc_b64 s[14:15]
.Lpost_getpc1864:
	s_add_u32 s14, s14, (.LBB1_6025-.Lpost_getpc1864)&4294967295
	s_addc_u32 s15, s15, (.LBB1_6025-.Lpost_getpc1864)>>32
	s_setpc_b64 s[14:15]
.LBB1_1929:
	s_or_saveexec_b64 s[6:7], s[6:7]
	v_mov_b32_e32 v21, s10
	s_xor_b64 exec, exec, s[6:7]
	s_cbranch_execz .LBB1_1930
; %bb.11923:
	s_getpc_b64 s[14:15]
.Lpost_getpc1865:
	s_add_u32 s14, s14, (.LBB1_6028-.Lpost_getpc1865)&4294967295
	s_addc_u32 s15, s15, (.LBB1_6028-.Lpost_getpc1865)>>32
	s_setpc_b64 s[14:15]
.LBB1_1930:
	s_or_b64 exec, exec, s[6:7]
	s_and_saveexec_b64 s[6:7], s[4:5]
	s_cbranch_execz .LBB1_1932
.LBB1_1931:
	v_bfe_u32 v21, v16, 8, 3
	v_ffbh_u32_e32 v24, v21
	v_min_u32_e32 v24, 32, v24
	v_lshrrev_b16_e32 v23, 3, v22
	v_subrev_u32_e32 v25, 28, v24
	v_and_b32_e32 v23, 15, v23
	v_lshlrev_b32_e32 v22, v25, v22
	v_sub_u32_e32 v24, 29, v24
	v_and_b32_e32 v22, 7, v22
	v_cmp_eq_u16_e32 vcc, 0, v23
	v_cndmask_b32_e32 v21, v21, v22, vcc
	v_cndmask_b32_e32 v22, v23, v24, vcc
	v_lshlrev_b32_e32 v23, 16, v16
	v_mov_b32_e32 v24, 0x3b800000
	v_lshlrev_b32_e32 v21, 20, v21
	v_and_b32_e32 v23, 0x80000000, v23
	v_lshl_add_u32 v22, v22, 23, v24
	v_or3_b32 v21, v23, v22, v21
.LBB1_1932:
	s_or_b64 exec, exec, s[6:7]
	v_lshrrev_b32_e32 v22, 8, v12
	s_movk_i32 s4, 0x7f
	v_cmp_gt_i16_sdwa s[6:7], v22, s4 src0_sel:BYTE_0 src1_sel:DWORD
	s_mov_b64 s[4:5], 0
                                        ; implicit-def: $sgpr10
	s_and_saveexec_b64 s[8:9], s[6:7]
	s_xor_b64 s[6:7], exec, s[8:9]
	s_cbranch_execz .LBB1_1933
; %bb.11925:
	s_getpc_b64 s[14:15]
.Lpost_getpc1866:
	s_add_u32 s14, s14, (.LBB1_6029-.Lpost_getpc1866)&4294967295
	s_addc_u32 s15, s15, (.LBB1_6029-.Lpost_getpc1866)>>32
	s_setpc_b64 s[14:15]
.LBB1_1933:
	s_or_saveexec_b64 s[6:7], s[6:7]
	v_mov_b32_e32 v23, s10
	s_xor_b64 exec, exec, s[6:7]
	s_cbranch_execz .LBB1_1934
; %bb.11927:
	s_getpc_b64 s[14:15]
.Lpost_getpc1867:
	s_add_u32 s14, s14, (.LBB1_6032-.Lpost_getpc1867)&4294967295
	s_addc_u32 s15, s15, (.LBB1_6032-.Lpost_getpc1867)>>32
	s_setpc_b64 s[14:15]
.LBB1_1934:
	s_or_b64 exec, exec, s[6:7]
	s_and_saveexec_b64 s[6:7], s[4:5]
	s_cbranch_execz .LBB1_1936
.LBB1_1935:
	v_bfe_u32 v23, v12, 8, 2
	v_ffbh_u32_e32 v25, v23
	v_min_u32_e32 v25, 32, v25
	v_lshrrev_b16_e32 v24, 2, v22
	v_subrev_u32_e32 v26, 29, v25
	v_and_b32_e32 v24, 31, v24
	v_lshlrev_b32_e32 v22, v26, v22
	v_sub_u32_e32 v25, 30, v25
	v_and_b32_e32 v22, 3, v22
	v_cmp_eq_u16_e32 vcc, 0, v24
	v_cndmask_b32_e32 v22, v23, v22, vcc
	v_cndmask_b32_e32 v23, v24, v25, vcc
	v_lshlrev_b32_e32 v24, 16, v12
	v_mov_b32_e32 v25, 0x37800000
	v_lshlrev_b32_e32 v22, 21, v22
	v_and_b32_e32 v24, 0x80000000, v24
	v_lshl_add_u32 v23, v23, 23, v25
	v_or3_b32 v23, v24, v23, v22
.LBB1_1936:
	s_or_b64 exec, exec, s[6:7]
	s_nop 0
	v_mfma_f32_16x16x4f32 a[0:3], v21, v23, a[0:3]
	s_movk_i32 s4, 0xff
	v_and_b32_sdwa v22, v16, s4 dst_sel:DWORD dst_unused:UNUSED_PAD src0_sel:WORD_1 src1_sel:DWORD
	s_movk_i32 s4, 0x7f
	v_cmp_lt_i16_e32 vcc, s4, v22
	s_mov_b64 s[4:5], 0
                                        ; implicit-def: $sgpr10
	s_and_saveexec_b64 s[6:7], vcc
	s_xor_b64 s[6:7], exec, s[6:7]
	s_cbranch_execz .LBB1_1937
; %bb.11929:
	s_getpc_b64 s[14:15]
.Lpost_getpc1868:
	s_add_u32 s14, s14, (.LBB1_6033-.Lpost_getpc1868)&4294967295
	s_addc_u32 s15, s15, (.LBB1_6033-.Lpost_getpc1868)>>32
	s_setpc_b64 s[14:15]
.LBB1_1937:
	s_or_saveexec_b64 s[6:7], s[6:7]
	v_mov_b32_e32 v21, s10
	s_xor_b64 exec, exec, s[6:7]
	s_cbranch_execz .LBB1_1938
; %bb.11931:
	s_getpc_b64 s[14:15]
.Lpost_getpc1869:
	s_add_u32 s14, s14, (.LBB1_6036-.Lpost_getpc1869)&4294967295
	s_addc_u32 s15, s15, (.LBB1_6036-.Lpost_getpc1869)>>32
	s_setpc_b64 s[14:15]
.LBB1_1938:
	s_or_b64 exec, exec, s[6:7]
	s_and_saveexec_b64 s[6:7], s[4:5]
	s_cbranch_execz .LBB1_1940
.LBB1_1939:
	v_bfe_u32 v21, v16, 16, 3
	v_ffbh_u32_e32 v24, v21
	v_min_u32_e32 v24, 32, v24
	v_lshrrev_b32_e32 v22, 19, v16
	v_subrev_u32_e32 v25, 28, v24
	v_and_b32_e32 v22, 15, v22
	v_lshlrev_b32_sdwa v25, v25, v16 dst_sel:DWORD dst_unused:UNUSED_PAD src0_sel:DWORD src1_sel:WORD_1
	v_bfe_u32 v23, v16, 19, 4
	v_sub_u32_e32 v24, 29, v24
	v_and_b32_e32 v25, 7, v25
	v_cmp_eq_u16_e32 vcc, 0, v22
	v_cndmask_b32_e32 v21, v21, v25, vcc
	v_cndmask_b32_e32 v22, v23, v24, vcc
	v_lshlrev_b32_e32 v23, 8, v16
	v_mov_b32_e32 v24, 0x3b800000
	v_lshlrev_b32_e32 v21, 20, v21
	v_and_b32_e32 v23, 0x80000000, v23
	v_lshl_add_u32 v22, v22, 23, v24
	v_or3_b32 v21, v23, v22, v21
.LBB1_1940:
	s_or_b64 exec, exec, s[6:7]
	s_movk_i32 s4, 0xff
	v_and_b32_sdwa v22, v12, s4 dst_sel:DWORD dst_unused:UNUSED_PAD src0_sel:WORD_1 src1_sel:DWORD
	s_movk_i32 s4, 0x7f
	v_cmp_lt_i16_e32 vcc, s4, v22
	s_mov_b64 s[4:5], 0
                                        ; implicit-def: $sgpr10
	s_and_saveexec_b64 s[6:7], vcc
	s_xor_b64 s[6:7], exec, s[6:7]
	s_cbranch_execz .LBB1_1941
; %bb.11933:
	s_getpc_b64 s[14:15]
.Lpost_getpc1870:
	s_add_u32 s14, s14, (.LBB1_6037-.Lpost_getpc1870)&4294967295
	s_addc_u32 s15, s15, (.LBB1_6037-.Lpost_getpc1870)>>32
	s_setpc_b64 s[14:15]
.LBB1_1941:
	s_or_saveexec_b64 s[6:7], s[6:7]
	v_mov_b32_e32 v23, s10
	s_xor_b64 exec, exec, s[6:7]
	s_cbranch_execz .LBB1_1942
; %bb.11935:
	s_getpc_b64 s[14:15]
.Lpost_getpc1871:
	s_add_u32 s14, s14, (.LBB1_6040-.Lpost_getpc1871)&4294967295
	s_addc_u32 s15, s15, (.LBB1_6040-.Lpost_getpc1871)>>32
	s_setpc_b64 s[14:15]
.LBB1_1942:
	s_or_b64 exec, exec, s[6:7]
	s_and_saveexec_b64 s[6:7], s[4:5]
	s_cbranch_execz .LBB1_1944
.LBB1_1943:
	v_bfe_u32 v22, v12, 16, 2
	v_ffbh_u32_e32 v25, v22
	v_min_u32_e32 v25, 32, v25
	v_lshrrev_b32_e32 v23, 18, v12
	v_subrev_u32_e32 v26, 29, v25
	v_and_b32_e32 v23, 31, v23
	v_lshlrev_b32_sdwa v26, v26, v12 dst_sel:DWORD dst_unused:UNUSED_PAD src0_sel:DWORD src1_sel:WORD_1
	v_bfe_u32 v24, v12, 18, 5
	v_sub_u32_e32 v25, 30, v25
	v_and_b32_e32 v26, 3, v26
	v_cmp_eq_u16_e32 vcc, 0, v23
	v_cndmask_b32_e32 v22, v22, v26, vcc
	v_cndmask_b32_e32 v23, v24, v25, vcc
	v_lshlrev_b32_e32 v24, 8, v12
	v_mov_b32_e32 v25, 0x37800000
	v_lshlrev_b32_e32 v22, 21, v22
	v_and_b32_e32 v24, 0x80000000, v24
	v_lshl_add_u32 v23, v23, 23, v25
	v_or3_b32 v23, v24, v23, v22
.LBB1_1944:
	s_or_b64 exec, exec, s[6:7]
	s_nop 0
	v_mfma_f32_16x16x4f32 a[0:3], v21, v23, a[0:3]
	s_movk_i32 s4, 0x7f
	v_cmp_gt_i16_sdwa s[6:7], v16, s4 src0_sel:BYTE_3 src1_sel:DWORD
	s_mov_b64 s[4:5], 0
                                        ; implicit-def: $sgpr10
	s_and_saveexec_b64 s[8:9], s[6:7]
	s_xor_b64 s[6:7], exec, s[8:9]
	s_cbranch_execz .LBB1_1945
; %bb.11937:
	s_getpc_b64 s[14:15]
.Lpost_getpc1872:
	s_add_u32 s14, s14, (.LBB1_6041-.Lpost_getpc1872)&4294967295
	s_addc_u32 s15, s15, (.LBB1_6041-.Lpost_getpc1872)>>32
	s_setpc_b64 s[14:15]
.LBB1_1945:
	s_or_saveexec_b64 s[6:7], s[6:7]
	v_mov_b32_e32 v21, s10
	s_xor_b64 exec, exec, s[6:7]
	s_cbranch_execz .LBB1_1946
; %bb.11939:
	s_getpc_b64 s[14:15]
.Lpost_getpc1873:
	s_add_u32 s14, s14, (.LBB1_6044-.Lpost_getpc1873)&4294967295
	s_addc_u32 s15, s15, (.LBB1_6044-.Lpost_getpc1873)>>32
	s_setpc_b64 s[14:15]
.LBB1_1946:
	s_or_b64 exec, exec, s[6:7]
	s_and_saveexec_b64 s[6:7], s[4:5]
	s_cbranch_execz .LBB1_1948
.LBB1_1947:
	v_bfe_u32 v21, v16, 24, 3
	v_ffbh_u32_e32 v25, v21
	v_min_u32_e32 v25, 32, v25
	v_lshrrev_b32_e32 v23, 27, v16
	v_subrev_u32_e32 v26, 28, v25
	v_and_b32_e32 v22, 0x80000000, v16
	v_and_b32_e32 v23, 15, v23
	v_bfe_u32 v24, v16, 27, 4
	v_lshlrev_b32_sdwa v16, v26, v16 dst_sel:DWORD dst_unused:UNUSED_PAD src0_sel:DWORD src1_sel:BYTE_3
	v_sub_u32_e32 v25, 29, v25
	v_and_b32_e32 v16, 7, v16
	v_cmp_eq_u16_e32 vcc, 0, v23
	v_cndmask_b32_e32 v16, v21, v16, vcc
	v_cndmask_b32_e32 v21, v24, v25, vcc
	v_mov_b32_e32 v23, 0x3b800000
	v_lshlrev_b32_e32 v16, 20, v16
	v_lshl_add_u32 v21, v21, 23, v23
	v_or3_b32 v21, v22, v21, v16
.LBB1_1948:
	s_or_b64 exec, exec, s[6:7]
	s_movk_i32 s4, 0x7f
	v_cmp_gt_i16_sdwa s[6:7], v12, s4 src0_sel:BYTE_3 src1_sel:DWORD
	s_mov_b64 s[4:5], 0
                                        ; implicit-def: $sgpr10
	s_and_saveexec_b64 s[8:9], s[6:7]
	s_xor_b64 s[6:7], exec, s[8:9]
	s_cbranch_execz .LBB1_1949
; %bb.11941:
	s_getpc_b64 s[14:15]
.Lpost_getpc1874:
	s_add_u32 s14, s14, (.LBB1_6045-.Lpost_getpc1874)&4294967295
	s_addc_u32 s15, s15, (.LBB1_6045-.Lpost_getpc1874)>>32
	s_setpc_b64 s[14:15]
.LBB1_1949:
	s_or_saveexec_b64 s[6:7], s[6:7]
	v_mov_b32_e32 v16, s10
	s_xor_b64 exec, exec, s[6:7]
	s_cbranch_execz .LBB1_1950
; %bb.11943:
	s_getpc_b64 s[14:15]
.Lpost_getpc1875:
	s_add_u32 s14, s14, (.LBB1_6048-.Lpost_getpc1875)&4294967295
	s_addc_u32 s15, s15, (.LBB1_6048-.Lpost_getpc1875)>>32
	s_setpc_b64 s[14:15]
.LBB1_1950:
	s_or_b64 exec, exec, s[6:7]
	s_and_saveexec_b64 s[6:7], s[4:5]
	s_cbranch_execz .LBB1_1952
.LBB1_1951:
	v_bfe_u32 v16, v12, 24, 2
	v_ffbh_u32_e32 v25, v16
	v_min_u32_e32 v25, 32, v25
	v_lshrrev_b32_e32 v23, 26, v12
	v_subrev_u32_e32 v26, 29, v25
	v_and_b32_e32 v22, 0x80000000, v12
	v_and_b32_e32 v23, 31, v23
	v_bfe_u32 v24, v12, 26, 5
	v_lshlrev_b32_sdwa v12, v26, v12 dst_sel:DWORD dst_unused:UNUSED_PAD src0_sel:DWORD src1_sel:BYTE_3
	v_sub_u32_e32 v25, 30, v25
	v_and_b32_e32 v12, 3, v12
	v_cmp_eq_u16_e32 vcc, 0, v23
	v_cndmask_b32_e32 v12, v16, v12, vcc
	v_cndmask_b32_e32 v16, v24, v25, vcc
	v_mov_b32_e32 v23, 0x37800000
	v_lshlrev_b32_e32 v12, 21, v12
	v_lshl_add_u32 v16, v16, 23, v23
	v_or3_b32 v16, v22, v16, v12
.LBB1_1952:
	s_or_b64 exec, exec, s[6:7]
	s_nop 0
	v_mfma_f32_16x16x4f32 a[0:3], v21, v16, a[0:3]
	s_movk_i32 s4, 0x7f
	v_cmp_gt_i16_sdwa s[6:7], v17, s4 src0_sel:BYTE_0 src1_sel:DWORD
	s_mov_b64 s[4:5], 0
                                        ; implicit-def: $sgpr10
	s_and_saveexec_b64 s[8:9], s[6:7]
	s_xor_b64 s[6:7], exec, s[8:9]
	s_cbranch_execz .LBB1_1953
; %bb.11945:
	s_getpc_b64 s[14:15]
.Lpost_getpc1876:
	s_add_u32 s14, s14, (.LBB1_6049-.Lpost_getpc1876)&4294967295
	s_addc_u32 s15, s15, (.LBB1_6049-.Lpost_getpc1876)>>32
	s_setpc_b64 s[14:15]
.LBB1_1953:
	s_or_saveexec_b64 s[6:7], s[6:7]
	v_mov_b32_e32 v12, s10
	s_xor_b64 exec, exec, s[6:7]
	s_cbranch_execz .LBB1_1954
; %bb.11947:
	s_getpc_b64 s[14:15]
.Lpost_getpc1877:
	s_add_u32 s14, s14, (.LBB1_6052-.Lpost_getpc1877)&4294967295
	s_addc_u32 s15, s15, (.LBB1_6052-.Lpost_getpc1877)>>32
	s_setpc_b64 s[14:15]
.LBB1_1954:
	s_or_b64 exec, exec, s[6:7]
	s_and_saveexec_b64 s[6:7], s[4:5]
	s_cbranch_execz .LBB1_1956
.LBB1_1955:
	v_and_b32_e32 v12, 7, v17
	v_ffbh_u32_e32 v21, v12
	v_min_u32_e32 v21, 32, v21
	v_lshrrev_b16_e32 v16, 3, v17
	v_subrev_u32_e32 v22, 28, v21
	v_and_b32_e32 v16, 15, v16
	v_lshlrev_b32_e32 v22, v22, v17
	v_sub_u32_e32 v21, 29, v21
	v_and_b32_e32 v22, 7, v22
	v_cmp_eq_u16_e32 vcc, 0, v16
	v_cndmask_b32_e32 v12, v12, v22, vcc
	v_cndmask_b32_e32 v16, v16, v21, vcc
	v_lshlrev_b32_e32 v21, 24, v17
	v_mov_b32_e32 v22, 0x3b800000
	v_lshlrev_b32_e32 v12, 20, v12
	v_and_b32_e32 v21, 0x80000000, v21
	v_lshl_add_u32 v16, v16, 23, v22
	v_or3_b32 v12, v21, v16, v12
.LBB1_1956:
	s_or_b64 exec, exec, s[6:7]
	s_movk_i32 s4, 0x7f
	v_cmp_gt_i16_sdwa s[6:7], v13, s4 src0_sel:BYTE_0 src1_sel:DWORD
	s_mov_b64 s[4:5], 0
                                        ; implicit-def: $sgpr10
	s_and_saveexec_b64 s[8:9], s[6:7]
	s_xor_b64 s[6:7], exec, s[8:9]
	s_cbranch_execz .LBB1_1957
; %bb.11949:
	s_getpc_b64 s[14:15]
.Lpost_getpc1878:
	s_add_u32 s14, s14, (.LBB1_6053-.Lpost_getpc1878)&4294967295
	s_addc_u32 s15, s15, (.LBB1_6053-.Lpost_getpc1878)>>32
	s_setpc_b64 s[14:15]
.LBB1_1957:
	s_or_saveexec_b64 s[6:7], s[6:7]
	v_mov_b32_e32 v16, s10
	s_xor_b64 exec, exec, s[6:7]
	s_cbranch_execz .LBB1_1958
; %bb.11951:
	s_getpc_b64 s[14:15]
.Lpost_getpc1879:
	s_add_u32 s14, s14, (.LBB1_6056-.Lpost_getpc1879)&4294967295
	s_addc_u32 s15, s15, (.LBB1_6056-.Lpost_getpc1879)>>32
	s_setpc_b64 s[14:15]
.LBB1_1958:
	s_or_b64 exec, exec, s[6:7]
	s_and_saveexec_b64 s[6:7], s[4:5]
	s_cbranch_execz .LBB1_1960
.LBB1_1959:
	v_and_b32_e32 v16, 3, v13
	v_ffbh_u32_e32 v22, v16
	v_min_u32_e32 v22, 32, v22
	v_lshrrev_b16_e32 v21, 2, v13
	v_subrev_u32_e32 v23, 29, v22
	v_and_b32_e32 v21, 31, v21
	v_lshlrev_b32_e32 v23, v23, v13
	v_sub_u32_e32 v22, 30, v22
	v_and_b32_e32 v23, 3, v23
	v_cmp_eq_u16_e32 vcc, 0, v21
	v_cndmask_b32_e32 v16, v16, v23, vcc
	v_cndmask_b32_e32 v21, v21, v22, vcc
	v_lshlrev_b32_e32 v22, 24, v13
	v_mov_b32_e32 v23, 0x37800000
	v_lshlrev_b32_e32 v16, 21, v16
	v_and_b32_e32 v22, 0x80000000, v22
	v_lshl_add_u32 v21, v21, 23, v23
	v_or3_b32 v16, v22, v21, v16
.LBB1_1960:
	s_or_b64 exec, exec, s[6:7]
	s_nop 0
	v_mfma_f32_16x16x4f32 a[0:3], v12, v16, a[0:3]
	v_lshrrev_b32_e32 v16, 8, v17
	s_movk_i32 s4, 0x7f
	v_cmp_gt_i16_sdwa s[6:7], v16, s4 src0_sel:BYTE_0 src1_sel:DWORD
	s_mov_b64 s[4:5], 0
                                        ; implicit-def: $sgpr10
	s_and_saveexec_b64 s[8:9], s[6:7]
	s_xor_b64 s[6:7], exec, s[8:9]
	s_cbranch_execz .LBB1_1961
; %bb.11953:
	s_getpc_b64 s[14:15]
.Lpost_getpc1880:
	s_add_u32 s14, s14, (.LBB1_6057-.Lpost_getpc1880)&4294967295
	s_addc_u32 s15, s15, (.LBB1_6057-.Lpost_getpc1880)>>32
	s_setpc_b64 s[14:15]
.LBB1_1961:
	s_or_saveexec_b64 s[6:7], s[6:7]
	v_mov_b32_e32 v12, s10
	s_xor_b64 exec, exec, s[6:7]
	s_cbranch_execz .LBB1_1962
; %bb.11955:
	s_getpc_b64 s[14:15]
.Lpost_getpc1881:
	s_add_u32 s14, s14, (.LBB1_6060-.Lpost_getpc1881)&4294967295
	s_addc_u32 s15, s15, (.LBB1_6060-.Lpost_getpc1881)>>32
	s_setpc_b64 s[14:15]
.LBB1_1962:
	s_or_b64 exec, exec, s[6:7]
	s_and_saveexec_b64 s[6:7], s[4:5]
	s_cbranch_execz .LBB1_1964
.LBB1_1963:
	v_bfe_u32 v12, v17, 8, 3
	v_ffbh_u32_e32 v22, v12
	v_min_u32_e32 v22, 32, v22
	v_lshrrev_b16_e32 v21, 3, v16
	v_subrev_u32_e32 v23, 28, v22
	v_and_b32_e32 v21, 15, v21
	v_lshlrev_b32_e32 v16, v23, v16
	v_sub_u32_e32 v22, 29, v22
	v_and_b32_e32 v16, 7, v16
	v_cmp_eq_u16_e32 vcc, 0, v21
	v_cndmask_b32_e32 v12, v12, v16, vcc
	v_cndmask_b32_e32 v16, v21, v22, vcc
	v_lshlrev_b32_e32 v21, 16, v17
	v_mov_b32_e32 v22, 0x3b800000
	v_lshlrev_b32_e32 v12, 20, v12
	v_and_b32_e32 v21, 0x80000000, v21
	v_lshl_add_u32 v16, v16, 23, v22
	v_or3_b32 v12, v21, v16, v12
.LBB1_1964:
	s_or_b64 exec, exec, s[6:7]
	v_lshrrev_b32_e32 v16, 8, v13
	s_movk_i32 s4, 0x7f
	v_cmp_gt_i16_sdwa s[6:7], v16, s4 src0_sel:BYTE_0 src1_sel:DWORD
	s_mov_b64 s[4:5], 0
                                        ; implicit-def: $sgpr10
	s_and_saveexec_b64 s[8:9], s[6:7]
	s_xor_b64 s[6:7], exec, s[8:9]
	s_cbranch_execz .LBB1_1965
; %bb.11957:
	s_getpc_b64 s[14:15]
.Lpost_getpc1882:
	s_add_u32 s14, s14, (.LBB1_6061-.Lpost_getpc1882)&4294967295
	s_addc_u32 s15, s15, (.LBB1_6061-.Lpost_getpc1882)>>32
	s_setpc_b64 s[14:15]
.LBB1_1965:
	s_or_saveexec_b64 s[6:7], s[6:7]
	v_mov_b32_e32 v21, s10
	s_xor_b64 exec, exec, s[6:7]
	s_cbranch_execz .LBB1_1966
; %bb.11959:
	s_getpc_b64 s[14:15]
.Lpost_getpc1883:
	s_add_u32 s14, s14, (.LBB1_6064-.Lpost_getpc1883)&4294967295
	s_addc_u32 s15, s15, (.LBB1_6064-.Lpost_getpc1883)>>32
	s_setpc_b64 s[14:15]
.LBB1_1966:
	s_or_b64 exec, exec, s[6:7]
	s_and_saveexec_b64 s[6:7], s[4:5]
	s_cbranch_execz .LBB1_1968
.LBB1_1967:
	v_bfe_u32 v21, v13, 8, 2
	v_ffbh_u32_e32 v23, v21
	v_min_u32_e32 v23, 32, v23
	v_lshrrev_b16_e32 v22, 2, v16
	v_subrev_u32_e32 v24, 29, v23
	v_and_b32_e32 v22, 31, v22
	v_lshlrev_b32_e32 v16, v24, v16
	v_sub_u32_e32 v23, 30, v23
	v_and_b32_e32 v16, 3, v16
	v_cmp_eq_u16_e32 vcc, 0, v22
	v_cndmask_b32_e32 v16, v21, v16, vcc
	v_cndmask_b32_e32 v21, v22, v23, vcc
	v_lshlrev_b32_e32 v22, 16, v13
	v_mov_b32_e32 v23, 0x37800000
	v_lshlrev_b32_e32 v16, 21, v16
	v_and_b32_e32 v22, 0x80000000, v22
	v_lshl_add_u32 v21, v21, 23, v23
	v_or3_b32 v21, v22, v21, v16
.LBB1_1968:
	s_or_b64 exec, exec, s[6:7]
	s_nop 0
	v_mfma_f32_16x16x4f32 a[0:3], v12, v21, a[0:3]
	s_movk_i32 s4, 0xff
	v_and_b32_sdwa v16, v17, s4 dst_sel:DWORD dst_unused:UNUSED_PAD src0_sel:WORD_1 src1_sel:DWORD
	s_movk_i32 s4, 0x7f
	v_cmp_lt_i16_e32 vcc, s4, v16
	s_mov_b64 s[4:5], 0
                                        ; implicit-def: $sgpr10
	s_and_saveexec_b64 s[6:7], vcc
	s_xor_b64 s[6:7], exec, s[6:7]
	s_cbranch_execz .LBB1_1969
; %bb.11961:
	s_getpc_b64 s[14:15]
.Lpost_getpc1884:
	s_add_u32 s14, s14, (.LBB1_6065-.Lpost_getpc1884)&4294967295
	s_addc_u32 s15, s15, (.LBB1_6065-.Lpost_getpc1884)>>32
	s_setpc_b64 s[14:15]
.LBB1_1969:
	s_or_saveexec_b64 s[6:7], s[6:7]
	v_mov_b32_e32 v12, s10
	s_xor_b64 exec, exec, s[6:7]
	s_cbranch_execz .LBB1_1970
; %bb.11963:
	s_getpc_b64 s[14:15]
.Lpost_getpc1885:
	s_add_u32 s14, s14, (.LBB1_6068-.Lpost_getpc1885)&4294967295
	s_addc_u32 s15, s15, (.LBB1_6068-.Lpost_getpc1885)>>32
	s_setpc_b64 s[14:15]
.LBB1_1970:
	s_or_b64 exec, exec, s[6:7]
	s_and_saveexec_b64 s[6:7], s[4:5]
	s_cbranch_execz .LBB1_1972
.LBB1_1971:
	v_bfe_u32 v12, v17, 16, 3
	v_ffbh_u32_e32 v22, v12
	v_min_u32_e32 v22, 32, v22
	v_lshrrev_b32_e32 v16, 19, v17
	v_subrev_u32_e32 v23, 28, v22
	v_and_b32_e32 v16, 15, v16
	v_lshlrev_b32_sdwa v23, v23, v17 dst_sel:DWORD dst_unused:UNUSED_PAD src0_sel:DWORD src1_sel:WORD_1
	v_bfe_u32 v21, v17, 19, 4
	v_sub_u32_e32 v22, 29, v22
	v_and_b32_e32 v23, 7, v23
	v_cmp_eq_u16_e32 vcc, 0, v16
	v_cndmask_b32_e32 v12, v12, v23, vcc
	v_cndmask_b32_e32 v16, v21, v22, vcc
	v_lshlrev_b32_e32 v21, 8, v17
	v_mov_b32_e32 v22, 0x3b800000
	v_lshlrev_b32_e32 v12, 20, v12
	v_and_b32_e32 v21, 0x80000000, v21
	v_lshl_add_u32 v16, v16, 23, v22
	v_or3_b32 v12, v21, v16, v12
.LBB1_1972:
	s_or_b64 exec, exec, s[6:7]
	s_movk_i32 s4, 0xff
	v_and_b32_sdwa v16, v13, s4 dst_sel:DWORD dst_unused:UNUSED_PAD src0_sel:WORD_1 src1_sel:DWORD
	s_movk_i32 s4, 0x7f
	v_cmp_lt_i16_e32 vcc, s4, v16
	s_mov_b64 s[4:5], 0
                                        ; implicit-def: $sgpr10
	s_and_saveexec_b64 s[6:7], vcc
	s_xor_b64 s[6:7], exec, s[6:7]
	s_cbranch_execz .LBB1_1973
; %bb.11965:
	s_getpc_b64 s[14:15]
.Lpost_getpc1886:
	s_add_u32 s14, s14, (.LBB1_6069-.Lpost_getpc1886)&4294967295
	s_addc_u32 s15, s15, (.LBB1_6069-.Lpost_getpc1886)>>32
	s_setpc_b64 s[14:15]
.LBB1_1973:
	s_or_saveexec_b64 s[6:7], s[6:7]
	v_mov_b32_e32 v21, s10
	s_xor_b64 exec, exec, s[6:7]
	s_cbranch_execz .LBB1_1974
; %bb.11967:
	s_getpc_b64 s[14:15]
.Lpost_getpc1887:
	s_add_u32 s14, s14, (.LBB1_6072-.Lpost_getpc1887)&4294967295
	s_addc_u32 s15, s15, (.LBB1_6072-.Lpost_getpc1887)>>32
	s_setpc_b64 s[14:15]
.LBB1_1974:
	s_or_b64 exec, exec, s[6:7]
	s_and_saveexec_b64 s[6:7], s[4:5]
	s_cbranch_execz .LBB1_1976
.LBB1_1975:
	v_bfe_u32 v16, v13, 16, 2
	v_ffbh_u32_e32 v23, v16
	v_min_u32_e32 v23, 32, v23
	v_lshrrev_b32_e32 v21, 18, v13
	v_subrev_u32_e32 v24, 29, v23
	v_and_b32_e32 v21, 31, v21
	v_lshlrev_b32_sdwa v24, v24, v13 dst_sel:DWORD dst_unused:UNUSED_PAD src0_sel:DWORD src1_sel:WORD_1
	v_bfe_u32 v22, v13, 18, 5
	v_sub_u32_e32 v23, 30, v23
	v_and_b32_e32 v24, 3, v24
	v_cmp_eq_u16_e32 vcc, 0, v21
	v_cndmask_b32_e32 v16, v16, v24, vcc
	v_cndmask_b32_e32 v21, v22, v23, vcc
	v_lshlrev_b32_e32 v22, 8, v13
	v_mov_b32_e32 v23, 0x37800000
	v_lshlrev_b32_e32 v16, 21, v16
	v_and_b32_e32 v22, 0x80000000, v22
	v_lshl_add_u32 v21, v21, 23, v23
	v_or3_b32 v21, v22, v21, v16
.LBB1_1976:
	s_or_b64 exec, exec, s[6:7]
	s_nop 0
	v_mfma_f32_16x16x4f32 a[0:3], v12, v21, a[0:3]
	s_movk_i32 s4, 0x7f
	v_cmp_gt_i16_sdwa s[6:7], v17, s4 src0_sel:BYTE_3 src1_sel:DWORD
	s_mov_b64 s[4:5], 0
                                        ; implicit-def: $sgpr10
	s_and_saveexec_b64 s[8:9], s[6:7]
	s_xor_b64 s[6:7], exec, s[8:9]
	s_cbranch_execz .LBB1_1977
; %bb.11969:
	s_getpc_b64 s[14:15]
.Lpost_getpc1888:
	s_add_u32 s14, s14, (.LBB1_6073-.Lpost_getpc1888)&4294967295
	s_addc_u32 s15, s15, (.LBB1_6073-.Lpost_getpc1888)>>32
	s_setpc_b64 s[14:15]
.LBB1_1977:
	s_or_saveexec_b64 s[6:7], s[6:7]
	v_mov_b32_e32 v12, s10
	s_xor_b64 exec, exec, s[6:7]
	s_cbranch_execz .LBB1_1978
; %bb.11971:
	s_getpc_b64 s[14:15]
.Lpost_getpc1889:
	s_add_u32 s14, s14, (.LBB1_6076-.Lpost_getpc1889)&4294967295
	s_addc_u32 s15, s15, (.LBB1_6076-.Lpost_getpc1889)>>32
	s_setpc_b64 s[14:15]
.LBB1_1978:
	s_or_b64 exec, exec, s[6:7]
	s_and_saveexec_b64 s[6:7], s[4:5]
	s_cbranch_execz .LBB1_1980
.LBB1_1979:
	v_bfe_u32 v12, v17, 24, 3
	v_ffbh_u32_e32 v23, v12
	v_min_u32_e32 v23, 32, v23
	v_lshrrev_b32_e32 v21, 27, v17
	v_subrev_u32_e32 v24, 28, v23
	v_and_b32_e32 v16, 0x80000000, v17
	v_and_b32_e32 v21, 15, v21
	v_bfe_u32 v22, v17, 27, 4
	v_lshlrev_b32_sdwa v17, v24, v17 dst_sel:DWORD dst_unused:UNUSED_PAD src0_sel:DWORD src1_sel:BYTE_3
	v_sub_u32_e32 v23, 29, v23
	v_and_b32_e32 v17, 7, v17
	v_cmp_eq_u16_e32 vcc, 0, v21
	v_cndmask_b32_e32 v12, v12, v17, vcc
	v_cndmask_b32_e32 v17, v22, v23, vcc
	v_mov_b32_e32 v21, 0x3b800000
	v_lshlrev_b32_e32 v12, 20, v12
	v_lshl_add_u32 v17, v17, 23, v21
	v_or3_b32 v12, v16, v17, v12
.LBB1_1980:
	s_or_b64 exec, exec, s[6:7]
	s_movk_i32 s4, 0x7f
	v_cmp_gt_i16_sdwa s[6:7], v13, s4 src0_sel:BYTE_3 src1_sel:DWORD
	s_mov_b64 s[4:5], 0
                                        ; implicit-def: $sgpr10
	s_and_saveexec_b64 s[8:9], s[6:7]
	s_xor_b64 s[6:7], exec, s[8:9]
	s_cbranch_execz .LBB1_1981
; %bb.11973:
	s_getpc_b64 s[14:15]
.Lpost_getpc1890:
	s_add_u32 s14, s14, (.LBB1_6077-.Lpost_getpc1890)&4294967295
	s_addc_u32 s15, s15, (.LBB1_6077-.Lpost_getpc1890)>>32
	s_setpc_b64 s[14:15]
.LBB1_1981:
	s_or_saveexec_b64 s[6:7], s[6:7]
	v_mov_b32_e32 v16, s10
	s_xor_b64 exec, exec, s[6:7]
	s_cbranch_execz .LBB1_1982
; %bb.11975:
	s_getpc_b64 s[14:15]
.Lpost_getpc1891:
	s_add_u32 s14, s14, (.LBB1_6080-.Lpost_getpc1891)&4294967295
	s_addc_u32 s15, s15, (.LBB1_6080-.Lpost_getpc1891)>>32
	s_setpc_b64 s[14:15]
.LBB1_1982:
	s_or_b64 exec, exec, s[6:7]
	s_and_saveexec_b64 s[6:7], s[4:5]
	s_cbranch_execz .LBB1_1984
.LBB1_1983:
	v_bfe_u32 v16, v13, 24, 2
	v_ffbh_u32_e32 v23, v16
	v_min_u32_e32 v23, 32, v23
	v_lshrrev_b32_e32 v21, 26, v13
	v_subrev_u32_e32 v24, 29, v23
	v_and_b32_e32 v17, 0x80000000, v13
	v_and_b32_e32 v21, 31, v21
	v_bfe_u32 v22, v13, 26, 5
	v_lshlrev_b32_sdwa v13, v24, v13 dst_sel:DWORD dst_unused:UNUSED_PAD src0_sel:DWORD src1_sel:BYTE_3
	v_sub_u32_e32 v23, 30, v23
	v_and_b32_e32 v13, 3, v13
	v_cmp_eq_u16_e32 vcc, 0, v21
	v_cndmask_b32_e32 v13, v16, v13, vcc
	v_cndmask_b32_e32 v16, v22, v23, vcc
	v_mov_b32_e32 v21, 0x37800000
	v_lshlrev_b32_e32 v13, 21, v13
	v_lshl_add_u32 v16, v16, 23, v21
	v_or3_b32 v16, v17, v16, v13
.LBB1_1984:
	s_or_b64 exec, exec, s[6:7]
	s_nop 0
	v_mfma_f32_16x16x4f32 a[0:3], v12, v16, a[0:3]
	s_movk_i32 s4, 0x7f
	v_cmp_gt_i16_sdwa s[6:7], v18, s4 src0_sel:BYTE_0 src1_sel:DWORD
	s_mov_b64 s[4:5], 0
                                        ; implicit-def: $sgpr10
	s_and_saveexec_b64 s[8:9], s[6:7]
	s_xor_b64 s[6:7], exec, s[8:9]
	s_cbranch_execz .LBB1_1985
; %bb.11977:
	s_getpc_b64 s[14:15]
.Lpost_getpc1892:
	s_add_u32 s14, s14, (.LBB1_6081-.Lpost_getpc1892)&4294967295
	s_addc_u32 s15, s15, (.LBB1_6081-.Lpost_getpc1892)>>32
	s_setpc_b64 s[14:15]
.LBB1_1985:
	s_or_saveexec_b64 s[6:7], s[6:7]
	v_mov_b32_e32 v13, s10
	s_xor_b64 exec, exec, s[6:7]
	s_cbranch_execz .LBB1_1986
; %bb.11979:
	s_getpc_b64 s[14:15]
.Lpost_getpc1893:
	s_add_u32 s14, s14, (.LBB1_6084-.Lpost_getpc1893)&4294967295
	s_addc_u32 s15, s15, (.LBB1_6084-.Lpost_getpc1893)>>32
	s_setpc_b64 s[14:15]
.LBB1_1986:
	s_or_b64 exec, exec, s[6:7]
	s_and_saveexec_b64 s[6:7], s[4:5]
	s_cbranch_execz .LBB1_1988
.LBB1_1987:
	v_and_b32_e32 v12, 7, v18
	v_ffbh_u32_e32 v16, v12
	v_min_u32_e32 v16, 32, v16
	v_lshrrev_b16_e32 v13, 3, v18
	v_subrev_u32_e32 v17, 28, v16
	v_and_b32_e32 v13, 15, v13
	v_lshlrev_b32_e32 v17, v17, v18
	v_sub_u32_e32 v16, 29, v16
	v_and_b32_e32 v17, 7, v17
	v_cmp_eq_u16_e32 vcc, 0, v13
	v_cndmask_b32_e32 v12, v12, v17, vcc
	v_cndmask_b32_e32 v13, v13, v16, vcc
	v_lshlrev_b32_e32 v16, 24, v18
	v_mov_b32_e32 v17, 0x3b800000
	v_lshlrev_b32_e32 v12, 20, v12
	v_and_b32_e32 v16, 0x80000000, v16
	v_lshl_add_u32 v13, v13, 23, v17
	v_or3_b32 v13, v16, v13, v12
.LBB1_1988:
	s_or_b64 exec, exec, s[6:7]
	s_movk_i32 s4, 0xff
	v_mov_b32_e32 v12, 8
	v_or_b32_sdwa v16, v14, v20 dst_sel:DWORD dst_unused:UNUSED_PAD src0_sel:BYTE_0 src1_sel:DWORD
	v_lshlrev_b16_sdwa v12, v12, v14 dst_sel:DWORD dst_unused:UNUSED_PAD src0_sel:DWORD src1_sel:BYTE_3
	v_and_b32_sdwa v14, v14, s4 dst_sel:DWORD dst_unused:UNUSED_PAD src0_sel:WORD_1 src1_sel:DWORD
	s_movk_i32 s4, 0x7f
	v_or_b32_sdwa v12, v14, v12 dst_sel:WORD_1 dst_unused:UNUSED_PAD src0_sel:DWORD src1_sel:DWORD
	v_cmp_gt_i16_sdwa s[6:7], v16, s4 src0_sel:BYTE_0 src1_sel:DWORD
	s_mov_b64 s[4:5], 0
                                        ; implicit-def: $sgpr10
	s_and_saveexec_b64 s[8:9], s[6:7]
	s_xor_b64 s[6:7], exec, s[8:9]
	s_cbranch_execz .LBB1_1989
; %bb.11981:
	s_getpc_b64 s[14:15]
.Lpost_getpc1894:
	s_add_u32 s14, s14, (.LBB1_6085-.Lpost_getpc1894)&4294967295
	s_addc_u32 s15, s15, (.LBB1_6085-.Lpost_getpc1894)>>32
	s_setpc_b64 s[14:15]
.LBB1_1989:
	s_or_saveexec_b64 s[6:7], s[6:7]
	v_mov_b32_e32 v14, s10
	s_xor_b64 exec, exec, s[6:7]
	s_cbranch_execz .LBB1_1990
; %bb.11983:
	s_getpc_b64 s[14:15]
.Lpost_getpc1895:
	s_add_u32 s14, s14, (.LBB1_6088-.Lpost_getpc1895)&4294967295
	s_addc_u32 s15, s15, (.LBB1_6088-.Lpost_getpc1895)>>32
	s_setpc_b64 s[14:15]
.LBB1_1990:
	s_or_b64 exec, exec, s[6:7]
	v_or_b32_sdwa v12, v16, v12 dst_sel:DWORD dst_unused:UNUSED_PAD src0_sel:WORD_0 src1_sel:DWORD
	s_and_saveexec_b64 s[6:7], s[4:5]
	s_cbranch_execz .LBB1_1992
.LBB1_1991:
	v_and_b32_e32 v14, 3, v12
	v_ffbh_u32_e32 v17, v14
	v_min_u32_e32 v17, 32, v17
	v_lshrrev_b16_e32 v16, 2, v16
	v_subrev_u32_e32 v20, 29, v17
	v_and_b32_e32 v16, 31, v16
	v_lshlrev_b32_e32 v20, v20, v12
	v_sub_u32_e32 v17, 30, v17
	v_and_b32_e32 v20, 3, v20
	v_cmp_eq_u16_e32 vcc, 0, v16
	v_cndmask_b32_e32 v14, v14, v20, vcc
	v_cndmask_b32_e32 v16, v16, v17, vcc
	v_lshlrev_b32_e32 v17, 24, v12
	v_mov_b32_e32 v20, 0x37800000
	v_lshlrev_b32_e32 v14, 21, v14
	v_and_b32_e32 v17, 0x80000000, v17
	v_lshl_add_u32 v16, v16, 23, v20
	v_or3_b32 v14, v17, v16, v14
.LBB1_1992:
	s_or_b64 exec, exec, s[6:7]
	s_nop 0
	v_mfma_f32_16x16x4f32 a[0:3], v13, v14, a[0:3]
	v_lshrrev_b32_e32 v14, 8, v18
	s_movk_i32 s4, 0x7f
	v_cmp_gt_i16_sdwa s[6:7], v14, s4 src0_sel:BYTE_0 src1_sel:DWORD
	s_mov_b64 s[4:5], 0
                                        ; implicit-def: $sgpr10
	s_and_saveexec_b64 s[8:9], s[6:7]
	s_xor_b64 s[6:7], exec, s[8:9]
	s_cbranch_execz .LBB1_1993
; %bb.11985:
	s_getpc_b64 s[14:15]
.Lpost_getpc1896:
	s_add_u32 s14, s14, (.LBB1_6089-.Lpost_getpc1896)&4294967295
	s_addc_u32 s15, s15, (.LBB1_6089-.Lpost_getpc1896)>>32
	s_setpc_b64 s[14:15]
.LBB1_1993:
	s_or_saveexec_b64 s[6:7], s[6:7]
	v_mov_b32_e32 v13, s10
	s_xor_b64 exec, exec, s[6:7]
	s_cbranch_execz .LBB1_1994
; %bb.11987:
	s_getpc_b64 s[14:15]
.Lpost_getpc1897:
	s_add_u32 s14, s14, (.LBB1_6092-.Lpost_getpc1897)&4294967295
	s_addc_u32 s15, s15, (.LBB1_6092-.Lpost_getpc1897)>>32
	s_setpc_b64 s[14:15]
.LBB1_1994:
	s_or_b64 exec, exec, s[6:7]
	s_and_saveexec_b64 s[6:7], s[4:5]
	s_cbranch_execz .LBB1_1996
.LBB1_1995:
	v_bfe_u32 v13, v18, 8, 3
	v_ffbh_u32_e32 v17, v13
	v_min_u32_e32 v17, 32, v17
	v_lshrrev_b16_e32 v16, 3, v14
	v_subrev_u32_e32 v20, 28, v17
	v_and_b32_e32 v16, 15, v16
	v_lshlrev_b32_e32 v14, v20, v14
	v_sub_u32_e32 v17, 29, v17
	v_and_b32_e32 v14, 7, v14
	v_cmp_eq_u16_e32 vcc, 0, v16
	v_cndmask_b32_e32 v13, v13, v14, vcc
	v_cndmask_b32_e32 v14, v16, v17, vcc
	v_lshlrev_b32_e32 v16, 16, v18
	v_mov_b32_e32 v17, 0x3b800000
	v_lshlrev_b32_e32 v13, 20, v13
	v_and_b32_e32 v16, 0x80000000, v16
	v_lshl_add_u32 v14, v14, 23, v17
	v_or3_b32 v13, v16, v14, v13
.LBB1_1996:
	s_or_b64 exec, exec, s[6:7]
	v_lshrrev_b32_e32 v14, 8, v12
	s_movk_i32 s4, 0x7f
	v_cmp_gt_i16_sdwa s[6:7], v14, s4 src0_sel:BYTE_0 src1_sel:DWORD
	s_mov_b64 s[4:5], 0
                                        ; implicit-def: $sgpr10
	s_and_saveexec_b64 s[8:9], s[6:7]
	s_xor_b64 s[6:7], exec, s[8:9]
	s_cbranch_execz .LBB1_1997
; %bb.11989:
	s_getpc_b64 s[14:15]
.Lpost_getpc1898:
	s_add_u32 s14, s14, (.LBB1_6093-.Lpost_getpc1898)&4294967295
	s_addc_u32 s15, s15, (.LBB1_6093-.Lpost_getpc1898)>>32
	s_setpc_b64 s[14:15]
.LBB1_1997:
	s_or_saveexec_b64 s[6:7], s[6:7]
	v_mov_b32_e32 v16, s10
	s_xor_b64 exec, exec, s[6:7]
	s_cbranch_execz .LBB1_1998
; %bb.11991:
	s_getpc_b64 s[14:15]
.Lpost_getpc1899:
	s_add_u32 s14, s14, (.LBB1_6096-.Lpost_getpc1899)&4294967295
	s_addc_u32 s15, s15, (.LBB1_6096-.Lpost_getpc1899)>>32
	s_setpc_b64 s[14:15]
.LBB1_1998:
	s_or_b64 exec, exec, s[6:7]
	s_and_saveexec_b64 s[6:7], s[4:5]
	s_cbranch_execz .LBB1_2000
.LBB1_1999:
	v_bfe_u32 v16, v12, 8, 2
	v_ffbh_u32_e32 v20, v16
	v_min_u32_e32 v20, 32, v20
	v_lshrrev_b16_e32 v17, 2, v14
	v_subrev_u32_e32 v21, 29, v20
	v_and_b32_e32 v17, 31, v17
	v_lshlrev_b32_e32 v14, v21, v14
	v_sub_u32_e32 v20, 30, v20
	v_and_b32_e32 v14, 3, v14
	v_cmp_eq_u16_e32 vcc, 0, v17
	v_cndmask_b32_e32 v14, v16, v14, vcc
	v_cndmask_b32_e32 v16, v17, v20, vcc
	v_lshlrev_b32_e32 v17, 16, v12
	v_mov_b32_e32 v20, 0x37800000
	v_lshlrev_b32_e32 v14, 21, v14
	v_and_b32_e32 v17, 0x80000000, v17
	v_lshl_add_u32 v16, v16, 23, v20
	v_or3_b32 v16, v17, v16, v14
.LBB1_2000:
	s_or_b64 exec, exec, s[6:7]
	s_nop 0
	v_mfma_f32_16x16x4f32 a[0:3], v13, v16, a[0:3]
	s_movk_i32 s4, 0xff
	v_and_b32_sdwa v14, v18, s4 dst_sel:DWORD dst_unused:UNUSED_PAD src0_sel:WORD_1 src1_sel:DWORD
	s_movk_i32 s4, 0x7f
	v_cmp_lt_i16_e32 vcc, s4, v14
	s_mov_b64 s[4:5], 0
                                        ; implicit-def: $sgpr10
	s_and_saveexec_b64 s[6:7], vcc
	s_xor_b64 s[6:7], exec, s[6:7]
	s_cbranch_execz .LBB1_2001
; %bb.11993:
	s_getpc_b64 s[14:15]
.Lpost_getpc1900:
	s_add_u32 s14, s14, (.LBB1_6097-.Lpost_getpc1900)&4294967295
	s_addc_u32 s15, s15, (.LBB1_6097-.Lpost_getpc1900)>>32
	s_setpc_b64 s[14:15]
.LBB1_2001:
	s_or_saveexec_b64 s[6:7], s[6:7]
	v_mov_b32_e32 v13, s10
	s_xor_b64 exec, exec, s[6:7]
	s_cbranch_execz .LBB1_2002
; %bb.11995:
	s_getpc_b64 s[14:15]
.Lpost_getpc1901:
	s_add_u32 s14, s14, (.LBB1_6100-.Lpost_getpc1901)&4294967295
	s_addc_u32 s15, s15, (.LBB1_6100-.Lpost_getpc1901)>>32
	s_setpc_b64 s[14:15]
.LBB1_2002:
	s_or_b64 exec, exec, s[6:7]
	s_and_saveexec_b64 s[6:7], s[4:5]
	s_cbranch_execz .LBB1_2004
.LBB1_2003:
	v_bfe_u32 v13, v18, 16, 3
	v_ffbh_u32_e32 v17, v13
	v_min_u32_e32 v17, 32, v17
	v_lshrrev_b32_e32 v14, 19, v18
	v_subrev_u32_e32 v20, 28, v17
	v_and_b32_e32 v14, 15, v14
	v_lshlrev_b32_sdwa v20, v20, v18 dst_sel:DWORD dst_unused:UNUSED_PAD src0_sel:DWORD src1_sel:WORD_1
	v_bfe_u32 v16, v18, 19, 4
	v_sub_u32_e32 v17, 29, v17
	v_and_b32_e32 v20, 7, v20
	v_cmp_eq_u16_e32 vcc, 0, v14
	v_cndmask_b32_e32 v13, v13, v20, vcc
	v_cndmask_b32_e32 v14, v16, v17, vcc
	v_lshlrev_b32_e32 v16, 8, v18
	v_mov_b32_e32 v17, 0x3b800000
	v_lshlrev_b32_e32 v13, 20, v13
	v_and_b32_e32 v16, 0x80000000, v16
	v_lshl_add_u32 v14, v14, 23, v17
	v_or3_b32 v13, v16, v14, v13
.LBB1_2004:
	s_or_b64 exec, exec, s[6:7]
	s_movk_i32 s4, 0xff
	v_and_b32_sdwa v14, v12, s4 dst_sel:DWORD dst_unused:UNUSED_PAD src0_sel:WORD_1 src1_sel:DWORD
	s_movk_i32 s4, 0x7f
	v_cmp_lt_i16_e32 vcc, s4, v14
	s_mov_b64 s[4:5], 0
                                        ; implicit-def: $sgpr10
	s_and_saveexec_b64 s[6:7], vcc
	s_xor_b64 s[6:7], exec, s[6:7]
	s_cbranch_execz .LBB1_2005
; %bb.11997:
	s_getpc_b64 s[14:15]
.Lpost_getpc1902:
	s_add_u32 s14, s14, (.LBB1_6101-.Lpost_getpc1902)&4294967295
	s_addc_u32 s15, s15, (.LBB1_6101-.Lpost_getpc1902)>>32
	s_setpc_b64 s[14:15]
.LBB1_2005:
	s_or_saveexec_b64 s[6:7], s[6:7]
	v_mov_b32_e32 v16, s10
	s_xor_b64 exec, exec, s[6:7]
	s_cbranch_execz .LBB1_2006
; %bb.11999:
	s_getpc_b64 s[14:15]
.Lpost_getpc1903:
	s_add_u32 s14, s14, (.LBB1_6104-.Lpost_getpc1903)&4294967295
	s_addc_u32 s15, s15, (.LBB1_6104-.Lpost_getpc1903)>>32
	s_setpc_b64 s[14:15]
.LBB1_2006:
	s_or_b64 exec, exec, s[6:7]
	s_and_saveexec_b64 s[6:7], s[4:5]
	s_cbranch_execz .LBB1_2008
.LBB1_2007:
	v_bfe_u32 v14, v12, 16, 2
	v_ffbh_u32_e32 v20, v14
	v_min_u32_e32 v20, 32, v20
	v_lshrrev_b32_e32 v16, 18, v12
	v_subrev_u32_e32 v21, 29, v20
	v_and_b32_e32 v16, 31, v16
	v_lshlrev_b32_sdwa v21, v21, v12 dst_sel:DWORD dst_unused:UNUSED_PAD src0_sel:DWORD src1_sel:WORD_1
	v_bfe_u32 v17, v12, 18, 5
	v_sub_u32_e32 v20, 30, v20
	v_and_b32_e32 v21, 3, v21
	v_cmp_eq_u16_e32 vcc, 0, v16
	v_cndmask_b32_e32 v14, v14, v21, vcc
	v_cndmask_b32_e32 v16, v17, v20, vcc
	v_lshlrev_b32_e32 v17, 8, v12
	v_mov_b32_e32 v20, 0x37800000
	v_lshlrev_b32_e32 v14, 21, v14
	v_and_b32_e32 v17, 0x80000000, v17
	v_lshl_add_u32 v16, v16, 23, v20
	v_or3_b32 v16, v17, v16, v14
.LBB1_2008:
	s_or_b64 exec, exec, s[6:7]
	s_nop 0
	v_mfma_f32_16x16x4f32 a[0:3], v13, v16, a[0:3]
	s_movk_i32 s4, 0x7f
	v_cmp_gt_i16_sdwa s[6:7], v18, s4 src0_sel:BYTE_3 src1_sel:DWORD
	s_mov_b64 s[4:5], 0
                                        ; implicit-def: $sgpr10
	s_and_saveexec_b64 s[8:9], s[6:7]
	s_xor_b64 s[6:7], exec, s[8:9]
	s_cbranch_execz .LBB1_2009
; %bb.12001:
	s_getpc_b64 s[14:15]
.Lpost_getpc1904:
	s_add_u32 s14, s14, (.LBB1_6105-.Lpost_getpc1904)&4294967295
	s_addc_u32 s15, s15, (.LBB1_6105-.Lpost_getpc1904)>>32
	s_setpc_b64 s[14:15]
.LBB1_2009:
	s_or_saveexec_b64 s[6:7], s[6:7]
	v_mov_b32_e32 v13, s10
	s_xor_b64 exec, exec, s[6:7]
	s_cbranch_execz .LBB1_2010
; %bb.12003:
	s_getpc_b64 s[14:15]
.Lpost_getpc1905:
	s_add_u32 s14, s14, (.LBB1_6108-.Lpost_getpc1905)&4294967295
	s_addc_u32 s15, s15, (.LBB1_6108-.Lpost_getpc1905)>>32
	s_setpc_b64 s[14:15]
.LBB1_2010:
	s_or_b64 exec, exec, s[6:7]
	s_and_saveexec_b64 s[6:7], s[4:5]
	s_cbranch_execz .LBB1_2012
.LBB1_2011:
	v_bfe_u32 v13, v18, 24, 3
	v_ffbh_u32_e32 v20, v13
	v_min_u32_e32 v20, 32, v20
	v_lshrrev_b32_e32 v16, 27, v18
	v_subrev_u32_e32 v21, 28, v20
	v_and_b32_e32 v14, 0x80000000, v18
	v_and_b32_e32 v16, 15, v16
	v_bfe_u32 v17, v18, 27, 4
	v_lshlrev_b32_sdwa v18, v21, v18 dst_sel:DWORD dst_unused:UNUSED_PAD src0_sel:DWORD src1_sel:BYTE_3
	v_sub_u32_e32 v20, 29, v20
	v_and_b32_e32 v18, 7, v18
	v_cmp_eq_u16_e32 vcc, 0, v16
	v_cndmask_b32_e32 v13, v13, v18, vcc
	v_cndmask_b32_e32 v16, v17, v20, vcc
	v_mov_b32_e32 v17, 0x3b800000
	v_lshlrev_b32_e32 v13, 20, v13
	v_lshl_add_u32 v16, v16, 23, v17
	v_or3_b32 v13, v14, v16, v13
.LBB1_2012:
	s_or_b64 exec, exec, s[6:7]
	s_movk_i32 s4, 0x7f
	v_cmp_gt_i16_sdwa s[6:7], v12, s4 src0_sel:BYTE_3 src1_sel:DWORD
	s_mov_b64 s[4:5], 0
                                        ; implicit-def: $sgpr10
	s_and_saveexec_b64 s[8:9], s[6:7]
	s_xor_b64 s[6:7], exec, s[8:9]
	s_cbranch_execz .LBB1_2013
; %bb.12005:
	s_getpc_b64 s[14:15]
.Lpost_getpc1906:
	s_add_u32 s14, s14, (.LBB1_6109-.Lpost_getpc1906)&4294967295
	s_addc_u32 s15, s15, (.LBB1_6109-.Lpost_getpc1906)>>32
	s_setpc_b64 s[14:15]
.LBB1_2013:
	s_or_saveexec_b64 s[6:7], s[6:7]
	v_mov_b32_e32 v14, s10
	s_xor_b64 exec, exec, s[6:7]
	s_cbranch_execz .LBB1_2014
; %bb.12007:
	s_getpc_b64 s[14:15]
.Lpost_getpc1907:
	s_add_u32 s14, s14, (.LBB1_6112-.Lpost_getpc1907)&4294967295
	s_addc_u32 s15, s15, (.LBB1_6112-.Lpost_getpc1907)>>32
	s_setpc_b64 s[14:15]
.LBB1_2014:
	s_or_b64 exec, exec, s[6:7]
	s_and_saveexec_b64 s[6:7], s[4:5]
	s_cbranch_execz .LBB1_2016
.LBB1_2015:
	v_bfe_u32 v14, v12, 24, 2
	v_ffbh_u32_e32 v20, v14
	v_min_u32_e32 v20, 32, v20
	v_lshrrev_b32_e32 v17, 26, v12
	v_subrev_u32_e32 v21, 29, v20
	v_and_b32_e32 v16, 0x80000000, v12
	v_and_b32_e32 v17, 31, v17
	v_bfe_u32 v18, v12, 26, 5
	v_lshlrev_b32_sdwa v12, v21, v12 dst_sel:DWORD dst_unused:UNUSED_PAD src0_sel:DWORD src1_sel:BYTE_3
	v_sub_u32_e32 v20, 30, v20
	v_and_b32_e32 v12, 3, v12
	v_cmp_eq_u16_e32 vcc, 0, v17
	v_cndmask_b32_e32 v12, v14, v12, vcc
	v_cndmask_b32_e32 v14, v18, v20, vcc
	v_mov_b32_e32 v17, 0x37800000
	v_lshlrev_b32_e32 v12, 21, v12
	v_lshl_add_u32 v14, v14, 23, v17
	v_or3_b32 v14, v16, v14, v12
.LBB1_2016:
	s_or_b64 exec, exec, s[6:7]
	s_nop 0
	v_mfma_f32_16x16x4f32 a[0:3], v13, v14, a[0:3]
	s_movk_i32 s4, 0x7f
	v_cmp_gt_i16_sdwa s[6:7], v19, s4 src0_sel:BYTE_0 src1_sel:DWORD
	s_mov_b64 s[4:5], 0
                                        ; implicit-def: $sgpr10
	s_and_saveexec_b64 s[8:9], s[6:7]
	s_xor_b64 s[6:7], exec, s[8:9]
	s_cbranch_execz .LBB1_2017
; %bb.12009:
	s_getpc_b64 s[14:15]
.Lpost_getpc1908:
	s_add_u32 s14, s14, (.LBB1_6113-.Lpost_getpc1908)&4294967295
	s_addc_u32 s15, s15, (.LBB1_6113-.Lpost_getpc1908)>>32
	s_setpc_b64 s[14:15]
.LBB1_2017:
	s_or_saveexec_b64 s[6:7], s[6:7]
	v_mov_b32_e32 v12, s10
	s_xor_b64 exec, exec, s[6:7]
	s_cbranch_execz .LBB1_2018
; %bb.12011:
	s_getpc_b64 s[14:15]
.Lpost_getpc1909:
	s_add_u32 s14, s14, (.LBB1_6116-.Lpost_getpc1909)&4294967295
	s_addc_u32 s15, s15, (.LBB1_6116-.Lpost_getpc1909)>>32
	s_setpc_b64 s[14:15]
.LBB1_2018:
	s_or_b64 exec, exec, s[6:7]
	s_and_saveexec_b64 s[6:7], s[4:5]
	s_cbranch_execz .LBB1_2020
.LBB1_2019:
	v_mov_b32_e32 v12, 8
	v_and_b32_e32 v13, 7, v19
	v_lshrrev_b32_sdwa v12, v12, v19 dst_sel:BYTE_1 dst_unused:UNUSED_PAD src0_sel:DWORD src1_sel:DWORD
	v_ffbh_u32_e32 v14, v13
	v_or_b32_sdwa v12, v19, v12 dst_sel:DWORD dst_unused:UNUSED_PAD src0_sel:BYTE_0 src1_sel:DWORD
	v_min_u32_e32 v14, 32, v14
	v_lshrrev_b16_e32 v12, 3, v12
	v_subrev_u32_e32 v16, 28, v14
	v_and_b32_e32 v12, 15, v12
	v_lshlrev_b32_e32 v16, v16, v19
	v_sub_u32_e32 v14, 29, v14
	v_and_b32_e32 v16, 7, v16
	v_cmp_eq_u16_e32 vcc, 0, v12
	v_cndmask_b32_e32 v13, v13, v16, vcc
	v_cndmask_b32_e32 v12, v12, v14, vcc
	v_lshlrev_b32_e32 v14, 24, v19
	v_mov_b32_e32 v16, 0x3b800000
	v_lshlrev_b32_e32 v13, 20, v13
	v_and_b32_e32 v14, 0x80000000, v14
	v_lshl_add_u32 v12, v12, 23, v16
	v_or3_b32 v12, v14, v12, v13
.LBB1_2020:
	s_or_b64 exec, exec, s[6:7]
	s_movk_i32 s4, 0x7f
	v_cmp_gt_i16_sdwa s[6:7], v15, s4 src0_sel:BYTE_0 src1_sel:DWORD
	s_mov_b64 s[4:5], 0
                                        ; implicit-def: $sgpr10
	s_and_saveexec_b64 s[8:9], s[6:7]
	s_xor_b64 s[6:7], exec, s[8:9]
	s_cbranch_execz .LBB1_2021
; %bb.12013:
	s_getpc_b64 s[14:15]
.Lpost_getpc1910:
	s_add_u32 s14, s14, (.LBB1_6117-.Lpost_getpc1910)&4294967295
	s_addc_u32 s15, s15, (.LBB1_6117-.Lpost_getpc1910)>>32
	s_setpc_b64 s[14:15]
.LBB1_2021:
	s_or_saveexec_b64 s[6:7], s[6:7]
	v_mov_b32_e32 v13, s10
	s_xor_b64 exec, exec, s[6:7]
	s_cbranch_execz .LBB1_2022
; %bb.12015:
	s_getpc_b64 s[14:15]
.Lpost_getpc1911:
	s_add_u32 s14, s14, (.LBB1_6120-.Lpost_getpc1911)&4294967295
	s_addc_u32 s15, s15, (.LBB1_6120-.Lpost_getpc1911)>>32
	s_setpc_b64 s[14:15]
.LBB1_2022:
	s_or_b64 exec, exec, s[6:7]
	s_and_saveexec_b64 s[6:7], s[4:5]
	s_cbranch_execz .LBB1_2024
.LBB1_2023:
	v_and_b32_e32 v13, 3, v15
	v_ffbh_u32_e32 v16, v13
	v_min_u32_e32 v16, 32, v16
	v_lshrrev_b16_e32 v14, 2, v15
	v_subrev_u32_e32 v17, 29, v16
	v_and_b32_e32 v14, 31, v14
	v_lshlrev_b32_e32 v17, v17, v15
	v_sub_u32_e32 v16, 30, v16
	v_and_b32_e32 v17, 3, v17
	v_cmp_eq_u16_e32 vcc, 0, v14
	v_cndmask_b32_e32 v13, v13, v17, vcc
	v_cndmask_b32_e32 v14, v14, v16, vcc
	v_lshlrev_b32_e32 v16, 24, v15
	v_mov_b32_e32 v17, 0x37800000
	v_lshlrev_b32_e32 v13, 21, v13
	v_and_b32_e32 v16, 0x80000000, v16
	v_lshl_add_u32 v14, v14, 23, v17
	v_or3_b32 v13, v16, v14, v13
.LBB1_2024:
	s_or_b64 exec, exec, s[6:7]
	s_nop 0
	v_mfma_f32_16x16x4f32 a[0:3], v12, v13, a[0:3]
	v_lshrrev_b32_e32 v13, 8, v19
	s_movk_i32 s4, 0x7f
	v_cmp_gt_i16_sdwa s[6:7], v13, s4 src0_sel:BYTE_0 src1_sel:DWORD
	s_mov_b64 s[4:5], 0
                                        ; implicit-def: $sgpr10
	s_and_saveexec_b64 s[8:9], s[6:7]
	s_xor_b64 s[6:7], exec, s[8:9]
	s_cbranch_execz .LBB1_2025
; %bb.12017:
	s_getpc_b64 s[14:15]
.Lpost_getpc1912:
	s_add_u32 s14, s14, (.LBB1_6121-.Lpost_getpc1912)&4294967295
	s_addc_u32 s15, s15, (.LBB1_6121-.Lpost_getpc1912)>>32
	s_setpc_b64 s[14:15]
.LBB1_2025:
	s_or_saveexec_b64 s[6:7], s[6:7]
	v_mov_b32_e32 v12, s10
	s_xor_b64 exec, exec, s[6:7]
	s_cbranch_execz .LBB1_2026
; %bb.12019:
	s_getpc_b64 s[14:15]
.Lpost_getpc1913:
	s_add_u32 s14, s14, (.LBB1_6124-.Lpost_getpc1913)&4294967295
	s_addc_u32 s15, s15, (.LBB1_6124-.Lpost_getpc1913)>>32
	s_setpc_b64 s[14:15]
.LBB1_2026:
	s_or_b64 exec, exec, s[6:7]
	s_and_saveexec_b64 s[6:7], s[4:5]
	s_cbranch_execz .LBB1_2028
.LBB1_2027:
	v_bfe_u32 v12, v19, 8, 3
	v_ffbh_u32_e32 v16, v12
	v_min_u32_e32 v16, 32, v16
	v_lshrrev_b16_e32 v14, 3, v13
	v_subrev_u32_e32 v17, 28, v16
	v_and_b32_e32 v14, 15, v14
	v_lshlrev_b32_e32 v13, v17, v13
	v_sub_u32_e32 v16, 29, v16
	v_and_b32_e32 v13, 7, v13
	v_cmp_eq_u16_e32 vcc, 0, v14
	v_cndmask_b32_e32 v12, v12, v13, vcc
	v_cndmask_b32_e32 v13, v14, v16, vcc
	v_lshlrev_b32_e32 v14, 16, v19
	v_mov_b32_e32 v16, 0x3b800000
	v_lshlrev_b32_e32 v12, 20, v12
	v_and_b32_e32 v14, 0x80000000, v14
	v_lshl_add_u32 v13, v13, 23, v16
	v_or3_b32 v12, v14, v13, v12
.LBB1_2028:
	s_or_b64 exec, exec, s[6:7]
	v_lshrrev_b32_e32 v13, 8, v15
	s_movk_i32 s4, 0x7f
	v_cmp_gt_i16_sdwa s[6:7], v13, s4 src0_sel:BYTE_0 src1_sel:DWORD
	s_mov_b64 s[4:5], 0
                                        ; implicit-def: $sgpr10
	s_and_saveexec_b64 s[8:9], s[6:7]
	s_xor_b64 s[6:7], exec, s[8:9]
	s_cbranch_execz .LBB1_2029
; %bb.12021:
	s_getpc_b64 s[14:15]
.Lpost_getpc1914:
	s_add_u32 s14, s14, (.LBB1_6125-.Lpost_getpc1914)&4294967295
	s_addc_u32 s15, s15, (.LBB1_6125-.Lpost_getpc1914)>>32
	s_setpc_b64 s[14:15]
.LBB1_2029:
	s_or_saveexec_b64 s[6:7], s[6:7]
	v_mov_b32_e32 v14, s10
	s_xor_b64 exec, exec, s[6:7]
	s_cbranch_execz .LBB1_2030
; %bb.12023:
	s_getpc_b64 s[14:15]
.Lpost_getpc1915:
	s_add_u32 s14, s14, (.LBB1_6128-.Lpost_getpc1915)&4294967295
	s_addc_u32 s15, s15, (.LBB1_6128-.Lpost_getpc1915)>>32
	s_setpc_b64 s[14:15]
.LBB1_2030:
	s_or_b64 exec, exec, s[6:7]
	s_and_saveexec_b64 s[6:7], s[4:5]
	s_cbranch_execz .LBB1_2032
.LBB1_2031:
	v_bfe_u32 v14, v15, 8, 2
	v_ffbh_u32_e32 v17, v14
	v_min_u32_e32 v17, 32, v17
	v_lshrrev_b16_e32 v16, 2, v13
	v_subrev_u32_e32 v18, 29, v17
	v_and_b32_e32 v16, 31, v16
	v_lshlrev_b32_e32 v13, v18, v13
	v_sub_u32_e32 v17, 30, v17
	v_and_b32_e32 v13, 3, v13
	v_cmp_eq_u16_e32 vcc, 0, v16
	v_cndmask_b32_e32 v13, v14, v13, vcc
	v_cndmask_b32_e32 v14, v16, v17, vcc
	v_lshlrev_b32_e32 v16, 16, v15
	v_mov_b32_e32 v17, 0x37800000
	v_lshlrev_b32_e32 v13, 21, v13
	v_and_b32_e32 v16, 0x80000000, v16
	v_lshl_add_u32 v14, v14, 23, v17
	v_or3_b32 v14, v16, v14, v13
.LBB1_2032:
	s_or_b64 exec, exec, s[6:7]
	s_nop 0
	v_mfma_f32_16x16x4f32 a[0:3], v12, v14, a[0:3]
	s_movk_i32 s4, 0xff
	v_and_b32_sdwa v13, v19, s4 dst_sel:DWORD dst_unused:UNUSED_PAD src0_sel:WORD_1 src1_sel:DWORD
	s_movk_i32 s4, 0x7f
	v_cmp_lt_i16_e32 vcc, s4, v13
	s_mov_b64 s[4:5], 0
                                        ; implicit-def: $sgpr10
	s_and_saveexec_b64 s[6:7], vcc
	s_xor_b64 s[6:7], exec, s[6:7]
	s_cbranch_execz .LBB1_2033
; %bb.12025:
	s_getpc_b64 s[14:15]
.Lpost_getpc1916:
	s_add_u32 s14, s14, (.LBB1_6129-.Lpost_getpc1916)&4294967295
	s_addc_u32 s15, s15, (.LBB1_6129-.Lpost_getpc1916)>>32
	s_setpc_b64 s[14:15]
.LBB1_2033:
	s_or_saveexec_b64 s[6:7], s[6:7]
	v_mov_b32_e32 v12, s10
	s_xor_b64 exec, exec, s[6:7]
	s_cbranch_execz .LBB1_2034
; %bb.12027:
	s_getpc_b64 s[14:15]
.Lpost_getpc1917:
	s_add_u32 s14, s14, (.LBB1_6132-.Lpost_getpc1917)&4294967295
	s_addc_u32 s15, s15, (.LBB1_6132-.Lpost_getpc1917)>>32
	s_setpc_b64 s[14:15]
.LBB1_2034:
	s_or_b64 exec, exec, s[6:7]
	s_and_saveexec_b64 s[6:7], s[4:5]
	s_cbranch_execz .LBB1_2036
.LBB1_2035:
	v_bfe_u32 v12, v19, 16, 3
	v_ffbh_u32_e32 v16, v12
	v_min_u32_e32 v16, 32, v16
	v_lshrrev_b32_e32 v13, 19, v19
	v_subrev_u32_e32 v17, 28, v16
	v_and_b32_e32 v13, 15, v13
	v_lshlrev_b32_sdwa v17, v17, v19 dst_sel:DWORD dst_unused:UNUSED_PAD src0_sel:DWORD src1_sel:WORD_1
	v_bfe_u32 v14, v19, 19, 4
	v_sub_u32_e32 v16, 29, v16
	v_and_b32_e32 v17, 7, v17
	v_cmp_eq_u16_e32 vcc, 0, v13
	v_cndmask_b32_e32 v12, v12, v17, vcc
	v_cndmask_b32_e32 v13, v14, v16, vcc
	v_lshlrev_b32_e32 v14, 8, v19
	v_mov_b32_e32 v16, 0x3b800000
	v_lshlrev_b32_e32 v12, 20, v12
	v_and_b32_e32 v14, 0x80000000, v14
	v_lshl_add_u32 v13, v13, 23, v16
	v_or3_b32 v12, v14, v13, v12
.LBB1_2036:
	s_or_b64 exec, exec, s[6:7]
	s_movk_i32 s4, 0xff
	v_and_b32_sdwa v13, v15, s4 dst_sel:DWORD dst_unused:UNUSED_PAD src0_sel:WORD_1 src1_sel:DWORD
	s_movk_i32 s4, 0x7f
	v_cmp_lt_i16_e32 vcc, s4, v13
	s_mov_b64 s[4:5], 0
                                        ; implicit-def: $sgpr10
	s_and_saveexec_b64 s[6:7], vcc
	s_xor_b64 s[6:7], exec, s[6:7]
	s_cbranch_execz .LBB1_2037
; %bb.12029:
	s_getpc_b64 s[14:15]
.Lpost_getpc1918:
	s_add_u32 s14, s14, (.LBB1_6133-.Lpost_getpc1918)&4294967295
	s_addc_u32 s15, s15, (.LBB1_6133-.Lpost_getpc1918)>>32
	s_setpc_b64 s[14:15]
.LBB1_2037:
	s_or_saveexec_b64 s[6:7], s[6:7]
	v_mov_b32_e32 v14, s10
	s_xor_b64 exec, exec, s[6:7]
	s_cbranch_execz .LBB1_2038
; %bb.12031:
	s_getpc_b64 s[14:15]
.Lpost_getpc1919:
	s_add_u32 s14, s14, (.LBB1_6136-.Lpost_getpc1919)&4294967295
	s_addc_u32 s15, s15, (.LBB1_6136-.Lpost_getpc1919)>>32
	s_setpc_b64 s[14:15]
.LBB1_2038:
	s_or_b64 exec, exec, s[6:7]
	s_and_saveexec_b64 s[6:7], s[4:5]
	s_cbranch_execz .LBB1_2040
.LBB1_2039:
	v_bfe_u32 v13, v15, 16, 2
	v_ffbh_u32_e32 v17, v13
	v_min_u32_e32 v17, 32, v17
	v_lshrrev_b32_e32 v14, 18, v15
	v_subrev_u32_e32 v18, 29, v17
	v_and_b32_e32 v14, 31, v14
	v_lshlrev_b32_sdwa v18, v18, v15 dst_sel:DWORD dst_unused:UNUSED_PAD src0_sel:DWORD src1_sel:WORD_1
	v_bfe_u32 v16, v15, 18, 5
	v_sub_u32_e32 v17, 30, v17
	v_and_b32_e32 v18, 3, v18
	v_cmp_eq_u16_e32 vcc, 0, v14
	v_cndmask_b32_e32 v13, v13, v18, vcc
	v_cndmask_b32_e32 v14, v16, v17, vcc
	v_lshlrev_b32_e32 v16, 8, v15
	v_mov_b32_e32 v17, 0x37800000
	v_lshlrev_b32_e32 v13, 21, v13
	v_and_b32_e32 v16, 0x80000000, v16
	v_lshl_add_u32 v14, v14, 23, v17
	v_or3_b32 v14, v16, v14, v13
.LBB1_2040:
	s_or_b64 exec, exec, s[6:7]
	s_nop 0
	v_mfma_f32_16x16x4f32 a[0:3], v12, v14, a[0:3]
	s_movk_i32 s4, 0x7f
	v_cmp_gt_i16_sdwa s[6:7], v19, s4 src0_sel:BYTE_3 src1_sel:DWORD
	s_mov_b64 s[4:5], 0
                                        ; implicit-def: $sgpr10
	s_and_saveexec_b64 s[8:9], s[6:7]
	s_xor_b64 s[6:7], exec, s[8:9]
	s_cbranch_execz .LBB1_2041
; %bb.12033:
	s_getpc_b64 s[14:15]
.Lpost_getpc1920:
	s_add_u32 s14, s14, (.LBB1_6137-.Lpost_getpc1920)&4294967295
	s_addc_u32 s15, s15, (.LBB1_6137-.Lpost_getpc1920)>>32
	s_setpc_b64 s[14:15]
.LBB1_2041:
	s_or_saveexec_b64 s[6:7], s[6:7]
	v_mov_b32_e32 v12, s10
	s_xor_b64 exec, exec, s[6:7]
	s_cbranch_execz .LBB1_2042
; %bb.12035:
	s_getpc_b64 s[14:15]
.Lpost_getpc1921:
	s_add_u32 s14, s14, (.LBB1_6140-.Lpost_getpc1921)&4294967295
	s_addc_u32 s15, s15, (.LBB1_6140-.Lpost_getpc1921)>>32
	s_setpc_b64 s[14:15]
.LBB1_2042:
	s_or_b64 exec, exec, s[6:7]
	s_and_saveexec_b64 s[6:7], s[4:5]
	s_cbranch_execz .LBB1_2044
.LBB1_2043:
	v_bfe_u32 v12, v19, 24, 3
	v_ffbh_u32_e32 v17, v12
	v_min_u32_e32 v17, 32, v17
	v_lshrrev_b32_e32 v14, 27, v19
	v_subrev_u32_e32 v18, 28, v17
	v_and_b32_e32 v14, 15, v14
	v_lshlrev_b32_sdwa v18, v18, v19 dst_sel:DWORD dst_unused:UNUSED_PAD src0_sel:DWORD src1_sel:BYTE_3
	v_bfe_u32 v16, v19, 27, 4
	v_sub_u32_e32 v17, 29, v17
	v_and_b32_e32 v18, 7, v18
	v_cmp_eq_u16_e32 vcc, 0, v14
	v_cndmask_b32_e32 v12, v12, v18, vcc
	v_cndmask_b32_e32 v14, v16, v17, vcc
	v_mov_b32_e32 v16, 0x3b800000
	v_and_b32_e32 v13, 0x80000000, v19
	v_lshlrev_b32_e32 v12, 20, v12
	v_lshl_add_u32 v14, v14, 23, v16
	v_or3_b32 v12, v13, v14, v12
.LBB1_2044:
	s_or_b64 exec, exec, s[6:7]
	s_movk_i32 s4, 0x7f
	v_cmp_gt_i16_sdwa s[6:7], v15, s4 src0_sel:BYTE_3 src1_sel:DWORD
	s_mov_b64 s[4:5], 0
                                        ; implicit-def: $sgpr10
	s_and_saveexec_b64 s[8:9], s[6:7]
	s_xor_b64 s[6:7], exec, s[8:9]
	s_cbranch_execz .LBB1_2045
; %bb.12037:
	s_getpc_b64 s[14:15]
.Lpost_getpc1922:
	s_add_u32 s14, s14, (.LBB1_6141-.Lpost_getpc1922)&4294967295
	s_addc_u32 s15, s15, (.LBB1_6141-.Lpost_getpc1922)>>32
	s_setpc_b64 s[14:15]
.LBB1_2045:
	s_or_saveexec_b64 s[6:7], s[6:7]
	v_mov_b32_e32 v13, s10
	s_xor_b64 exec, exec, s[6:7]
	s_cbranch_execz .LBB1_2046
; %bb.12039:
	s_getpc_b64 s[14:15]
.Lpost_getpc1923:
	s_add_u32 s14, s14, (.LBB1_6144-.Lpost_getpc1923)&4294967295
	s_addc_u32 s15, s15, (.LBB1_6144-.Lpost_getpc1923)>>32
	s_setpc_b64 s[14:15]
.LBB1_2046:
	s_or_b64 exec, exec, s[6:7]
	s_and_saveexec_b64 s[6:7], s[4:5]
	s_cbranch_execz .LBB1_2048
.LBB1_2047:
	v_bfe_u32 v13, v15, 24, 2
	v_ffbh_u32_e32 v18, v13
	v_min_u32_e32 v18, 32, v18
	v_lshrrev_b32_e32 v16, 26, v15
	v_subrev_u32_e32 v19, 29, v18
	v_and_b32_e32 v14, 0x80000000, v15
	v_and_b32_e32 v16, 31, v16
	v_bfe_u32 v17, v15, 26, 5
	v_lshlrev_b32_sdwa v15, v19, v15 dst_sel:DWORD dst_unused:UNUSED_PAD src0_sel:DWORD src1_sel:BYTE_3
	v_sub_u32_e32 v18, 30, v18
	v_and_b32_e32 v15, 3, v15
	v_cmp_eq_u16_e32 vcc, 0, v16
	v_cndmask_b32_e32 v13, v13, v15, vcc
	v_cndmask_b32_e32 v15, v17, v18, vcc
	v_mov_b32_e32 v16, 0x37800000
	v_lshlrev_b32_e32 v13, 21, v13
	v_lshl_add_u32 v15, v15, 23, v16
	v_or3_b32 v13, v14, v15, v13
.LBB1_2048:
	s_or_b64 exec, exec, s[6:7]
	s_nop 0
	v_mfma_f32_16x16x4f32 a[0:3], v12, v13, a[0:3]
	v_mov_b32_e32 v16, 8
	s_movk_i32 s4, 0x7f
                                        ; implicit-def: $sgpr10
	s_nop 7
	s_nop 0
	flat_store_dwordx4 v[10:11], a[0:3] offset:240
	flat_load_dword v14, v[0:1] offset:512
	flat_load_dwordx2 v[12:13], v[2:3]
	s_waitcnt vmcnt(0) lgkmcnt(0)
	v_ashrrev_i32_e32 v15, 31, v14
	v_add_co_u32_e32 v12, vcc, v12, v14
	v_addc_co_u32_e32 v13, vcc, v13, v15, vcc
	flat_load_dwordx4 v[12:15], v[12:13] offset:2048
	s_waitcnt vmcnt(0) lgkmcnt(0)
	flat_store_dwordx4 v[4:5], v[12:15]
	flat_load_dword v14, v[0:1] offset:544
	s_nop 0
	flat_load_dwordx2 v[12:13], v[6:7]
	s_waitcnt vmcnt(0) lgkmcnt(0)
	v_ashrrev_i32_e32 v15, 31, v14
	v_add_co_u32_e32 v12, vcc, v12, v14
	v_addc_co_u32_e32 v13, vcc, v13, v15, vcc
	flat_load_dwordx4 v[12:15], v[12:13]
	s_waitcnt vmcnt(0) lgkmcnt(0)
	v_lshrrev_b32_sdwa v20, v16, v14 dst_sel:BYTE_1 dst_unused:UNUSED_PAD src0_sel:DWORD src1_sel:DWORD
	flat_store_dwordx4 v[8:9], v[12:15]
	flat_load_dwordx4 v[16:19], v[4:5]
	s_waitcnt vmcnt(0) lgkmcnt(0)
	v_cmp_gt_i16_sdwa s[6:7], v16, s4 src0_sel:BYTE_0 src1_sel:DWORD
	s_mov_b64 s[4:5], 0
	s_and_saveexec_b64 s[8:9], s[6:7]
	s_xor_b64 s[6:7], exec, s[8:9]
	s_cbranch_execz .LBB1_2049
; %bb.12041:
	s_getpc_b64 s[14:15]
.Lpost_getpc1924:
	s_add_u32 s14, s14, (.LBB1_6145-.Lpost_getpc1924)&4294967295
	s_addc_u32 s15, s15, (.LBB1_6145-.Lpost_getpc1924)>>32
	s_setpc_b64 s[14:15]
.LBB1_2049:
	s_or_saveexec_b64 s[6:7], s[6:7]
	v_mov_b32_e32 v21, s10
	s_xor_b64 exec, exec, s[6:7]
	s_cbranch_execz .LBB1_2050
; %bb.12043:
	s_getpc_b64 s[14:15]
.Lpost_getpc1925:
	s_add_u32 s14, s14, (.LBB1_6148-.Lpost_getpc1925)&4294967295
	s_addc_u32 s15, s15, (.LBB1_6148-.Lpost_getpc1925)>>32
	s_setpc_b64 s[14:15]
.LBB1_2050:
	s_or_b64 exec, exec, s[6:7]
	s_and_saveexec_b64 s[6:7], s[4:5]
	s_cbranch_execz .LBB1_2052
.LBB1_2051:
	v_and_b32_e32 v21, 7, v16
	v_ffbh_u32_e32 v23, v21
	v_min_u32_e32 v23, 32, v23
	v_lshrrev_b16_e32 v22, 3, v16
	v_subrev_u32_e32 v24, 28, v23
	v_and_b32_e32 v22, 15, v22
	v_lshlrev_b32_e32 v24, v24, v16
	v_sub_u32_e32 v23, 29, v23
	v_and_b32_e32 v24, 7, v24
	v_cmp_eq_u16_e32 vcc, 0, v22
	v_cndmask_b32_e32 v21, v21, v24, vcc
	v_cndmask_b32_e32 v22, v22, v23, vcc
	v_lshlrev_b32_e32 v23, 24, v16
	v_mov_b32_e32 v24, 0x3b800000
	v_lshlrev_b32_e32 v21, 20, v21
	v_and_b32_e32 v23, 0x80000000, v23
	v_lshl_add_u32 v22, v22, 23, v24
	v_or3_b32 v21, v23, v22, v21
.LBB1_2052:
	s_or_b64 exec, exec, s[6:7]
	s_movk_i32 s4, 0x7f
	v_cmp_gt_i16_sdwa s[6:7], v12, s4 src0_sel:BYTE_0 src1_sel:DWORD
	s_mov_b64 s[4:5], 0
                                        ; implicit-def: $sgpr10
	s_and_saveexec_b64 s[8:9], s[6:7]
	s_xor_b64 s[6:7], exec, s[8:9]
	s_cbranch_execz .LBB1_2053
; %bb.12045:
	s_getpc_b64 s[14:15]
.Lpost_getpc1926:
	s_add_u32 s14, s14, (.LBB1_6149-.Lpost_getpc1926)&4294967295
	s_addc_u32 s15, s15, (.LBB1_6149-.Lpost_getpc1926)>>32
	s_setpc_b64 s[14:15]
.LBB1_2053:
	s_or_saveexec_b64 s[6:7], s[6:7]
	v_mov_b32_e32 v22, s10
	s_xor_b64 exec, exec, s[6:7]
	s_cbranch_execz .LBB1_2054
; %bb.12047:
	s_getpc_b64 s[14:15]
.Lpost_getpc1927:
	s_add_u32 s14, s14, (.LBB1_6152-.Lpost_getpc1927)&4294967295
	s_addc_u32 s15, s15, (.LBB1_6152-.Lpost_getpc1927)>>32
	s_setpc_b64 s[14:15]
.LBB1_2054:
	s_or_b64 exec, exec, s[6:7]
	s_and_saveexec_b64 s[6:7], s[4:5]
	s_cbranch_execz .LBB1_2056
.LBB1_2055:
	v_and_b32_e32 v22, 3, v12
	v_ffbh_u32_e32 v24, v22
	v_min_u32_e32 v24, 32, v24
	v_lshrrev_b16_e32 v23, 2, v12
	v_subrev_u32_e32 v25, 29, v24
	v_and_b32_e32 v23, 31, v23
	v_lshlrev_b32_e32 v25, v25, v12
	v_sub_u32_e32 v24, 30, v24
	v_and_b32_e32 v25, 3, v25
	v_cmp_eq_u16_e32 vcc, 0, v23
	v_cndmask_b32_e32 v22, v22, v25, vcc
	v_cndmask_b32_e32 v23, v23, v24, vcc
	v_lshlrev_b32_e32 v24, 24, v12
	v_mov_b32_e32 v25, 0x37800000
	v_lshlrev_b32_e32 v22, 21, v22
	v_and_b32_e32 v24, 0x80000000, v24
	v_lshl_add_u32 v23, v23, 23, v25
	v_or3_b32 v22, v24, v23, v22
.LBB1_2056:
	s_or_b64 exec, exec, s[6:7]
	flat_load_dwordx4 a[0:3], v[10:11] offset:256
	s_movk_i32 s4, 0x7f
                                        ; implicit-def: $sgpr10
	s_waitcnt vmcnt(0) lgkmcnt(0)
	v_mfma_f32_16x16x4f32 a[0:3], v21, v22, a[0:3]
	v_lshrrev_b32_e32 v22, 8, v16
	v_cmp_gt_i16_sdwa s[6:7], v22, s4 src0_sel:BYTE_0 src1_sel:DWORD
	s_mov_b64 s[4:5], 0
	s_and_saveexec_b64 s[8:9], s[6:7]
	s_xor_b64 s[6:7], exec, s[8:9]
	s_cbranch_execz .LBB1_2057
; %bb.12049:
	s_getpc_b64 s[14:15]
.Lpost_getpc1928:
	s_add_u32 s14, s14, (.LBB1_6153-.Lpost_getpc1928)&4294967295
	s_addc_u32 s15, s15, (.LBB1_6153-.Lpost_getpc1928)>>32
	s_setpc_b64 s[14:15]
.LBB1_2057:
	s_or_saveexec_b64 s[6:7], s[6:7]
	v_mov_b32_e32 v21, s10
	s_xor_b64 exec, exec, s[6:7]
	s_cbranch_execz .LBB1_2058
; %bb.12051:
	s_getpc_b64 s[14:15]
.Lpost_getpc1929:
	s_add_u32 s14, s14, (.LBB1_6156-.Lpost_getpc1929)&4294967295
	s_addc_u32 s15, s15, (.LBB1_6156-.Lpost_getpc1929)>>32
	s_setpc_b64 s[14:15]
.LBB1_2058:
	s_or_b64 exec, exec, s[6:7]
	s_and_saveexec_b64 s[6:7], s[4:5]
	s_cbranch_execz .LBB1_2060
.LBB1_2059:
	v_bfe_u32 v21, v16, 8, 3
	v_ffbh_u32_e32 v24, v21
	v_min_u32_e32 v24, 32, v24
	v_lshrrev_b16_e32 v23, 3, v22
	v_subrev_u32_e32 v25, 28, v24
	v_and_b32_e32 v23, 15, v23
	v_lshlrev_b32_e32 v22, v25, v22
	v_sub_u32_e32 v24, 29, v24
	v_and_b32_e32 v22, 7, v22
	v_cmp_eq_u16_e32 vcc, 0, v23
	v_cndmask_b32_e32 v21, v21, v22, vcc
	v_cndmask_b32_e32 v22, v23, v24, vcc
	v_lshlrev_b32_e32 v23, 16, v16
	v_mov_b32_e32 v24, 0x3b800000
	v_lshlrev_b32_e32 v21, 20, v21
	v_and_b32_e32 v23, 0x80000000, v23
	v_lshl_add_u32 v22, v22, 23, v24
	v_or3_b32 v21, v23, v22, v21
.LBB1_2060:
	s_or_b64 exec, exec, s[6:7]
	v_lshrrev_b32_e32 v22, 8, v12
	s_movk_i32 s4, 0x7f
	v_cmp_gt_i16_sdwa s[6:7], v22, s4 src0_sel:BYTE_0 src1_sel:DWORD
	s_mov_b64 s[4:5], 0
                                        ; implicit-def: $sgpr10
	s_and_saveexec_b64 s[8:9], s[6:7]
	s_xor_b64 s[6:7], exec, s[8:9]
	s_cbranch_execz .LBB1_2061
; %bb.12053:
	s_getpc_b64 s[14:15]
.Lpost_getpc1930:
	s_add_u32 s14, s14, (.LBB1_6157-.Lpost_getpc1930)&4294967295
	s_addc_u32 s15, s15, (.LBB1_6157-.Lpost_getpc1930)>>32
	s_setpc_b64 s[14:15]
.LBB1_2061:
	s_or_saveexec_b64 s[6:7], s[6:7]
	v_mov_b32_e32 v23, s10
	s_xor_b64 exec, exec, s[6:7]
	s_cbranch_execz .LBB1_2062
; %bb.12055:
	s_getpc_b64 s[14:15]
.Lpost_getpc1931:
	s_add_u32 s14, s14, (.LBB1_6160-.Lpost_getpc1931)&4294967295
	s_addc_u32 s15, s15, (.LBB1_6160-.Lpost_getpc1931)>>32
	s_setpc_b64 s[14:15]
.LBB1_2062:
	s_or_b64 exec, exec, s[6:7]
	s_and_saveexec_b64 s[6:7], s[4:5]
	s_cbranch_execz .LBB1_2064
.LBB1_2063:
	v_bfe_u32 v23, v12, 8, 2
	v_ffbh_u32_e32 v25, v23
	v_min_u32_e32 v25, 32, v25
	v_lshrrev_b16_e32 v24, 2, v22
	v_subrev_u32_e32 v26, 29, v25
	v_and_b32_e32 v24, 31, v24
	v_lshlrev_b32_e32 v22, v26, v22
	v_sub_u32_e32 v25, 30, v25
	v_and_b32_e32 v22, 3, v22
	v_cmp_eq_u16_e32 vcc, 0, v24
	v_cndmask_b32_e32 v22, v23, v22, vcc
	v_cndmask_b32_e32 v23, v24, v25, vcc
	v_lshlrev_b32_e32 v24, 16, v12
	v_mov_b32_e32 v25, 0x37800000
	v_lshlrev_b32_e32 v22, 21, v22
	v_and_b32_e32 v24, 0x80000000, v24
	v_lshl_add_u32 v23, v23, 23, v25
	v_or3_b32 v23, v24, v23, v22
.LBB1_2064:
	s_or_b64 exec, exec, s[6:7]
	s_nop 0
	v_mfma_f32_16x16x4f32 a[0:3], v21, v23, a[0:3]
	s_movk_i32 s4, 0xff
	v_and_b32_sdwa v22, v16, s4 dst_sel:DWORD dst_unused:UNUSED_PAD src0_sel:WORD_1 src1_sel:DWORD
	s_movk_i32 s4, 0x7f
	v_cmp_lt_i16_e32 vcc, s4, v22
	s_mov_b64 s[4:5], 0
                                        ; implicit-def: $sgpr10
	s_and_saveexec_b64 s[6:7], vcc
	s_xor_b64 s[6:7], exec, s[6:7]
	s_cbranch_execz .LBB1_2065
; %bb.12057:
	s_getpc_b64 s[14:15]
.Lpost_getpc1932:
	s_add_u32 s14, s14, (.LBB1_6161-.Lpost_getpc1932)&4294967295
	s_addc_u32 s15, s15, (.LBB1_6161-.Lpost_getpc1932)>>32
	s_setpc_b64 s[14:15]
.LBB1_2065:
	s_or_saveexec_b64 s[6:7], s[6:7]
	v_mov_b32_e32 v21, s10
	s_xor_b64 exec, exec, s[6:7]
	s_cbranch_execz .LBB1_2066
; %bb.12059:
	s_getpc_b64 s[14:15]
.Lpost_getpc1933:
	s_add_u32 s14, s14, (.LBB1_6164-.Lpost_getpc1933)&4294967295
	s_addc_u32 s15, s15, (.LBB1_6164-.Lpost_getpc1933)>>32
	s_setpc_b64 s[14:15]
.LBB1_2066:
	s_or_b64 exec, exec, s[6:7]
	s_and_saveexec_b64 s[6:7], s[4:5]
	s_cbranch_execz .LBB1_2068
.LBB1_2067:
	v_bfe_u32 v21, v16, 16, 3
	v_ffbh_u32_e32 v24, v21
	v_min_u32_e32 v24, 32, v24
	v_lshrrev_b32_e32 v22, 19, v16
	v_subrev_u32_e32 v25, 28, v24
	v_and_b32_e32 v22, 15, v22
	v_lshlrev_b32_sdwa v25, v25, v16 dst_sel:DWORD dst_unused:UNUSED_PAD src0_sel:DWORD src1_sel:WORD_1
	v_bfe_u32 v23, v16, 19, 4
	v_sub_u32_e32 v24, 29, v24
	v_and_b32_e32 v25, 7, v25
	v_cmp_eq_u16_e32 vcc, 0, v22
	v_cndmask_b32_e32 v21, v21, v25, vcc
	v_cndmask_b32_e32 v22, v23, v24, vcc
	v_lshlrev_b32_e32 v23, 8, v16
	v_mov_b32_e32 v24, 0x3b800000
	v_lshlrev_b32_e32 v21, 20, v21
	v_and_b32_e32 v23, 0x80000000, v23
	v_lshl_add_u32 v22, v22, 23, v24
	v_or3_b32 v21, v23, v22, v21
.LBB1_2068:
	s_or_b64 exec, exec, s[6:7]
	s_movk_i32 s4, 0xff
	v_and_b32_sdwa v22, v12, s4 dst_sel:DWORD dst_unused:UNUSED_PAD src0_sel:WORD_1 src1_sel:DWORD
	s_movk_i32 s4, 0x7f
	v_cmp_lt_i16_e32 vcc, s4, v22
	s_mov_b64 s[4:5], 0
                                        ; implicit-def: $sgpr10
	s_and_saveexec_b64 s[6:7], vcc
	s_xor_b64 s[6:7], exec, s[6:7]
	s_cbranch_execz .LBB1_2069
; %bb.12061:
	s_getpc_b64 s[14:15]
.Lpost_getpc1934:
	s_add_u32 s14, s14, (.LBB1_6165-.Lpost_getpc1934)&4294967295
	s_addc_u32 s15, s15, (.LBB1_6165-.Lpost_getpc1934)>>32
	s_setpc_b64 s[14:15]
.LBB1_2069:
	s_or_saveexec_b64 s[6:7], s[6:7]
	v_mov_b32_e32 v23, s10
	s_xor_b64 exec, exec, s[6:7]
	s_cbranch_execz .LBB1_2070
; %bb.12063:
	s_getpc_b64 s[14:15]
.Lpost_getpc1935:
	s_add_u32 s14, s14, (.LBB1_6168-.Lpost_getpc1935)&4294967295
	s_addc_u32 s15, s15, (.LBB1_6168-.Lpost_getpc1935)>>32
	s_setpc_b64 s[14:15]
.LBB1_2070:
	s_or_b64 exec, exec, s[6:7]
	s_and_saveexec_b64 s[6:7], s[4:5]
	s_cbranch_execz .LBB1_2072
.LBB1_2071:
	v_bfe_u32 v22, v12, 16, 2
	v_ffbh_u32_e32 v25, v22
	v_min_u32_e32 v25, 32, v25
	v_lshrrev_b32_e32 v23, 18, v12
	v_subrev_u32_e32 v26, 29, v25
	v_and_b32_e32 v23, 31, v23
	v_lshlrev_b32_sdwa v26, v26, v12 dst_sel:DWORD dst_unused:UNUSED_PAD src0_sel:DWORD src1_sel:WORD_1
	v_bfe_u32 v24, v12, 18, 5
	v_sub_u32_e32 v25, 30, v25
	v_and_b32_e32 v26, 3, v26
	v_cmp_eq_u16_e32 vcc, 0, v23
	v_cndmask_b32_e32 v22, v22, v26, vcc
	v_cndmask_b32_e32 v23, v24, v25, vcc
	v_lshlrev_b32_e32 v24, 8, v12
	v_mov_b32_e32 v25, 0x37800000
	v_lshlrev_b32_e32 v22, 21, v22
	v_and_b32_e32 v24, 0x80000000, v24
	v_lshl_add_u32 v23, v23, 23, v25
	v_or3_b32 v23, v24, v23, v22
.LBB1_2072:
	s_or_b64 exec, exec, s[6:7]
	s_nop 0
	v_mfma_f32_16x16x4f32 a[0:3], v21, v23, a[0:3]
	s_movk_i32 s4, 0x7f
	v_cmp_gt_i16_sdwa s[6:7], v16, s4 src0_sel:BYTE_3 src1_sel:DWORD
	s_mov_b64 s[4:5], 0
                                        ; implicit-def: $sgpr10
	s_and_saveexec_b64 s[8:9], s[6:7]
	s_xor_b64 s[6:7], exec, s[8:9]
	s_cbranch_execz .LBB1_2073
; %bb.12065:
	s_getpc_b64 s[14:15]
.Lpost_getpc1936:
	s_add_u32 s14, s14, (.LBB1_6169-.Lpost_getpc1936)&4294967295
	s_addc_u32 s15, s15, (.LBB1_6169-.Lpost_getpc1936)>>32
	s_setpc_b64 s[14:15]
.LBB1_2073:
	s_or_saveexec_b64 s[6:7], s[6:7]
	v_mov_b32_e32 v21, s10
	s_xor_b64 exec, exec, s[6:7]
	s_cbranch_execz .LBB1_2074
; %bb.12067:
	s_getpc_b64 s[14:15]
.Lpost_getpc1937:
	s_add_u32 s14, s14, (.LBB1_6172-.Lpost_getpc1937)&4294967295
	s_addc_u32 s15, s15, (.LBB1_6172-.Lpost_getpc1937)>>32
	s_setpc_b64 s[14:15]
.LBB1_2074:
	s_or_b64 exec, exec, s[6:7]
	s_and_saveexec_b64 s[6:7], s[4:5]
	s_cbranch_execz .LBB1_2076
.LBB1_2075:
	v_bfe_u32 v21, v16, 24, 3
	v_ffbh_u32_e32 v25, v21
	v_min_u32_e32 v25, 32, v25
	v_lshrrev_b32_e32 v23, 27, v16
	v_subrev_u32_e32 v26, 28, v25
	v_and_b32_e32 v22, 0x80000000, v16
	v_and_b32_e32 v23, 15, v23
	v_bfe_u32 v24, v16, 27, 4
	v_lshlrev_b32_sdwa v16, v26, v16 dst_sel:DWORD dst_unused:UNUSED_PAD src0_sel:DWORD src1_sel:BYTE_3
	v_sub_u32_e32 v25, 29, v25
	v_and_b32_e32 v16, 7, v16
	v_cmp_eq_u16_e32 vcc, 0, v23
	v_cndmask_b32_e32 v16, v21, v16, vcc
	v_cndmask_b32_e32 v21, v24, v25, vcc
	v_mov_b32_e32 v23, 0x3b800000
	v_lshlrev_b32_e32 v16, 20, v16
	v_lshl_add_u32 v21, v21, 23, v23
	v_or3_b32 v21, v22, v21, v16
.LBB1_2076:
	s_or_b64 exec, exec, s[6:7]
	s_movk_i32 s4, 0x7f
	v_cmp_gt_i16_sdwa s[6:7], v12, s4 src0_sel:BYTE_3 src1_sel:DWORD
	s_mov_b64 s[4:5], 0
                                        ; implicit-def: $sgpr10
	s_and_saveexec_b64 s[8:9], s[6:7]
	s_xor_b64 s[6:7], exec, s[8:9]
	s_cbranch_execz .LBB1_2077
; %bb.12069:
	s_getpc_b64 s[14:15]
.Lpost_getpc1938:
	s_add_u32 s14, s14, (.LBB1_6173-.Lpost_getpc1938)&4294967295
	s_addc_u32 s15, s15, (.LBB1_6173-.Lpost_getpc1938)>>32
	s_setpc_b64 s[14:15]
.LBB1_2077:
	s_or_saveexec_b64 s[6:7], s[6:7]
	v_mov_b32_e32 v16, s10
	s_xor_b64 exec, exec, s[6:7]
	s_cbranch_execz .LBB1_2078
; %bb.12071:
	s_getpc_b64 s[14:15]
.Lpost_getpc1939:
	s_add_u32 s14, s14, (.LBB1_6176-.Lpost_getpc1939)&4294967295
	s_addc_u32 s15, s15, (.LBB1_6176-.Lpost_getpc1939)>>32
	s_setpc_b64 s[14:15]
.LBB1_2078:
	s_or_b64 exec, exec, s[6:7]
	s_and_saveexec_b64 s[6:7], s[4:5]
	s_cbranch_execz .LBB1_2080
.LBB1_2079:
	v_bfe_u32 v16, v12, 24, 2
	v_ffbh_u32_e32 v25, v16
	v_min_u32_e32 v25, 32, v25
	v_lshrrev_b32_e32 v23, 26, v12
	v_subrev_u32_e32 v26, 29, v25
	v_and_b32_e32 v22, 0x80000000, v12
	v_and_b32_e32 v23, 31, v23
	v_bfe_u32 v24, v12, 26, 5
	v_lshlrev_b32_sdwa v12, v26, v12 dst_sel:DWORD dst_unused:UNUSED_PAD src0_sel:DWORD src1_sel:BYTE_3
	v_sub_u32_e32 v25, 30, v25
	v_and_b32_e32 v12, 3, v12
	v_cmp_eq_u16_e32 vcc, 0, v23
	v_cndmask_b32_e32 v12, v16, v12, vcc
	v_cndmask_b32_e32 v16, v24, v25, vcc
	v_mov_b32_e32 v23, 0x37800000
	v_lshlrev_b32_e32 v12, 21, v12
	v_lshl_add_u32 v16, v16, 23, v23
	v_or3_b32 v16, v22, v16, v12
.LBB1_2080:
	s_or_b64 exec, exec, s[6:7]
	s_nop 0
	v_mfma_f32_16x16x4f32 a[0:3], v21, v16, a[0:3]
	s_movk_i32 s4, 0x7f
	v_cmp_gt_i16_sdwa s[6:7], v17, s4 src0_sel:BYTE_0 src1_sel:DWORD
	s_mov_b64 s[4:5], 0
                                        ; implicit-def: $sgpr10
	s_and_saveexec_b64 s[8:9], s[6:7]
	s_xor_b64 s[6:7], exec, s[8:9]
	s_cbranch_execz .LBB1_2081
; %bb.12073:
	s_getpc_b64 s[14:15]
.Lpost_getpc1940:
	s_add_u32 s14, s14, (.LBB1_6177-.Lpost_getpc1940)&4294967295
	s_addc_u32 s15, s15, (.LBB1_6177-.Lpost_getpc1940)>>32
	s_setpc_b64 s[14:15]
.LBB1_2081:
	s_or_saveexec_b64 s[6:7], s[6:7]
	v_mov_b32_e32 v12, s10
	s_xor_b64 exec, exec, s[6:7]
	s_cbranch_execz .LBB1_2082
; %bb.12075:
	s_getpc_b64 s[14:15]
.Lpost_getpc1941:
	s_add_u32 s14, s14, (.LBB1_6180-.Lpost_getpc1941)&4294967295
	s_addc_u32 s15, s15, (.LBB1_6180-.Lpost_getpc1941)>>32
	s_setpc_b64 s[14:15]
.LBB1_2082:
	s_or_b64 exec, exec, s[6:7]
	s_and_saveexec_b64 s[6:7], s[4:5]
	s_cbranch_execz .LBB1_2084
.LBB1_2083:
	v_and_b32_e32 v12, 7, v17
	v_ffbh_u32_e32 v21, v12
	v_min_u32_e32 v21, 32, v21
	v_lshrrev_b16_e32 v16, 3, v17
	v_subrev_u32_e32 v22, 28, v21
	v_and_b32_e32 v16, 15, v16
	v_lshlrev_b32_e32 v22, v22, v17
	v_sub_u32_e32 v21, 29, v21
	v_and_b32_e32 v22, 7, v22
	v_cmp_eq_u16_e32 vcc, 0, v16
	v_cndmask_b32_e32 v12, v12, v22, vcc
	v_cndmask_b32_e32 v16, v16, v21, vcc
	v_lshlrev_b32_e32 v21, 24, v17
	v_mov_b32_e32 v22, 0x3b800000
	v_lshlrev_b32_e32 v12, 20, v12
	v_and_b32_e32 v21, 0x80000000, v21
	v_lshl_add_u32 v16, v16, 23, v22
	v_or3_b32 v12, v21, v16, v12
.LBB1_2084:
	s_or_b64 exec, exec, s[6:7]
	s_movk_i32 s4, 0x7f
	v_cmp_gt_i16_sdwa s[6:7], v13, s4 src0_sel:BYTE_0 src1_sel:DWORD
	s_mov_b64 s[4:5], 0
                                        ; implicit-def: $sgpr10
	s_and_saveexec_b64 s[8:9], s[6:7]
	s_xor_b64 s[6:7], exec, s[8:9]
	s_cbranch_execz .LBB1_2085
; %bb.12077:
	s_getpc_b64 s[14:15]
.Lpost_getpc1942:
	s_add_u32 s14, s14, (.LBB1_6181-.Lpost_getpc1942)&4294967295
	s_addc_u32 s15, s15, (.LBB1_6181-.Lpost_getpc1942)>>32
	s_setpc_b64 s[14:15]
.LBB1_2085:
	s_or_saveexec_b64 s[6:7], s[6:7]
	v_mov_b32_e32 v16, s10
	s_xor_b64 exec, exec, s[6:7]
	s_cbranch_execz .LBB1_2086
; %bb.12079:
	s_getpc_b64 s[14:15]
.Lpost_getpc1943:
	s_add_u32 s14, s14, (.LBB1_6184-.Lpost_getpc1943)&4294967295
	s_addc_u32 s15, s15, (.LBB1_6184-.Lpost_getpc1943)>>32
	s_setpc_b64 s[14:15]
.LBB1_2086:
	s_or_b64 exec, exec, s[6:7]
	s_and_saveexec_b64 s[6:7], s[4:5]
	s_cbranch_execz .LBB1_2088
.LBB1_2087:
	v_and_b32_e32 v16, 3, v13
	v_ffbh_u32_e32 v22, v16
	v_min_u32_e32 v22, 32, v22
	v_lshrrev_b16_e32 v21, 2, v13
	v_subrev_u32_e32 v23, 29, v22
	v_and_b32_e32 v21, 31, v21
	v_lshlrev_b32_e32 v23, v23, v13
	v_sub_u32_e32 v22, 30, v22
	v_and_b32_e32 v23, 3, v23
	v_cmp_eq_u16_e32 vcc, 0, v21
	v_cndmask_b32_e32 v16, v16, v23, vcc
	v_cndmask_b32_e32 v21, v21, v22, vcc
	v_lshlrev_b32_e32 v22, 24, v13
	v_mov_b32_e32 v23, 0x37800000
	v_lshlrev_b32_e32 v16, 21, v16
	v_and_b32_e32 v22, 0x80000000, v22
	v_lshl_add_u32 v21, v21, 23, v23
	v_or3_b32 v16, v22, v21, v16
.LBB1_2088:
	s_or_b64 exec, exec, s[6:7]
	s_nop 0
	v_mfma_f32_16x16x4f32 a[0:3], v12, v16, a[0:3]
	v_lshrrev_b32_e32 v16, 8, v17
	s_movk_i32 s4, 0x7f
	v_cmp_gt_i16_sdwa s[6:7], v16, s4 src0_sel:BYTE_0 src1_sel:DWORD
	s_mov_b64 s[4:5], 0
                                        ; implicit-def: $sgpr10
	s_and_saveexec_b64 s[8:9], s[6:7]
	s_xor_b64 s[6:7], exec, s[8:9]
	s_cbranch_execz .LBB1_2089
; %bb.12081:
	s_getpc_b64 s[14:15]
.Lpost_getpc1944:
	s_add_u32 s14, s14, (.LBB1_6185-.Lpost_getpc1944)&4294967295
	s_addc_u32 s15, s15, (.LBB1_6185-.Lpost_getpc1944)>>32
	s_setpc_b64 s[14:15]
.LBB1_2089:
	s_or_saveexec_b64 s[6:7], s[6:7]
	v_mov_b32_e32 v12, s10
	s_xor_b64 exec, exec, s[6:7]
	s_cbranch_execz .LBB1_2090
; %bb.12083:
	s_getpc_b64 s[14:15]
.Lpost_getpc1945:
	s_add_u32 s14, s14, (.LBB1_6188-.Lpost_getpc1945)&4294967295
	s_addc_u32 s15, s15, (.LBB1_6188-.Lpost_getpc1945)>>32
	s_setpc_b64 s[14:15]
.LBB1_2090:
	s_or_b64 exec, exec, s[6:7]
	s_and_saveexec_b64 s[6:7], s[4:5]
	s_cbranch_execz .LBB1_2092
.LBB1_2091:
	v_bfe_u32 v12, v17, 8, 3
	v_ffbh_u32_e32 v22, v12
	v_min_u32_e32 v22, 32, v22
	v_lshrrev_b16_e32 v21, 3, v16
	v_subrev_u32_e32 v23, 28, v22
	v_and_b32_e32 v21, 15, v21
	v_lshlrev_b32_e32 v16, v23, v16
	v_sub_u32_e32 v22, 29, v22
	v_and_b32_e32 v16, 7, v16
	v_cmp_eq_u16_e32 vcc, 0, v21
	v_cndmask_b32_e32 v12, v12, v16, vcc
	v_cndmask_b32_e32 v16, v21, v22, vcc
	v_lshlrev_b32_e32 v21, 16, v17
	v_mov_b32_e32 v22, 0x3b800000
	v_lshlrev_b32_e32 v12, 20, v12
	v_and_b32_e32 v21, 0x80000000, v21
	v_lshl_add_u32 v16, v16, 23, v22
	v_or3_b32 v12, v21, v16, v12
.LBB1_2092:
	s_or_b64 exec, exec, s[6:7]
	v_lshrrev_b32_e32 v16, 8, v13
	s_movk_i32 s4, 0x7f
	v_cmp_gt_i16_sdwa s[6:7], v16, s4 src0_sel:BYTE_0 src1_sel:DWORD
	s_mov_b64 s[4:5], 0
                                        ; implicit-def: $sgpr10
	s_and_saveexec_b64 s[8:9], s[6:7]
	s_xor_b64 s[6:7], exec, s[8:9]
	s_cbranch_execz .LBB1_2093
; %bb.12085:
	s_getpc_b64 s[14:15]
.Lpost_getpc1946:
	s_add_u32 s14, s14, (.LBB1_6189-.Lpost_getpc1946)&4294967295
	s_addc_u32 s15, s15, (.LBB1_6189-.Lpost_getpc1946)>>32
	s_setpc_b64 s[14:15]
.LBB1_2093:
	s_or_saveexec_b64 s[6:7], s[6:7]
	v_mov_b32_e32 v21, s10
	s_xor_b64 exec, exec, s[6:7]
	s_cbranch_execz .LBB1_2094
; %bb.12087:
	s_getpc_b64 s[14:15]
.Lpost_getpc1947:
	s_add_u32 s14, s14, (.LBB1_6192-.Lpost_getpc1947)&4294967295
	s_addc_u32 s15, s15, (.LBB1_6192-.Lpost_getpc1947)>>32
	s_setpc_b64 s[14:15]
.LBB1_2094:
	s_or_b64 exec, exec, s[6:7]
	s_and_saveexec_b64 s[6:7], s[4:5]
	s_cbranch_execz .LBB1_2096
.LBB1_2095:
	v_bfe_u32 v21, v13, 8, 2
	v_ffbh_u32_e32 v23, v21
	v_min_u32_e32 v23, 32, v23
	v_lshrrev_b16_e32 v22, 2, v16
	v_subrev_u32_e32 v24, 29, v23
	v_and_b32_e32 v22, 31, v22
	v_lshlrev_b32_e32 v16, v24, v16
	v_sub_u32_e32 v23, 30, v23
	v_and_b32_e32 v16, 3, v16
	v_cmp_eq_u16_e32 vcc, 0, v22
	v_cndmask_b32_e32 v16, v21, v16, vcc
	v_cndmask_b32_e32 v21, v22, v23, vcc
	v_lshlrev_b32_e32 v22, 16, v13
	v_mov_b32_e32 v23, 0x37800000
	v_lshlrev_b32_e32 v16, 21, v16
	v_and_b32_e32 v22, 0x80000000, v22
	v_lshl_add_u32 v21, v21, 23, v23
	v_or3_b32 v21, v22, v21, v16
.LBB1_2096:
	s_or_b64 exec, exec, s[6:7]
	s_nop 0
	v_mfma_f32_16x16x4f32 a[0:3], v12, v21, a[0:3]
	s_movk_i32 s4, 0xff
	v_and_b32_sdwa v16, v17, s4 dst_sel:DWORD dst_unused:UNUSED_PAD src0_sel:WORD_1 src1_sel:DWORD
	s_movk_i32 s4, 0x7f
	v_cmp_lt_i16_e32 vcc, s4, v16
	s_mov_b64 s[4:5], 0
                                        ; implicit-def: $sgpr10
	s_and_saveexec_b64 s[6:7], vcc
	s_xor_b64 s[6:7], exec, s[6:7]
	s_cbranch_execz .LBB1_2097
; %bb.12089:
	s_getpc_b64 s[14:15]
.Lpost_getpc1948:
	s_add_u32 s14, s14, (.LBB1_6193-.Lpost_getpc1948)&4294967295
	s_addc_u32 s15, s15, (.LBB1_6193-.Lpost_getpc1948)>>32
	s_setpc_b64 s[14:15]
.LBB1_2097:
	s_or_saveexec_b64 s[6:7], s[6:7]
	v_mov_b32_e32 v12, s10
	s_xor_b64 exec, exec, s[6:7]
	s_cbranch_execz .LBB1_2098
; %bb.12091:
	s_getpc_b64 s[14:15]
.Lpost_getpc1949:
	s_add_u32 s14, s14, (.LBB1_6196-.Lpost_getpc1949)&4294967295
	s_addc_u32 s15, s15, (.LBB1_6196-.Lpost_getpc1949)>>32
	s_setpc_b64 s[14:15]
.LBB1_2098:
	s_or_b64 exec, exec, s[6:7]
	s_and_saveexec_b64 s[6:7], s[4:5]
	s_cbranch_execz .LBB1_2100
.LBB1_2099:
	v_bfe_u32 v12, v17, 16, 3
	v_ffbh_u32_e32 v22, v12
	v_min_u32_e32 v22, 32, v22
	v_lshrrev_b32_e32 v16, 19, v17
	v_subrev_u32_e32 v23, 28, v22
	v_and_b32_e32 v16, 15, v16
	v_lshlrev_b32_sdwa v23, v23, v17 dst_sel:DWORD dst_unused:UNUSED_PAD src0_sel:DWORD src1_sel:WORD_1
	v_bfe_u32 v21, v17, 19, 4
	v_sub_u32_e32 v22, 29, v22
	v_and_b32_e32 v23, 7, v23
	v_cmp_eq_u16_e32 vcc, 0, v16
	v_cndmask_b32_e32 v12, v12, v23, vcc
	v_cndmask_b32_e32 v16, v21, v22, vcc
	v_lshlrev_b32_e32 v21, 8, v17
	v_mov_b32_e32 v22, 0x3b800000
	v_lshlrev_b32_e32 v12, 20, v12
	v_and_b32_e32 v21, 0x80000000, v21
	v_lshl_add_u32 v16, v16, 23, v22
	v_or3_b32 v12, v21, v16, v12
.LBB1_2100:
	s_or_b64 exec, exec, s[6:7]
	s_movk_i32 s4, 0xff
	v_and_b32_sdwa v16, v13, s4 dst_sel:DWORD dst_unused:UNUSED_PAD src0_sel:WORD_1 src1_sel:DWORD
	s_movk_i32 s4, 0x7f
	v_cmp_lt_i16_e32 vcc, s4, v16
	s_mov_b64 s[4:5], 0
                                        ; implicit-def: $sgpr10
	s_and_saveexec_b64 s[6:7], vcc
	s_xor_b64 s[6:7], exec, s[6:7]
	s_cbranch_execz .LBB1_2101
; %bb.12093:
	s_getpc_b64 s[14:15]
.Lpost_getpc1950:
	s_add_u32 s14, s14, (.LBB1_6197-.Lpost_getpc1950)&4294967295
	s_addc_u32 s15, s15, (.LBB1_6197-.Lpost_getpc1950)>>32
	s_setpc_b64 s[14:15]
.LBB1_2101:
	s_or_saveexec_b64 s[6:7], s[6:7]
	v_mov_b32_e32 v21, s10
	s_xor_b64 exec, exec, s[6:7]
	s_cbranch_execz .LBB1_2102
; %bb.12095:
	s_getpc_b64 s[14:15]
.Lpost_getpc1951:
	s_add_u32 s14, s14, (.LBB1_6200-.Lpost_getpc1951)&4294967295
	s_addc_u32 s15, s15, (.LBB1_6200-.Lpost_getpc1951)>>32
	s_setpc_b64 s[14:15]
.LBB1_2102:
	s_or_b64 exec, exec, s[6:7]
	s_and_saveexec_b64 s[6:7], s[4:5]
	s_cbranch_execz .LBB1_2104
.LBB1_2103:
	v_bfe_u32 v16, v13, 16, 2
	v_ffbh_u32_e32 v23, v16
	v_min_u32_e32 v23, 32, v23
	v_lshrrev_b32_e32 v21, 18, v13
	v_subrev_u32_e32 v24, 29, v23
	v_and_b32_e32 v21, 31, v21
	v_lshlrev_b32_sdwa v24, v24, v13 dst_sel:DWORD dst_unused:UNUSED_PAD src0_sel:DWORD src1_sel:WORD_1
	v_bfe_u32 v22, v13, 18, 5
	v_sub_u32_e32 v23, 30, v23
	v_and_b32_e32 v24, 3, v24
	v_cmp_eq_u16_e32 vcc, 0, v21
	v_cndmask_b32_e32 v16, v16, v24, vcc
	v_cndmask_b32_e32 v21, v22, v23, vcc
	v_lshlrev_b32_e32 v22, 8, v13
	v_mov_b32_e32 v23, 0x37800000
	v_lshlrev_b32_e32 v16, 21, v16
	v_and_b32_e32 v22, 0x80000000, v22
	v_lshl_add_u32 v21, v21, 23, v23
	v_or3_b32 v21, v22, v21, v16
.LBB1_2104:
	s_or_b64 exec, exec, s[6:7]
	s_nop 0
	v_mfma_f32_16x16x4f32 a[0:3], v12, v21, a[0:3]
	s_movk_i32 s4, 0x7f
	v_cmp_gt_i16_sdwa s[6:7], v17, s4 src0_sel:BYTE_3 src1_sel:DWORD
	s_mov_b64 s[4:5], 0
                                        ; implicit-def: $sgpr10
	s_and_saveexec_b64 s[8:9], s[6:7]
	s_xor_b64 s[6:7], exec, s[8:9]
	s_cbranch_execz .LBB1_2105
; %bb.12097:
	s_getpc_b64 s[14:15]
.Lpost_getpc1952:
	s_add_u32 s14, s14, (.LBB1_6201-.Lpost_getpc1952)&4294967295
	s_addc_u32 s15, s15, (.LBB1_6201-.Lpost_getpc1952)>>32
	s_setpc_b64 s[14:15]
.LBB1_2105:
	s_or_saveexec_b64 s[6:7], s[6:7]
	v_mov_b32_e32 v12, s10
	s_xor_b64 exec, exec, s[6:7]
	s_cbranch_execz .LBB1_2106
; %bb.12099:
	s_getpc_b64 s[14:15]
.Lpost_getpc1953:
	s_add_u32 s14, s14, (.LBB1_6204-.Lpost_getpc1953)&4294967295
	s_addc_u32 s15, s15, (.LBB1_6204-.Lpost_getpc1953)>>32
	s_setpc_b64 s[14:15]
.LBB1_2106:
	s_or_b64 exec, exec, s[6:7]
	s_and_saveexec_b64 s[6:7], s[4:5]
	s_cbranch_execz .LBB1_2108
.LBB1_2107:
	v_bfe_u32 v12, v17, 24, 3
	v_ffbh_u32_e32 v23, v12
	v_min_u32_e32 v23, 32, v23
	v_lshrrev_b32_e32 v21, 27, v17
	v_subrev_u32_e32 v24, 28, v23
	v_and_b32_e32 v16, 0x80000000, v17
	v_and_b32_e32 v21, 15, v21
	v_bfe_u32 v22, v17, 27, 4
	v_lshlrev_b32_sdwa v17, v24, v17 dst_sel:DWORD dst_unused:UNUSED_PAD src0_sel:DWORD src1_sel:BYTE_3
	v_sub_u32_e32 v23, 29, v23
	v_and_b32_e32 v17, 7, v17
	v_cmp_eq_u16_e32 vcc, 0, v21
	v_cndmask_b32_e32 v12, v12, v17, vcc
	v_cndmask_b32_e32 v17, v22, v23, vcc
	v_mov_b32_e32 v21, 0x3b800000
	v_lshlrev_b32_e32 v12, 20, v12
	v_lshl_add_u32 v17, v17, 23, v21
	v_or3_b32 v12, v16, v17, v12
.LBB1_2108:
	s_or_b64 exec, exec, s[6:7]
	s_movk_i32 s4, 0x7f
	v_cmp_gt_i16_sdwa s[6:7], v13, s4 src0_sel:BYTE_3 src1_sel:DWORD
	s_mov_b64 s[4:5], 0
                                        ; implicit-def: $sgpr10
	s_and_saveexec_b64 s[8:9], s[6:7]
	s_xor_b64 s[6:7], exec, s[8:9]
	s_cbranch_execz .LBB1_2109
; %bb.12101:
	s_getpc_b64 s[14:15]
.Lpost_getpc1954:
	s_add_u32 s14, s14, (.LBB1_6205-.Lpost_getpc1954)&4294967295
	s_addc_u32 s15, s15, (.LBB1_6205-.Lpost_getpc1954)>>32
	s_setpc_b64 s[14:15]
.LBB1_2109:
	s_or_saveexec_b64 s[6:7], s[6:7]
	v_mov_b32_e32 v16, s10
	s_xor_b64 exec, exec, s[6:7]
	s_cbranch_execz .LBB1_2110
; %bb.12103:
	s_getpc_b64 s[14:15]
.Lpost_getpc1955:
	s_add_u32 s14, s14, (.LBB1_6208-.Lpost_getpc1955)&4294967295
	s_addc_u32 s15, s15, (.LBB1_6208-.Lpost_getpc1955)>>32
	s_setpc_b64 s[14:15]
.LBB1_2110:
	s_or_b64 exec, exec, s[6:7]
	s_and_saveexec_b64 s[6:7], s[4:5]
	s_cbranch_execz .LBB1_2112
.LBB1_2111:
	v_bfe_u32 v16, v13, 24, 2
	v_ffbh_u32_e32 v23, v16
	v_min_u32_e32 v23, 32, v23
	v_lshrrev_b32_e32 v21, 26, v13
	v_subrev_u32_e32 v24, 29, v23
	v_and_b32_e32 v17, 0x80000000, v13
	v_and_b32_e32 v21, 31, v21
	v_bfe_u32 v22, v13, 26, 5
	v_lshlrev_b32_sdwa v13, v24, v13 dst_sel:DWORD dst_unused:UNUSED_PAD src0_sel:DWORD src1_sel:BYTE_3
	v_sub_u32_e32 v23, 30, v23
	v_and_b32_e32 v13, 3, v13
	v_cmp_eq_u16_e32 vcc, 0, v21
	v_cndmask_b32_e32 v13, v16, v13, vcc
	v_cndmask_b32_e32 v16, v22, v23, vcc
	v_mov_b32_e32 v21, 0x37800000
	v_lshlrev_b32_e32 v13, 21, v13
	v_lshl_add_u32 v16, v16, 23, v21
	v_or3_b32 v16, v17, v16, v13
.LBB1_2112:
	s_or_b64 exec, exec, s[6:7]
	s_nop 0
	v_mfma_f32_16x16x4f32 a[0:3], v12, v16, a[0:3]
	s_movk_i32 s4, 0x7f
	v_cmp_gt_i16_sdwa s[6:7], v18, s4 src0_sel:BYTE_0 src1_sel:DWORD
	s_mov_b64 s[4:5], 0
                                        ; implicit-def: $sgpr10
	s_and_saveexec_b64 s[8:9], s[6:7]
	s_xor_b64 s[6:7], exec, s[8:9]
	s_cbranch_execz .LBB1_2113
; %bb.12105:
	s_getpc_b64 s[14:15]
.Lpost_getpc1956:
	s_add_u32 s14, s14, (.LBB1_6209-.Lpost_getpc1956)&4294967295
	s_addc_u32 s15, s15, (.LBB1_6209-.Lpost_getpc1956)>>32
	s_setpc_b64 s[14:15]
.LBB1_2113:
	s_or_saveexec_b64 s[6:7], s[6:7]
	v_mov_b32_e32 v13, s10
	s_xor_b64 exec, exec, s[6:7]
	s_cbranch_execz .LBB1_2114
; %bb.12107:
	s_getpc_b64 s[14:15]
.Lpost_getpc1957:
	s_add_u32 s14, s14, (.LBB1_6212-.Lpost_getpc1957)&4294967295
	s_addc_u32 s15, s15, (.LBB1_6212-.Lpost_getpc1957)>>32
	s_setpc_b64 s[14:15]
.LBB1_2114:
	s_or_b64 exec, exec, s[6:7]
	s_and_saveexec_b64 s[6:7], s[4:5]
	s_cbranch_execz .LBB1_2116
.LBB1_2115:
	v_and_b32_e32 v12, 7, v18
	v_ffbh_u32_e32 v16, v12
	v_min_u32_e32 v16, 32, v16
	v_lshrrev_b16_e32 v13, 3, v18
	v_subrev_u32_e32 v17, 28, v16
	v_and_b32_e32 v13, 15, v13
	v_lshlrev_b32_e32 v17, v17, v18
	v_sub_u32_e32 v16, 29, v16
	v_and_b32_e32 v17, 7, v17
	v_cmp_eq_u16_e32 vcc, 0, v13
	v_cndmask_b32_e32 v12, v12, v17, vcc
	v_cndmask_b32_e32 v13, v13, v16, vcc
	v_lshlrev_b32_e32 v16, 24, v18
	v_mov_b32_e32 v17, 0x3b800000
	v_lshlrev_b32_e32 v12, 20, v12
	v_and_b32_e32 v16, 0x80000000, v16
	v_lshl_add_u32 v13, v13, 23, v17
	v_or3_b32 v13, v16, v13, v12
.LBB1_2116:
	s_or_b64 exec, exec, s[6:7]
	s_movk_i32 s4, 0xff
	v_mov_b32_e32 v12, 8
	v_or_b32_sdwa v16, v14, v20 dst_sel:DWORD dst_unused:UNUSED_PAD src0_sel:BYTE_0 src1_sel:DWORD
	v_lshlrev_b16_sdwa v12, v12, v14 dst_sel:DWORD dst_unused:UNUSED_PAD src0_sel:DWORD src1_sel:BYTE_3
	v_and_b32_sdwa v14, v14, s4 dst_sel:DWORD dst_unused:UNUSED_PAD src0_sel:WORD_1 src1_sel:DWORD
	s_movk_i32 s4, 0x7f
	v_or_b32_sdwa v12, v14, v12 dst_sel:WORD_1 dst_unused:UNUSED_PAD src0_sel:DWORD src1_sel:DWORD
	v_cmp_gt_i16_sdwa s[6:7], v16, s4 src0_sel:BYTE_0 src1_sel:DWORD
	s_mov_b64 s[4:5], 0
                                        ; implicit-def: $sgpr10
	s_and_saveexec_b64 s[8:9], s[6:7]
	s_xor_b64 s[6:7], exec, s[8:9]
	s_cbranch_execz .LBB1_2117
; %bb.12109:
	s_getpc_b64 s[14:15]
.Lpost_getpc1958:
	s_add_u32 s14, s14, (.LBB1_6213-.Lpost_getpc1958)&4294967295
	s_addc_u32 s15, s15, (.LBB1_6213-.Lpost_getpc1958)>>32
	s_setpc_b64 s[14:15]
.LBB1_2117:
	s_or_saveexec_b64 s[6:7], s[6:7]
	v_mov_b32_e32 v14, s10
	s_xor_b64 exec, exec, s[6:7]
	s_cbranch_execz .LBB1_2118
; %bb.12111:
	s_getpc_b64 s[14:15]
.Lpost_getpc1959:
	s_add_u32 s14, s14, (.LBB1_6216-.Lpost_getpc1959)&4294967295
	s_addc_u32 s15, s15, (.LBB1_6216-.Lpost_getpc1959)>>32
	s_setpc_b64 s[14:15]
.LBB1_2118:
	s_or_b64 exec, exec, s[6:7]
	v_or_b32_sdwa v12, v16, v12 dst_sel:DWORD dst_unused:UNUSED_PAD src0_sel:WORD_0 src1_sel:DWORD
	s_and_saveexec_b64 s[6:7], s[4:5]
	s_cbranch_execz .LBB1_2120
.LBB1_2119:
	v_and_b32_e32 v14, 3, v12
	v_ffbh_u32_e32 v17, v14
	v_min_u32_e32 v17, 32, v17
	v_lshrrev_b16_e32 v16, 2, v16
	v_subrev_u32_e32 v20, 29, v17
	v_and_b32_e32 v16, 31, v16
	v_lshlrev_b32_e32 v20, v20, v12
	v_sub_u32_e32 v17, 30, v17
	v_and_b32_e32 v20, 3, v20
	v_cmp_eq_u16_e32 vcc, 0, v16
	v_cndmask_b32_e32 v14, v14, v20, vcc
	v_cndmask_b32_e32 v16, v16, v17, vcc
	v_lshlrev_b32_e32 v17, 24, v12
	v_mov_b32_e32 v20, 0x37800000
	v_lshlrev_b32_e32 v14, 21, v14
	v_and_b32_e32 v17, 0x80000000, v17
	v_lshl_add_u32 v16, v16, 23, v20
	v_or3_b32 v14, v17, v16, v14
.LBB1_2120:
	s_or_b64 exec, exec, s[6:7]
	s_nop 0
	v_mfma_f32_16x16x4f32 a[0:3], v13, v14, a[0:3]
	v_lshrrev_b32_e32 v14, 8, v18
	s_movk_i32 s4, 0x7f
	v_cmp_gt_i16_sdwa s[6:7], v14, s4 src0_sel:BYTE_0 src1_sel:DWORD
	s_mov_b64 s[4:5], 0
                                        ; implicit-def: $sgpr10
	s_and_saveexec_b64 s[8:9], s[6:7]
	s_xor_b64 s[6:7], exec, s[8:9]
	s_cbranch_execz .LBB1_2121
; %bb.12113:
	s_getpc_b64 s[14:15]
.Lpost_getpc1960:
	s_add_u32 s14, s14, (.LBB1_6217-.Lpost_getpc1960)&4294967295
	s_addc_u32 s15, s15, (.LBB1_6217-.Lpost_getpc1960)>>32
	s_setpc_b64 s[14:15]
.LBB1_2121:
	s_or_saveexec_b64 s[6:7], s[6:7]
	v_mov_b32_e32 v13, s10
	s_xor_b64 exec, exec, s[6:7]
	s_cbranch_execz .LBB1_2122
; %bb.12115:
	s_getpc_b64 s[14:15]
.Lpost_getpc1961:
	s_add_u32 s14, s14, (.LBB1_6220-.Lpost_getpc1961)&4294967295
	s_addc_u32 s15, s15, (.LBB1_6220-.Lpost_getpc1961)>>32
	s_setpc_b64 s[14:15]
.LBB1_2122:
	s_or_b64 exec, exec, s[6:7]
	s_and_saveexec_b64 s[6:7], s[4:5]
	s_cbranch_execz .LBB1_2124
.LBB1_2123:
	v_bfe_u32 v13, v18, 8, 3
	v_ffbh_u32_e32 v17, v13
	v_min_u32_e32 v17, 32, v17
	v_lshrrev_b16_e32 v16, 3, v14
	v_subrev_u32_e32 v20, 28, v17
	v_and_b32_e32 v16, 15, v16
	v_lshlrev_b32_e32 v14, v20, v14
	v_sub_u32_e32 v17, 29, v17
	v_and_b32_e32 v14, 7, v14
	v_cmp_eq_u16_e32 vcc, 0, v16
	v_cndmask_b32_e32 v13, v13, v14, vcc
	v_cndmask_b32_e32 v14, v16, v17, vcc
	v_lshlrev_b32_e32 v16, 16, v18
	v_mov_b32_e32 v17, 0x3b800000
	v_lshlrev_b32_e32 v13, 20, v13
	v_and_b32_e32 v16, 0x80000000, v16
	v_lshl_add_u32 v14, v14, 23, v17
	v_or3_b32 v13, v16, v14, v13
.LBB1_2124:
	s_or_b64 exec, exec, s[6:7]
	v_lshrrev_b32_e32 v14, 8, v12
	s_movk_i32 s4, 0x7f
	v_cmp_gt_i16_sdwa s[6:7], v14, s4 src0_sel:BYTE_0 src1_sel:DWORD
	s_mov_b64 s[4:5], 0
                                        ; implicit-def: $sgpr10
	s_and_saveexec_b64 s[8:9], s[6:7]
	s_xor_b64 s[6:7], exec, s[8:9]
	s_cbranch_execz .LBB1_2125
; %bb.12117:
	s_getpc_b64 s[14:15]
.Lpost_getpc1962:
	s_add_u32 s14, s14, (.LBB1_6221-.Lpost_getpc1962)&4294967295
	s_addc_u32 s15, s15, (.LBB1_6221-.Lpost_getpc1962)>>32
	s_setpc_b64 s[14:15]
.LBB1_2125:
	s_or_saveexec_b64 s[6:7], s[6:7]
	v_mov_b32_e32 v16, s10
	s_xor_b64 exec, exec, s[6:7]
	s_cbranch_execz .LBB1_2126
; %bb.12119:
	s_getpc_b64 s[14:15]
.Lpost_getpc1963:
	s_add_u32 s14, s14, (.LBB1_6224-.Lpost_getpc1963)&4294967295
	s_addc_u32 s15, s15, (.LBB1_6224-.Lpost_getpc1963)>>32
	s_setpc_b64 s[14:15]
.LBB1_2126:
	s_or_b64 exec, exec, s[6:7]
	s_and_saveexec_b64 s[6:7], s[4:5]
	s_cbranch_execz .LBB1_2128
.LBB1_2127:
	v_bfe_u32 v16, v12, 8, 2
	v_ffbh_u32_e32 v20, v16
	v_min_u32_e32 v20, 32, v20
	v_lshrrev_b16_e32 v17, 2, v14
	v_subrev_u32_e32 v21, 29, v20
	v_and_b32_e32 v17, 31, v17
	v_lshlrev_b32_e32 v14, v21, v14
	v_sub_u32_e32 v20, 30, v20
	v_and_b32_e32 v14, 3, v14
	v_cmp_eq_u16_e32 vcc, 0, v17
	v_cndmask_b32_e32 v14, v16, v14, vcc
	v_cndmask_b32_e32 v16, v17, v20, vcc
	v_lshlrev_b32_e32 v17, 16, v12
	v_mov_b32_e32 v20, 0x37800000
	v_lshlrev_b32_e32 v14, 21, v14
	v_and_b32_e32 v17, 0x80000000, v17
	v_lshl_add_u32 v16, v16, 23, v20
	v_or3_b32 v16, v17, v16, v14
.LBB1_2128:
	s_or_b64 exec, exec, s[6:7]
	s_nop 0
	v_mfma_f32_16x16x4f32 a[0:3], v13, v16, a[0:3]
	s_movk_i32 s4, 0xff
	v_and_b32_sdwa v14, v18, s4 dst_sel:DWORD dst_unused:UNUSED_PAD src0_sel:WORD_1 src1_sel:DWORD
	s_movk_i32 s4, 0x7f
	v_cmp_lt_i16_e32 vcc, s4, v14
	s_mov_b64 s[4:5], 0
                                        ; implicit-def: $sgpr10
	s_and_saveexec_b64 s[6:7], vcc
	s_xor_b64 s[6:7], exec, s[6:7]
	s_cbranch_execz .LBB1_2129
; %bb.12121:
	s_getpc_b64 s[14:15]
.Lpost_getpc1964:
	s_add_u32 s14, s14, (.LBB1_6225-.Lpost_getpc1964)&4294967295
	s_addc_u32 s15, s15, (.LBB1_6225-.Lpost_getpc1964)>>32
	s_setpc_b64 s[14:15]
.LBB1_2129:
	s_or_saveexec_b64 s[6:7], s[6:7]
	v_mov_b32_e32 v13, s10
	s_xor_b64 exec, exec, s[6:7]
	s_cbranch_execz .LBB1_2130
; %bb.12123:
	s_getpc_b64 s[14:15]
.Lpost_getpc1965:
	s_add_u32 s14, s14, (.LBB1_6228-.Lpost_getpc1965)&4294967295
	s_addc_u32 s15, s15, (.LBB1_6228-.Lpost_getpc1965)>>32
	s_setpc_b64 s[14:15]
.LBB1_2130:
	s_or_b64 exec, exec, s[6:7]
	s_and_saveexec_b64 s[6:7], s[4:5]
	s_cbranch_execz .LBB1_2132
.LBB1_2131:
	v_bfe_u32 v13, v18, 16, 3
	v_ffbh_u32_e32 v17, v13
	v_min_u32_e32 v17, 32, v17
	v_lshrrev_b32_e32 v14, 19, v18
	v_subrev_u32_e32 v20, 28, v17
	v_and_b32_e32 v14, 15, v14
	v_lshlrev_b32_sdwa v20, v20, v18 dst_sel:DWORD dst_unused:UNUSED_PAD src0_sel:DWORD src1_sel:WORD_1
	v_bfe_u32 v16, v18, 19, 4
	v_sub_u32_e32 v17, 29, v17
	v_and_b32_e32 v20, 7, v20
	v_cmp_eq_u16_e32 vcc, 0, v14
	v_cndmask_b32_e32 v13, v13, v20, vcc
	v_cndmask_b32_e32 v14, v16, v17, vcc
	v_lshlrev_b32_e32 v16, 8, v18
	v_mov_b32_e32 v17, 0x3b800000
	v_lshlrev_b32_e32 v13, 20, v13
	v_and_b32_e32 v16, 0x80000000, v16
	v_lshl_add_u32 v14, v14, 23, v17
	v_or3_b32 v13, v16, v14, v13
.LBB1_2132:
	s_or_b64 exec, exec, s[6:7]
	s_movk_i32 s4, 0xff
	v_and_b32_sdwa v14, v12, s4 dst_sel:DWORD dst_unused:UNUSED_PAD src0_sel:WORD_1 src1_sel:DWORD
	s_movk_i32 s4, 0x7f
	v_cmp_lt_i16_e32 vcc, s4, v14
	s_mov_b64 s[4:5], 0
                                        ; implicit-def: $sgpr10
	s_and_saveexec_b64 s[6:7], vcc
	s_xor_b64 s[6:7], exec, s[6:7]
	s_cbranch_execz .LBB1_2133
; %bb.12125:
	s_getpc_b64 s[14:15]
.Lpost_getpc1966:
	s_add_u32 s14, s14, (.LBB1_6229-.Lpost_getpc1966)&4294967295
	s_addc_u32 s15, s15, (.LBB1_6229-.Lpost_getpc1966)>>32
	s_setpc_b64 s[14:15]
.LBB1_2133:
	s_or_saveexec_b64 s[6:7], s[6:7]
	v_mov_b32_e32 v16, s10
	s_xor_b64 exec, exec, s[6:7]
	s_cbranch_execz .LBB1_2134
; %bb.12127:
	s_getpc_b64 s[14:15]
.Lpost_getpc1967:
	s_add_u32 s14, s14, (.LBB1_6232-.Lpost_getpc1967)&4294967295
	s_addc_u32 s15, s15, (.LBB1_6232-.Lpost_getpc1967)>>32
	s_setpc_b64 s[14:15]
.LBB1_2134:
	s_or_b64 exec, exec, s[6:7]
	s_and_saveexec_b64 s[6:7], s[4:5]
	s_cbranch_execz .LBB1_2136
.LBB1_2135:
	v_bfe_u32 v14, v12, 16, 2
	v_ffbh_u32_e32 v20, v14
	v_min_u32_e32 v20, 32, v20
	v_lshrrev_b32_e32 v16, 18, v12
	v_subrev_u32_e32 v21, 29, v20
	v_and_b32_e32 v16, 31, v16
	v_lshlrev_b32_sdwa v21, v21, v12 dst_sel:DWORD dst_unused:UNUSED_PAD src0_sel:DWORD src1_sel:WORD_1
	v_bfe_u32 v17, v12, 18, 5
	v_sub_u32_e32 v20, 30, v20
	v_and_b32_e32 v21, 3, v21
	v_cmp_eq_u16_e32 vcc, 0, v16
	v_cndmask_b32_e32 v14, v14, v21, vcc
	v_cndmask_b32_e32 v16, v17, v20, vcc
	v_lshlrev_b32_e32 v17, 8, v12
	v_mov_b32_e32 v20, 0x37800000
	v_lshlrev_b32_e32 v14, 21, v14
	v_and_b32_e32 v17, 0x80000000, v17
	v_lshl_add_u32 v16, v16, 23, v20
	v_or3_b32 v16, v17, v16, v14
.LBB1_2136:
	s_or_b64 exec, exec, s[6:7]
	s_nop 0
	v_mfma_f32_16x16x4f32 a[0:3], v13, v16, a[0:3]
	s_movk_i32 s4, 0x7f
	v_cmp_gt_i16_sdwa s[6:7], v18, s4 src0_sel:BYTE_3 src1_sel:DWORD
	s_mov_b64 s[4:5], 0
                                        ; implicit-def: $sgpr10
	s_and_saveexec_b64 s[8:9], s[6:7]
	s_xor_b64 s[6:7], exec, s[8:9]
	s_cbranch_execz .LBB1_2137
; %bb.12129:
	s_getpc_b64 s[14:15]
.Lpost_getpc1968:
	s_add_u32 s14, s14, (.LBB1_6233-.Lpost_getpc1968)&4294967295
	s_addc_u32 s15, s15, (.LBB1_6233-.Lpost_getpc1968)>>32
	s_setpc_b64 s[14:15]
.LBB1_2137:
	s_or_saveexec_b64 s[6:7], s[6:7]
	v_mov_b32_e32 v13, s10
	s_xor_b64 exec, exec, s[6:7]
	s_cbranch_execz .LBB1_2138
; %bb.12131:
	s_getpc_b64 s[14:15]
.Lpost_getpc1969:
	s_add_u32 s14, s14, (.LBB1_6236-.Lpost_getpc1969)&4294967295
	s_addc_u32 s15, s15, (.LBB1_6236-.Lpost_getpc1969)>>32
	s_setpc_b64 s[14:15]
.LBB1_2138:
	s_or_b64 exec, exec, s[6:7]
	s_and_saveexec_b64 s[6:7], s[4:5]
	s_cbranch_execz .LBB1_2140
.LBB1_2139:
	v_bfe_u32 v13, v18, 24, 3
	v_ffbh_u32_e32 v20, v13
	v_min_u32_e32 v20, 32, v20
	v_lshrrev_b32_e32 v16, 27, v18
	v_subrev_u32_e32 v21, 28, v20
	v_and_b32_e32 v14, 0x80000000, v18
	v_and_b32_e32 v16, 15, v16
	v_bfe_u32 v17, v18, 27, 4
	v_lshlrev_b32_sdwa v18, v21, v18 dst_sel:DWORD dst_unused:UNUSED_PAD src0_sel:DWORD src1_sel:BYTE_3
	v_sub_u32_e32 v20, 29, v20
	v_and_b32_e32 v18, 7, v18
	v_cmp_eq_u16_e32 vcc, 0, v16
	v_cndmask_b32_e32 v13, v13, v18, vcc
	v_cndmask_b32_e32 v16, v17, v20, vcc
	v_mov_b32_e32 v17, 0x3b800000
	v_lshlrev_b32_e32 v13, 20, v13
	v_lshl_add_u32 v16, v16, 23, v17
	v_or3_b32 v13, v14, v16, v13
.LBB1_2140:
	s_or_b64 exec, exec, s[6:7]
	s_movk_i32 s4, 0x7f
	v_cmp_gt_i16_sdwa s[6:7], v12, s4 src0_sel:BYTE_3 src1_sel:DWORD
	s_mov_b64 s[4:5], 0
                                        ; implicit-def: $sgpr10
	s_and_saveexec_b64 s[8:9], s[6:7]
	s_xor_b64 s[6:7], exec, s[8:9]
	s_cbranch_execz .LBB1_2141
; %bb.12133:
	s_getpc_b64 s[14:15]
.Lpost_getpc1970:
	s_add_u32 s14, s14, (.LBB1_6237-.Lpost_getpc1970)&4294967295
	s_addc_u32 s15, s15, (.LBB1_6237-.Lpost_getpc1970)>>32
	s_setpc_b64 s[14:15]
.LBB1_2141:
	s_or_saveexec_b64 s[6:7], s[6:7]
	v_mov_b32_e32 v14, s10
	s_xor_b64 exec, exec, s[6:7]
	s_cbranch_execz .LBB1_2142
; %bb.12135:
	s_getpc_b64 s[14:15]
.Lpost_getpc1971:
	s_add_u32 s14, s14, (.LBB1_6240-.Lpost_getpc1971)&4294967295
	s_addc_u32 s15, s15, (.LBB1_6240-.Lpost_getpc1971)>>32
	s_setpc_b64 s[14:15]
.LBB1_2142:
	s_or_b64 exec, exec, s[6:7]
	s_and_saveexec_b64 s[6:7], s[4:5]
	s_cbranch_execz .LBB1_2144
.LBB1_2143:
	v_bfe_u32 v14, v12, 24, 2
	v_ffbh_u32_e32 v20, v14
	v_min_u32_e32 v20, 32, v20
	v_lshrrev_b32_e32 v17, 26, v12
	v_subrev_u32_e32 v21, 29, v20
	v_and_b32_e32 v16, 0x80000000, v12
	v_and_b32_e32 v17, 31, v17
	v_bfe_u32 v18, v12, 26, 5
	v_lshlrev_b32_sdwa v12, v21, v12 dst_sel:DWORD dst_unused:UNUSED_PAD src0_sel:DWORD src1_sel:BYTE_3
	v_sub_u32_e32 v20, 30, v20
	v_and_b32_e32 v12, 3, v12
	v_cmp_eq_u16_e32 vcc, 0, v17
	v_cndmask_b32_e32 v12, v14, v12, vcc
	v_cndmask_b32_e32 v14, v18, v20, vcc
	v_mov_b32_e32 v17, 0x37800000
	v_lshlrev_b32_e32 v12, 21, v12
	v_lshl_add_u32 v14, v14, 23, v17
	v_or3_b32 v14, v16, v14, v12
.LBB1_2144:
	s_or_b64 exec, exec, s[6:7]
	s_nop 0
	v_mfma_f32_16x16x4f32 a[0:3], v13, v14, a[0:3]
	s_movk_i32 s4, 0x7f
	v_cmp_gt_i16_sdwa s[6:7], v19, s4 src0_sel:BYTE_0 src1_sel:DWORD
	s_mov_b64 s[4:5], 0
                                        ; implicit-def: $sgpr10
	s_and_saveexec_b64 s[8:9], s[6:7]
	s_xor_b64 s[6:7], exec, s[8:9]
	s_cbranch_execz .LBB1_2145
; %bb.12137:
	s_getpc_b64 s[14:15]
.Lpost_getpc1972:
	s_add_u32 s14, s14, (.LBB1_6241-.Lpost_getpc1972)&4294967295
	s_addc_u32 s15, s15, (.LBB1_6241-.Lpost_getpc1972)>>32
	s_setpc_b64 s[14:15]
.LBB1_2145:
	s_or_saveexec_b64 s[6:7], s[6:7]
	v_mov_b32_e32 v12, s10
	s_xor_b64 exec, exec, s[6:7]
	s_cbranch_execz .LBB1_2146
; %bb.12139:
	s_getpc_b64 s[14:15]
.Lpost_getpc1973:
	s_add_u32 s14, s14, (.LBB1_6244-.Lpost_getpc1973)&4294967295
	s_addc_u32 s15, s15, (.LBB1_6244-.Lpost_getpc1973)>>32
	s_setpc_b64 s[14:15]
.LBB1_2146:
	s_or_b64 exec, exec, s[6:7]
	s_and_saveexec_b64 s[6:7], s[4:5]
	s_cbranch_execz .LBB1_2148
.LBB1_2147:
	v_mov_b32_e32 v12, 8
	v_and_b32_e32 v13, 7, v19
	v_lshrrev_b32_sdwa v12, v12, v19 dst_sel:BYTE_1 dst_unused:UNUSED_PAD src0_sel:DWORD src1_sel:DWORD
	v_ffbh_u32_e32 v14, v13
	v_or_b32_sdwa v12, v19, v12 dst_sel:DWORD dst_unused:UNUSED_PAD src0_sel:BYTE_0 src1_sel:DWORD
	v_min_u32_e32 v14, 32, v14
	v_lshrrev_b16_e32 v12, 3, v12
	v_subrev_u32_e32 v16, 28, v14
	v_and_b32_e32 v12, 15, v12
	v_lshlrev_b32_e32 v16, v16, v19
	v_sub_u32_e32 v14, 29, v14
	v_and_b32_e32 v16, 7, v16
	v_cmp_eq_u16_e32 vcc, 0, v12
	v_cndmask_b32_e32 v13, v13, v16, vcc
	v_cndmask_b32_e32 v12, v12, v14, vcc
	v_lshlrev_b32_e32 v14, 24, v19
	v_mov_b32_e32 v16, 0x3b800000
	v_lshlrev_b32_e32 v13, 20, v13
	v_and_b32_e32 v14, 0x80000000, v14
	v_lshl_add_u32 v12, v12, 23, v16
	v_or3_b32 v12, v14, v12, v13
.LBB1_2148:
	s_or_b64 exec, exec, s[6:7]
	s_movk_i32 s4, 0x7f
	v_cmp_gt_i16_sdwa s[6:7], v15, s4 src0_sel:BYTE_0 src1_sel:DWORD
	s_mov_b64 s[4:5], 0
                                        ; implicit-def: $sgpr10
	s_and_saveexec_b64 s[8:9], s[6:7]
	s_xor_b64 s[6:7], exec, s[8:9]
	s_cbranch_execz .LBB1_2149
; %bb.12141:
	s_getpc_b64 s[14:15]
.Lpost_getpc1974:
	s_add_u32 s14, s14, (.LBB1_6245-.Lpost_getpc1974)&4294967295
	s_addc_u32 s15, s15, (.LBB1_6245-.Lpost_getpc1974)>>32
	s_setpc_b64 s[14:15]
.LBB1_2149:
	s_or_saveexec_b64 s[6:7], s[6:7]
	v_mov_b32_e32 v13, s10
	s_xor_b64 exec, exec, s[6:7]
	s_cbranch_execz .LBB1_2150
; %bb.12143:
	s_getpc_b64 s[14:15]
.Lpost_getpc1975:
	s_add_u32 s14, s14, (.LBB1_6248-.Lpost_getpc1975)&4294967295
	s_addc_u32 s15, s15, (.LBB1_6248-.Lpost_getpc1975)>>32
	s_setpc_b64 s[14:15]
.LBB1_2150:
	s_or_b64 exec, exec, s[6:7]
	s_and_saveexec_b64 s[6:7], s[4:5]
	s_cbranch_execz .LBB1_2152
.LBB1_2151:
	v_and_b32_e32 v13, 3, v15
	v_ffbh_u32_e32 v16, v13
	v_min_u32_e32 v16, 32, v16
	v_lshrrev_b16_e32 v14, 2, v15
	v_subrev_u32_e32 v17, 29, v16
	v_and_b32_e32 v14, 31, v14
	v_lshlrev_b32_e32 v17, v17, v15
	v_sub_u32_e32 v16, 30, v16
	v_and_b32_e32 v17, 3, v17
	v_cmp_eq_u16_e32 vcc, 0, v14
	v_cndmask_b32_e32 v13, v13, v17, vcc
	v_cndmask_b32_e32 v14, v14, v16, vcc
	v_lshlrev_b32_e32 v16, 24, v15
	v_mov_b32_e32 v17, 0x37800000
	v_lshlrev_b32_e32 v13, 21, v13
	v_and_b32_e32 v16, 0x80000000, v16
	v_lshl_add_u32 v14, v14, 23, v17
	v_or3_b32 v13, v16, v14, v13
.LBB1_2152:
	s_or_b64 exec, exec, s[6:7]
	s_nop 0
	v_mfma_f32_16x16x4f32 a[0:3], v12, v13, a[0:3]
	v_lshrrev_b32_e32 v13, 8, v19
	s_movk_i32 s4, 0x7f
	v_cmp_gt_i16_sdwa s[6:7], v13, s4 src0_sel:BYTE_0 src1_sel:DWORD
	s_mov_b64 s[4:5], 0
                                        ; implicit-def: $sgpr10
	s_and_saveexec_b64 s[8:9], s[6:7]
	s_xor_b64 s[6:7], exec, s[8:9]
	s_cbranch_execz .LBB1_2153
; %bb.12145:
	s_getpc_b64 s[14:15]
.Lpost_getpc1976:
	s_add_u32 s14, s14, (.LBB1_6249-.Lpost_getpc1976)&4294967295
	s_addc_u32 s15, s15, (.LBB1_6249-.Lpost_getpc1976)>>32
	s_setpc_b64 s[14:15]
.LBB1_2153:
	s_or_saveexec_b64 s[6:7], s[6:7]
	v_mov_b32_e32 v12, s10
	s_xor_b64 exec, exec, s[6:7]
	s_cbranch_execz .LBB1_2154
; %bb.12147:
	s_getpc_b64 s[14:15]
.Lpost_getpc1977:
	s_add_u32 s14, s14, (.LBB1_6252-.Lpost_getpc1977)&4294967295
	s_addc_u32 s15, s15, (.LBB1_6252-.Lpost_getpc1977)>>32
	s_setpc_b64 s[14:15]
.LBB1_2154:
	s_or_b64 exec, exec, s[6:7]
	s_and_saveexec_b64 s[6:7], s[4:5]
	s_cbranch_execz .LBB1_2156
.LBB1_2155:
	v_bfe_u32 v12, v19, 8, 3
	v_ffbh_u32_e32 v16, v12
	v_min_u32_e32 v16, 32, v16
	v_lshrrev_b16_e32 v14, 3, v13
	v_subrev_u32_e32 v17, 28, v16
	v_and_b32_e32 v14, 15, v14
	v_lshlrev_b32_e32 v13, v17, v13
	v_sub_u32_e32 v16, 29, v16
	v_and_b32_e32 v13, 7, v13
	v_cmp_eq_u16_e32 vcc, 0, v14
	v_cndmask_b32_e32 v12, v12, v13, vcc
	v_cndmask_b32_e32 v13, v14, v16, vcc
	v_lshlrev_b32_e32 v14, 16, v19
	v_mov_b32_e32 v16, 0x3b800000
	v_lshlrev_b32_e32 v12, 20, v12
	v_and_b32_e32 v14, 0x80000000, v14
	v_lshl_add_u32 v13, v13, 23, v16
	v_or3_b32 v12, v14, v13, v12
.LBB1_2156:
	s_or_b64 exec, exec, s[6:7]
	v_lshrrev_b32_e32 v13, 8, v15
	s_movk_i32 s4, 0x7f
	v_cmp_gt_i16_sdwa s[6:7], v13, s4 src0_sel:BYTE_0 src1_sel:DWORD
	s_mov_b64 s[4:5], 0
                                        ; implicit-def: $sgpr10
	s_and_saveexec_b64 s[8:9], s[6:7]
	s_xor_b64 s[6:7], exec, s[8:9]
	s_cbranch_execz .LBB1_2157
; %bb.12149:
	s_getpc_b64 s[14:15]
.Lpost_getpc1978:
	s_add_u32 s14, s14, (.LBB1_6253-.Lpost_getpc1978)&4294967295
	s_addc_u32 s15, s15, (.LBB1_6253-.Lpost_getpc1978)>>32
	s_setpc_b64 s[14:15]
.LBB1_2157:
	s_or_saveexec_b64 s[6:7], s[6:7]
	v_mov_b32_e32 v14, s10
	s_xor_b64 exec, exec, s[6:7]
	s_cbranch_execz .LBB1_2158
; %bb.12151:
	s_getpc_b64 s[14:15]
.Lpost_getpc1979:
	s_add_u32 s14, s14, (.LBB1_6256-.Lpost_getpc1979)&4294967295
	s_addc_u32 s15, s15, (.LBB1_6256-.Lpost_getpc1979)>>32
	s_setpc_b64 s[14:15]
.LBB1_2158:
	s_or_b64 exec, exec, s[6:7]
	s_and_saveexec_b64 s[6:7], s[4:5]
	s_cbranch_execz .LBB1_2160
.LBB1_2159:
	v_bfe_u32 v14, v15, 8, 2
	v_ffbh_u32_e32 v17, v14
	v_min_u32_e32 v17, 32, v17
	v_lshrrev_b16_e32 v16, 2, v13
	v_subrev_u32_e32 v18, 29, v17
	v_and_b32_e32 v16, 31, v16
	v_lshlrev_b32_e32 v13, v18, v13
	v_sub_u32_e32 v17, 30, v17
	v_and_b32_e32 v13, 3, v13
	v_cmp_eq_u16_e32 vcc, 0, v16
	v_cndmask_b32_e32 v13, v14, v13, vcc
	v_cndmask_b32_e32 v14, v16, v17, vcc
	v_lshlrev_b32_e32 v16, 16, v15
	v_mov_b32_e32 v17, 0x37800000
	v_lshlrev_b32_e32 v13, 21, v13
	v_and_b32_e32 v16, 0x80000000, v16
	v_lshl_add_u32 v14, v14, 23, v17
	v_or3_b32 v14, v16, v14, v13
.LBB1_2160:
	s_or_b64 exec, exec, s[6:7]
	s_nop 0
	v_mfma_f32_16x16x4f32 a[0:3], v12, v14, a[0:3]
	s_movk_i32 s4, 0xff
	v_and_b32_sdwa v13, v19, s4 dst_sel:DWORD dst_unused:UNUSED_PAD src0_sel:WORD_1 src1_sel:DWORD
	s_movk_i32 s4, 0x7f
	v_cmp_lt_i16_e32 vcc, s4, v13
	s_mov_b64 s[4:5], 0
                                        ; implicit-def: $sgpr10
	s_and_saveexec_b64 s[6:7], vcc
	s_xor_b64 s[6:7], exec, s[6:7]
	s_cbranch_execz .LBB1_2161
; %bb.12153:
	s_getpc_b64 s[14:15]
.Lpost_getpc1980:
	s_add_u32 s14, s14, (.LBB1_6257-.Lpost_getpc1980)&4294967295
	s_addc_u32 s15, s15, (.LBB1_6257-.Lpost_getpc1980)>>32
	s_setpc_b64 s[14:15]
.LBB1_2161:
	s_or_saveexec_b64 s[6:7], s[6:7]
	v_mov_b32_e32 v12, s10
	s_xor_b64 exec, exec, s[6:7]
	s_cbranch_execz .LBB1_2162
; %bb.12155:
	s_getpc_b64 s[14:15]
.Lpost_getpc1981:
	s_add_u32 s14, s14, (.LBB1_6260-.Lpost_getpc1981)&4294967295
	s_addc_u32 s15, s15, (.LBB1_6260-.Lpost_getpc1981)>>32
	s_setpc_b64 s[14:15]
.LBB1_2162:
	s_or_b64 exec, exec, s[6:7]
	s_and_saveexec_b64 s[6:7], s[4:5]
	s_cbranch_execz .LBB1_2164
.LBB1_2163:
	v_bfe_u32 v12, v19, 16, 3
	v_ffbh_u32_e32 v16, v12
	v_min_u32_e32 v16, 32, v16
	v_lshrrev_b32_e32 v13, 19, v19
	v_subrev_u32_e32 v17, 28, v16
	v_and_b32_e32 v13, 15, v13
	v_lshlrev_b32_sdwa v17, v17, v19 dst_sel:DWORD dst_unused:UNUSED_PAD src0_sel:DWORD src1_sel:WORD_1
	v_bfe_u32 v14, v19, 19, 4
	v_sub_u32_e32 v16, 29, v16
	v_and_b32_e32 v17, 7, v17
	v_cmp_eq_u16_e32 vcc, 0, v13
	v_cndmask_b32_e32 v12, v12, v17, vcc
	v_cndmask_b32_e32 v13, v14, v16, vcc
	v_lshlrev_b32_e32 v14, 8, v19
	v_mov_b32_e32 v16, 0x3b800000
	v_lshlrev_b32_e32 v12, 20, v12
	v_and_b32_e32 v14, 0x80000000, v14
	v_lshl_add_u32 v13, v13, 23, v16
	v_or3_b32 v12, v14, v13, v12
.LBB1_2164:
	s_or_b64 exec, exec, s[6:7]
	s_movk_i32 s4, 0xff
	v_and_b32_sdwa v13, v15, s4 dst_sel:DWORD dst_unused:UNUSED_PAD src0_sel:WORD_1 src1_sel:DWORD
	s_movk_i32 s4, 0x7f
	v_cmp_lt_i16_e32 vcc, s4, v13
	s_mov_b64 s[4:5], 0
                                        ; implicit-def: $sgpr10
	s_and_saveexec_b64 s[6:7], vcc
	s_xor_b64 s[6:7], exec, s[6:7]
	s_cbranch_execz .LBB1_2165
; %bb.12157:
	s_getpc_b64 s[14:15]
.Lpost_getpc1982:
	s_add_u32 s14, s14, (.LBB1_6261-.Lpost_getpc1982)&4294967295
	s_addc_u32 s15, s15, (.LBB1_6261-.Lpost_getpc1982)>>32
	s_setpc_b64 s[14:15]
.LBB1_2165:
	s_or_saveexec_b64 s[6:7], s[6:7]
	v_mov_b32_e32 v14, s10
	s_xor_b64 exec, exec, s[6:7]
	s_cbranch_execz .LBB1_2166
; %bb.12159:
	s_getpc_b64 s[14:15]
.Lpost_getpc1983:
	s_add_u32 s14, s14, (.LBB1_6264-.Lpost_getpc1983)&4294967295
	s_addc_u32 s15, s15, (.LBB1_6264-.Lpost_getpc1983)>>32
	s_setpc_b64 s[14:15]
.LBB1_2166:
	s_or_b64 exec, exec, s[6:7]
	s_and_saveexec_b64 s[6:7], s[4:5]
	s_cbranch_execz .LBB1_2168
.LBB1_2167:
	v_bfe_u32 v13, v15, 16, 2
	v_ffbh_u32_e32 v17, v13
	v_min_u32_e32 v17, 32, v17
	v_lshrrev_b32_e32 v14, 18, v15
	v_subrev_u32_e32 v18, 29, v17
	v_and_b32_e32 v14, 31, v14
	v_lshlrev_b32_sdwa v18, v18, v15 dst_sel:DWORD dst_unused:UNUSED_PAD src0_sel:DWORD src1_sel:WORD_1
	v_bfe_u32 v16, v15, 18, 5
	v_sub_u32_e32 v17, 30, v17
	v_and_b32_e32 v18, 3, v18
	v_cmp_eq_u16_e32 vcc, 0, v14
	v_cndmask_b32_e32 v13, v13, v18, vcc
	v_cndmask_b32_e32 v14, v16, v17, vcc
	v_lshlrev_b32_e32 v16, 8, v15
	v_mov_b32_e32 v17, 0x37800000
	v_lshlrev_b32_e32 v13, 21, v13
	v_and_b32_e32 v16, 0x80000000, v16
	v_lshl_add_u32 v14, v14, 23, v17
	v_or3_b32 v14, v16, v14, v13
.LBB1_2168:
	s_or_b64 exec, exec, s[6:7]
	s_nop 0
	v_mfma_f32_16x16x4f32 a[0:3], v12, v14, a[0:3]
	s_movk_i32 s4, 0x7f
	v_cmp_gt_i16_sdwa s[6:7], v19, s4 src0_sel:BYTE_3 src1_sel:DWORD
	s_mov_b64 s[4:5], 0
                                        ; implicit-def: $sgpr10
	s_and_saveexec_b64 s[8:9], s[6:7]
	s_xor_b64 s[6:7], exec, s[8:9]
	s_cbranch_execz .LBB1_2169
; %bb.12161:
	s_getpc_b64 s[14:15]
.Lpost_getpc1984:
	s_add_u32 s14, s14, (.LBB1_6265-.Lpost_getpc1984)&4294967295
	s_addc_u32 s15, s15, (.LBB1_6265-.Lpost_getpc1984)>>32
	s_setpc_b64 s[14:15]
.LBB1_2169:
	s_or_saveexec_b64 s[6:7], s[6:7]
	v_mov_b32_e32 v12, s10
	s_xor_b64 exec, exec, s[6:7]
	s_cbranch_execz .LBB1_2170
; %bb.12163:
	s_getpc_b64 s[14:15]
.Lpost_getpc1985:
	s_add_u32 s14, s14, (.LBB1_6268-.Lpost_getpc1985)&4294967295
	s_addc_u32 s15, s15, (.LBB1_6268-.Lpost_getpc1985)>>32
	s_setpc_b64 s[14:15]
.LBB1_2170:
	s_or_b64 exec, exec, s[6:7]
	s_and_saveexec_b64 s[6:7], s[4:5]
	s_cbranch_execz .LBB1_2172
.LBB1_2171:
	v_bfe_u32 v12, v19, 24, 3
	v_ffbh_u32_e32 v17, v12
	v_min_u32_e32 v17, 32, v17
	v_lshrrev_b32_e32 v14, 27, v19
	v_subrev_u32_e32 v18, 28, v17
	v_and_b32_e32 v14, 15, v14
	v_lshlrev_b32_sdwa v18, v18, v19 dst_sel:DWORD dst_unused:UNUSED_PAD src0_sel:DWORD src1_sel:BYTE_3
	v_bfe_u32 v16, v19, 27, 4
	v_sub_u32_e32 v17, 29, v17
	v_and_b32_e32 v18, 7, v18
	v_cmp_eq_u16_e32 vcc, 0, v14
	v_cndmask_b32_e32 v12, v12, v18, vcc
	v_cndmask_b32_e32 v14, v16, v17, vcc
	v_mov_b32_e32 v16, 0x3b800000
	v_and_b32_e32 v13, 0x80000000, v19
	v_lshlrev_b32_e32 v12, 20, v12
	v_lshl_add_u32 v14, v14, 23, v16
	v_or3_b32 v12, v13, v14, v12
.LBB1_2172:
	s_or_b64 exec, exec, s[6:7]
	s_movk_i32 s4, 0x7f
	v_cmp_gt_i16_sdwa s[6:7], v15, s4 src0_sel:BYTE_3 src1_sel:DWORD
	s_mov_b64 s[4:5], 0
                                        ; implicit-def: $sgpr10
	s_and_saveexec_b64 s[8:9], s[6:7]
	s_xor_b64 s[6:7], exec, s[8:9]
	s_cbranch_execz .LBB1_2173
; %bb.12165:
	s_getpc_b64 s[14:15]
.Lpost_getpc1986:
	s_add_u32 s14, s14, (.LBB1_6269-.Lpost_getpc1986)&4294967295
	s_addc_u32 s15, s15, (.LBB1_6269-.Lpost_getpc1986)>>32
	s_setpc_b64 s[14:15]
.LBB1_2173:
	s_or_saveexec_b64 s[6:7], s[6:7]
	v_mov_b32_e32 v13, s10
	s_xor_b64 exec, exec, s[6:7]
	s_cbranch_execz .LBB1_2174
; %bb.12167:
	s_getpc_b64 s[14:15]
.Lpost_getpc1987:
	s_add_u32 s14, s14, (.LBB1_6272-.Lpost_getpc1987)&4294967295
	s_addc_u32 s15, s15, (.LBB1_6272-.Lpost_getpc1987)>>32
	s_setpc_b64 s[14:15]
.LBB1_2174:
	s_or_b64 exec, exec, s[6:7]
	s_and_saveexec_b64 s[6:7], s[4:5]
	s_cbranch_execz .LBB1_2176
.LBB1_2175:
	v_bfe_u32 v13, v15, 24, 2
	v_ffbh_u32_e32 v18, v13
	v_min_u32_e32 v18, 32, v18
	v_lshrrev_b32_e32 v16, 26, v15
	v_subrev_u32_e32 v19, 29, v18
	v_and_b32_e32 v14, 0x80000000, v15
	v_and_b32_e32 v16, 31, v16
	v_bfe_u32 v17, v15, 26, 5
	v_lshlrev_b32_sdwa v15, v19, v15 dst_sel:DWORD dst_unused:UNUSED_PAD src0_sel:DWORD src1_sel:BYTE_3
	v_sub_u32_e32 v18, 30, v18
	v_and_b32_e32 v15, 3, v15
	v_cmp_eq_u16_e32 vcc, 0, v16
	v_cndmask_b32_e32 v13, v13, v15, vcc
	v_cndmask_b32_e32 v15, v17, v18, vcc
	v_mov_b32_e32 v16, 0x37800000
	v_lshlrev_b32_e32 v13, 21, v13
	v_lshl_add_u32 v15, v15, 23, v16
	v_or3_b32 v13, v14, v15, v13
.LBB1_2176:
	s_or_b64 exec, exec, s[6:7]
	s_nop 0
	v_mfma_f32_16x16x4f32 a[0:3], v12, v13, a[0:3]
	v_mov_b32_e32 v16, 8
	s_movk_i32 s4, 0x7f
                                        ; implicit-def: $sgpr10
	s_nop 7
	s_nop 0
	flat_store_dwordx4 v[10:11], a[0:3] offset:256
	flat_load_dword v14, v[0:1] offset:544
	flat_load_dwordx2 v[12:13], v[6:7]
	s_waitcnt vmcnt(0) lgkmcnt(0)
	v_ashrrev_i32_e32 v15, 31, v14
	v_add_co_u32_e32 v12, vcc, v12, v14
	v_addc_co_u32_e32 v13, vcc, v13, v15, vcc
	flat_load_dwordx4 v[12:15], v[12:13] offset:512
	s_waitcnt vmcnt(0) lgkmcnt(0)
	v_lshrrev_b32_sdwa v20, v16, v14 dst_sel:BYTE_1 dst_unused:UNUSED_PAD src0_sel:DWORD src1_sel:DWORD
	flat_store_dwordx4 v[8:9], v[12:15]
	flat_load_dwordx4 v[16:19], v[4:5]
	s_waitcnt vmcnt(0) lgkmcnt(0)
	v_cmp_gt_i16_sdwa s[6:7], v16, s4 src0_sel:BYTE_0 src1_sel:DWORD
	s_mov_b64 s[4:5], 0
	s_and_saveexec_b64 s[8:9], s[6:7]
	s_xor_b64 s[6:7], exec, s[8:9]
	s_cbranch_execz .LBB1_2177
; %bb.12169:
	s_getpc_b64 s[14:15]
.Lpost_getpc1988:
	s_add_u32 s14, s14, (.LBB1_6273-.Lpost_getpc1988)&4294967295
	s_addc_u32 s15, s15, (.LBB1_6273-.Lpost_getpc1988)>>32
	s_setpc_b64 s[14:15]
.LBB1_2177:
	s_or_saveexec_b64 s[6:7], s[6:7]
	v_mov_b32_e32 v21, s10
	s_xor_b64 exec, exec, s[6:7]
	s_cbranch_execz .LBB1_2178
; %bb.12171:
	s_getpc_b64 s[14:15]
.Lpost_getpc1989:
	s_add_u32 s14, s14, (.LBB1_6276-.Lpost_getpc1989)&4294967295
	s_addc_u32 s15, s15, (.LBB1_6276-.Lpost_getpc1989)>>32
	s_setpc_b64 s[14:15]
.LBB1_2178:
	s_or_b64 exec, exec, s[6:7]
	s_and_saveexec_b64 s[6:7], s[4:5]
	s_cbranch_execz .LBB1_2180
.LBB1_2179:
	v_and_b32_e32 v21, 7, v16
	v_ffbh_u32_e32 v23, v21
	v_min_u32_e32 v23, 32, v23
	v_lshrrev_b16_e32 v22, 3, v16
	v_subrev_u32_e32 v24, 28, v23
	v_and_b32_e32 v22, 15, v22
	v_lshlrev_b32_e32 v24, v24, v16
	v_sub_u32_e32 v23, 29, v23
	v_and_b32_e32 v24, 7, v24
	v_cmp_eq_u16_e32 vcc, 0, v22
	v_cndmask_b32_e32 v21, v21, v24, vcc
	v_cndmask_b32_e32 v22, v22, v23, vcc
	v_lshlrev_b32_e32 v23, 24, v16
	v_mov_b32_e32 v24, 0x3b800000
	v_lshlrev_b32_e32 v21, 20, v21
	v_and_b32_e32 v23, 0x80000000, v23
	v_lshl_add_u32 v22, v22, 23, v24
	v_or3_b32 v21, v23, v22, v21
.LBB1_2180:
	s_or_b64 exec, exec, s[6:7]
	s_movk_i32 s4, 0x7f
	v_cmp_gt_i16_sdwa s[6:7], v12, s4 src0_sel:BYTE_0 src1_sel:DWORD
	s_mov_b64 s[4:5], 0
                                        ; implicit-def: $sgpr10
	s_and_saveexec_b64 s[8:9], s[6:7]
	s_xor_b64 s[6:7], exec, s[8:9]
	s_cbranch_execz .LBB1_2181
; %bb.12173:
	s_getpc_b64 s[14:15]
.Lpost_getpc1990:
	s_add_u32 s14, s14, (.LBB1_6277-.Lpost_getpc1990)&4294967295
	s_addc_u32 s15, s15, (.LBB1_6277-.Lpost_getpc1990)>>32
	s_setpc_b64 s[14:15]
.LBB1_2181:
	s_or_saveexec_b64 s[6:7], s[6:7]
	v_mov_b32_e32 v22, s10
	s_xor_b64 exec, exec, s[6:7]
	s_cbranch_execz .LBB1_2182
; %bb.12175:
	s_getpc_b64 s[14:15]
.Lpost_getpc1991:
	s_add_u32 s14, s14, (.LBB1_6280-.Lpost_getpc1991)&4294967295
	s_addc_u32 s15, s15, (.LBB1_6280-.Lpost_getpc1991)>>32
	s_setpc_b64 s[14:15]
.LBB1_2182:
	s_or_b64 exec, exec, s[6:7]
	s_and_saveexec_b64 s[6:7], s[4:5]
	s_cbranch_execz .LBB1_2184
.LBB1_2183:
	v_and_b32_e32 v22, 3, v12
	v_ffbh_u32_e32 v24, v22
	v_min_u32_e32 v24, 32, v24
	v_lshrrev_b16_e32 v23, 2, v12
	v_subrev_u32_e32 v25, 29, v24
	v_and_b32_e32 v23, 31, v23
	v_lshlrev_b32_e32 v25, v25, v12
	v_sub_u32_e32 v24, 30, v24
	v_and_b32_e32 v25, 3, v25
	v_cmp_eq_u16_e32 vcc, 0, v23
	v_cndmask_b32_e32 v22, v22, v25, vcc
	v_cndmask_b32_e32 v23, v23, v24, vcc
	v_lshlrev_b32_e32 v24, 24, v12
	v_mov_b32_e32 v25, 0x37800000
	v_lshlrev_b32_e32 v22, 21, v22
	v_and_b32_e32 v24, 0x80000000, v24
	v_lshl_add_u32 v23, v23, 23, v25
	v_or3_b32 v22, v24, v23, v22
.LBB1_2184:
	s_or_b64 exec, exec, s[6:7]
	flat_load_dwordx4 a[0:3], v[10:11] offset:272
	s_movk_i32 s4, 0x7f
                                        ; implicit-def: $sgpr10
	s_waitcnt vmcnt(0) lgkmcnt(0)
	v_mfma_f32_16x16x4f32 a[0:3], v21, v22, a[0:3]
	v_lshrrev_b32_e32 v22, 8, v16
	v_cmp_gt_i16_sdwa s[6:7], v22, s4 src0_sel:BYTE_0 src1_sel:DWORD
	s_mov_b64 s[4:5], 0
	s_and_saveexec_b64 s[8:9], s[6:7]
	s_xor_b64 s[6:7], exec, s[8:9]
	s_cbranch_execz .LBB1_2185
; %bb.12177:
	s_getpc_b64 s[14:15]
.Lpost_getpc1992:
	s_add_u32 s14, s14, (.LBB1_6281-.Lpost_getpc1992)&4294967295
	s_addc_u32 s15, s15, (.LBB1_6281-.Lpost_getpc1992)>>32
	s_setpc_b64 s[14:15]
.LBB1_2185:
	s_or_saveexec_b64 s[6:7], s[6:7]
	v_mov_b32_e32 v21, s10
	s_xor_b64 exec, exec, s[6:7]
	s_cbranch_execz .LBB1_2186
; %bb.12179:
	s_getpc_b64 s[14:15]
.Lpost_getpc1993:
	s_add_u32 s14, s14, (.LBB1_6284-.Lpost_getpc1993)&4294967295
	s_addc_u32 s15, s15, (.LBB1_6284-.Lpost_getpc1993)>>32
	s_setpc_b64 s[14:15]
.LBB1_2186:
	s_or_b64 exec, exec, s[6:7]
	s_and_saveexec_b64 s[6:7], s[4:5]
	s_cbranch_execz .LBB1_2188
.LBB1_2187:
	v_bfe_u32 v21, v16, 8, 3
	v_ffbh_u32_e32 v24, v21
	v_min_u32_e32 v24, 32, v24
	v_lshrrev_b16_e32 v23, 3, v22
	v_subrev_u32_e32 v25, 28, v24
	v_and_b32_e32 v23, 15, v23
	v_lshlrev_b32_e32 v22, v25, v22
	v_sub_u32_e32 v24, 29, v24
	v_and_b32_e32 v22, 7, v22
	v_cmp_eq_u16_e32 vcc, 0, v23
	v_cndmask_b32_e32 v21, v21, v22, vcc
	v_cndmask_b32_e32 v22, v23, v24, vcc
	v_lshlrev_b32_e32 v23, 16, v16
	v_mov_b32_e32 v24, 0x3b800000
	v_lshlrev_b32_e32 v21, 20, v21
	v_and_b32_e32 v23, 0x80000000, v23
	v_lshl_add_u32 v22, v22, 23, v24
	v_or3_b32 v21, v23, v22, v21
.LBB1_2188:
	s_or_b64 exec, exec, s[6:7]
	v_lshrrev_b32_e32 v22, 8, v12
	s_movk_i32 s4, 0x7f
	v_cmp_gt_i16_sdwa s[6:7], v22, s4 src0_sel:BYTE_0 src1_sel:DWORD
	s_mov_b64 s[4:5], 0
                                        ; implicit-def: $sgpr10
	s_and_saveexec_b64 s[8:9], s[6:7]
	s_xor_b64 s[6:7], exec, s[8:9]
	s_cbranch_execz .LBB1_2189
; %bb.12181:
	s_getpc_b64 s[14:15]
.Lpost_getpc1994:
	s_add_u32 s14, s14, (.LBB1_6285-.Lpost_getpc1994)&4294967295
	s_addc_u32 s15, s15, (.LBB1_6285-.Lpost_getpc1994)>>32
	s_setpc_b64 s[14:15]
.LBB1_2189:
	s_or_saveexec_b64 s[6:7], s[6:7]
	v_mov_b32_e32 v23, s10
	s_xor_b64 exec, exec, s[6:7]
	s_cbranch_execz .LBB1_2190
; %bb.12183:
	s_getpc_b64 s[14:15]
.Lpost_getpc1995:
	s_add_u32 s14, s14, (.LBB1_6288-.Lpost_getpc1995)&4294967295
	s_addc_u32 s15, s15, (.LBB1_6288-.Lpost_getpc1995)>>32
	s_setpc_b64 s[14:15]
.LBB1_2190:
	s_or_b64 exec, exec, s[6:7]
	s_and_saveexec_b64 s[6:7], s[4:5]
	s_cbranch_execz .LBB1_2192
.LBB1_2191:
	v_bfe_u32 v23, v12, 8, 2
	v_ffbh_u32_e32 v25, v23
	v_min_u32_e32 v25, 32, v25
	v_lshrrev_b16_e32 v24, 2, v22
	v_subrev_u32_e32 v26, 29, v25
	v_and_b32_e32 v24, 31, v24
	v_lshlrev_b32_e32 v22, v26, v22
	v_sub_u32_e32 v25, 30, v25
	v_and_b32_e32 v22, 3, v22
	v_cmp_eq_u16_e32 vcc, 0, v24
	v_cndmask_b32_e32 v22, v23, v22, vcc
	v_cndmask_b32_e32 v23, v24, v25, vcc
	v_lshlrev_b32_e32 v24, 16, v12
	v_mov_b32_e32 v25, 0x37800000
	v_lshlrev_b32_e32 v22, 21, v22
	v_and_b32_e32 v24, 0x80000000, v24
	v_lshl_add_u32 v23, v23, 23, v25
	v_or3_b32 v23, v24, v23, v22
.LBB1_2192:
	s_or_b64 exec, exec, s[6:7]
	s_nop 0
	v_mfma_f32_16x16x4f32 a[0:3], v21, v23, a[0:3]
	s_movk_i32 s4, 0xff
	v_and_b32_sdwa v22, v16, s4 dst_sel:DWORD dst_unused:UNUSED_PAD src0_sel:WORD_1 src1_sel:DWORD
	s_movk_i32 s4, 0x7f
	v_cmp_lt_i16_e32 vcc, s4, v22
	s_mov_b64 s[4:5], 0
                                        ; implicit-def: $sgpr10
	s_and_saveexec_b64 s[6:7], vcc
	s_xor_b64 s[6:7], exec, s[6:7]
	s_cbranch_execz .LBB1_2193
; %bb.12185:
	s_getpc_b64 s[14:15]
.Lpost_getpc1996:
	s_add_u32 s14, s14, (.LBB1_6289-.Lpost_getpc1996)&4294967295
	s_addc_u32 s15, s15, (.LBB1_6289-.Lpost_getpc1996)>>32
	s_setpc_b64 s[14:15]
.LBB1_2193:
	s_or_saveexec_b64 s[6:7], s[6:7]
	v_mov_b32_e32 v21, s10
	s_xor_b64 exec, exec, s[6:7]
	s_cbranch_execz .LBB1_2194
; %bb.12187:
	s_getpc_b64 s[14:15]
.Lpost_getpc1997:
	s_add_u32 s14, s14, (.LBB1_6292-.Lpost_getpc1997)&4294967295
	s_addc_u32 s15, s15, (.LBB1_6292-.Lpost_getpc1997)>>32
	s_setpc_b64 s[14:15]
.LBB1_2194:
	s_or_b64 exec, exec, s[6:7]
	s_and_saveexec_b64 s[6:7], s[4:5]
	s_cbranch_execz .LBB1_2196
.LBB1_2195:
	v_bfe_u32 v21, v16, 16, 3
	v_ffbh_u32_e32 v24, v21
	v_min_u32_e32 v24, 32, v24
	v_lshrrev_b32_e32 v22, 19, v16
	v_subrev_u32_e32 v25, 28, v24
	v_and_b32_e32 v22, 15, v22
	v_lshlrev_b32_sdwa v25, v25, v16 dst_sel:DWORD dst_unused:UNUSED_PAD src0_sel:DWORD src1_sel:WORD_1
	v_bfe_u32 v23, v16, 19, 4
	v_sub_u32_e32 v24, 29, v24
	v_and_b32_e32 v25, 7, v25
	v_cmp_eq_u16_e32 vcc, 0, v22
	v_cndmask_b32_e32 v21, v21, v25, vcc
	v_cndmask_b32_e32 v22, v23, v24, vcc
	v_lshlrev_b32_e32 v23, 8, v16
	v_mov_b32_e32 v24, 0x3b800000
	v_lshlrev_b32_e32 v21, 20, v21
	v_and_b32_e32 v23, 0x80000000, v23
	v_lshl_add_u32 v22, v22, 23, v24
	v_or3_b32 v21, v23, v22, v21
.LBB1_2196:
	s_or_b64 exec, exec, s[6:7]
	s_movk_i32 s4, 0xff
	v_and_b32_sdwa v22, v12, s4 dst_sel:DWORD dst_unused:UNUSED_PAD src0_sel:WORD_1 src1_sel:DWORD
	s_movk_i32 s4, 0x7f
	v_cmp_lt_i16_e32 vcc, s4, v22
	s_mov_b64 s[4:5], 0
                                        ; implicit-def: $sgpr10
	s_and_saveexec_b64 s[6:7], vcc
	s_xor_b64 s[6:7], exec, s[6:7]
	s_cbranch_execz .LBB1_2197
; %bb.12189:
	s_getpc_b64 s[14:15]
.Lpost_getpc1998:
	s_add_u32 s14, s14, (.LBB1_6293-.Lpost_getpc1998)&4294967295
	s_addc_u32 s15, s15, (.LBB1_6293-.Lpost_getpc1998)>>32
	s_setpc_b64 s[14:15]
.LBB1_2197:
	s_or_saveexec_b64 s[6:7], s[6:7]
	v_mov_b32_e32 v23, s10
	s_xor_b64 exec, exec, s[6:7]
	s_cbranch_execz .LBB1_2198
; %bb.12191:
	s_getpc_b64 s[14:15]
.Lpost_getpc1999:
	s_add_u32 s14, s14, (.LBB1_6296-.Lpost_getpc1999)&4294967295
	s_addc_u32 s15, s15, (.LBB1_6296-.Lpost_getpc1999)>>32
	s_setpc_b64 s[14:15]
.LBB1_2198:
	s_or_b64 exec, exec, s[6:7]
	s_and_saveexec_b64 s[6:7], s[4:5]
	s_cbranch_execz .LBB1_2200
.LBB1_2199:
	v_bfe_u32 v22, v12, 16, 2
	v_ffbh_u32_e32 v25, v22
	v_min_u32_e32 v25, 32, v25
	v_lshrrev_b32_e32 v23, 18, v12
	v_subrev_u32_e32 v26, 29, v25
	v_and_b32_e32 v23, 31, v23
	v_lshlrev_b32_sdwa v26, v26, v12 dst_sel:DWORD dst_unused:UNUSED_PAD src0_sel:DWORD src1_sel:WORD_1
	v_bfe_u32 v24, v12, 18, 5
	v_sub_u32_e32 v25, 30, v25
	v_and_b32_e32 v26, 3, v26
	v_cmp_eq_u16_e32 vcc, 0, v23
	v_cndmask_b32_e32 v22, v22, v26, vcc
	v_cndmask_b32_e32 v23, v24, v25, vcc
	v_lshlrev_b32_e32 v24, 8, v12
	v_mov_b32_e32 v25, 0x37800000
	v_lshlrev_b32_e32 v22, 21, v22
	v_and_b32_e32 v24, 0x80000000, v24
	v_lshl_add_u32 v23, v23, 23, v25
	v_or3_b32 v23, v24, v23, v22
.LBB1_2200:
	s_or_b64 exec, exec, s[6:7]
	s_nop 0
	v_mfma_f32_16x16x4f32 a[0:3], v21, v23, a[0:3]
	s_movk_i32 s4, 0x7f
	v_cmp_gt_i16_sdwa s[6:7], v16, s4 src0_sel:BYTE_3 src1_sel:DWORD
	s_mov_b64 s[4:5], 0
                                        ; implicit-def: $sgpr10
	s_and_saveexec_b64 s[8:9], s[6:7]
	s_xor_b64 s[6:7], exec, s[8:9]
	s_cbranch_execz .LBB1_2201
; %bb.12193:
	s_getpc_b64 s[14:15]
.Lpost_getpc2000:
	s_add_u32 s14, s14, (.LBB1_6297-.Lpost_getpc2000)&4294967295
	s_addc_u32 s15, s15, (.LBB1_6297-.Lpost_getpc2000)>>32
	s_setpc_b64 s[14:15]
.LBB1_2201:
	s_or_saveexec_b64 s[6:7], s[6:7]
	v_mov_b32_e32 v21, s10
	s_xor_b64 exec, exec, s[6:7]
	s_cbranch_execz .LBB1_2202
; %bb.12195:
	s_getpc_b64 s[14:15]
.Lpost_getpc2001:
	s_add_u32 s14, s14, (.LBB1_6300-.Lpost_getpc2001)&4294967295
	s_addc_u32 s15, s15, (.LBB1_6300-.Lpost_getpc2001)>>32
	s_setpc_b64 s[14:15]
.LBB1_2202:
	s_or_b64 exec, exec, s[6:7]
	s_and_saveexec_b64 s[6:7], s[4:5]
	s_cbranch_execz .LBB1_2204
.LBB1_2203:
	v_bfe_u32 v21, v16, 24, 3
	v_ffbh_u32_e32 v25, v21
	v_min_u32_e32 v25, 32, v25
	v_lshrrev_b32_e32 v23, 27, v16
	v_subrev_u32_e32 v26, 28, v25
	v_and_b32_e32 v22, 0x80000000, v16
	v_and_b32_e32 v23, 15, v23
	v_bfe_u32 v24, v16, 27, 4
	v_lshlrev_b32_sdwa v16, v26, v16 dst_sel:DWORD dst_unused:UNUSED_PAD src0_sel:DWORD src1_sel:BYTE_3
	v_sub_u32_e32 v25, 29, v25
	v_and_b32_e32 v16, 7, v16
	v_cmp_eq_u16_e32 vcc, 0, v23
	v_cndmask_b32_e32 v16, v21, v16, vcc
	v_cndmask_b32_e32 v21, v24, v25, vcc
	v_mov_b32_e32 v23, 0x3b800000
	v_lshlrev_b32_e32 v16, 20, v16
	v_lshl_add_u32 v21, v21, 23, v23
	v_or3_b32 v21, v22, v21, v16
.LBB1_2204:
	s_or_b64 exec, exec, s[6:7]
	s_movk_i32 s4, 0x7f
	v_cmp_gt_i16_sdwa s[6:7], v12, s4 src0_sel:BYTE_3 src1_sel:DWORD
	s_mov_b64 s[4:5], 0
                                        ; implicit-def: $sgpr10
	s_and_saveexec_b64 s[8:9], s[6:7]
	s_xor_b64 s[6:7], exec, s[8:9]
	s_cbranch_execz .LBB1_2205
; %bb.12197:
	s_getpc_b64 s[14:15]
.Lpost_getpc2002:
	s_add_u32 s14, s14, (.LBB1_6301-.Lpost_getpc2002)&4294967295
	s_addc_u32 s15, s15, (.LBB1_6301-.Lpost_getpc2002)>>32
	s_setpc_b64 s[14:15]
.LBB1_2205:
	s_or_saveexec_b64 s[6:7], s[6:7]
	v_mov_b32_e32 v16, s10
	s_xor_b64 exec, exec, s[6:7]
	s_cbranch_execz .LBB1_2206
; %bb.12199:
	s_getpc_b64 s[14:15]
.Lpost_getpc2003:
	s_add_u32 s14, s14, (.LBB1_6304-.Lpost_getpc2003)&4294967295
	s_addc_u32 s15, s15, (.LBB1_6304-.Lpost_getpc2003)>>32
	s_setpc_b64 s[14:15]
.LBB1_2206:
	s_or_b64 exec, exec, s[6:7]
	s_and_saveexec_b64 s[6:7], s[4:5]
	s_cbranch_execz .LBB1_2208
.LBB1_2207:
	v_bfe_u32 v16, v12, 24, 2
	v_ffbh_u32_e32 v25, v16
	v_min_u32_e32 v25, 32, v25
	v_lshrrev_b32_e32 v23, 26, v12
	v_subrev_u32_e32 v26, 29, v25
	v_and_b32_e32 v22, 0x80000000, v12
	v_and_b32_e32 v23, 31, v23
	v_bfe_u32 v24, v12, 26, 5
	v_lshlrev_b32_sdwa v12, v26, v12 dst_sel:DWORD dst_unused:UNUSED_PAD src0_sel:DWORD src1_sel:BYTE_3
	v_sub_u32_e32 v25, 30, v25
	v_and_b32_e32 v12, 3, v12
	v_cmp_eq_u16_e32 vcc, 0, v23
	v_cndmask_b32_e32 v12, v16, v12, vcc
	v_cndmask_b32_e32 v16, v24, v25, vcc
	v_mov_b32_e32 v23, 0x37800000
	v_lshlrev_b32_e32 v12, 21, v12
	v_lshl_add_u32 v16, v16, 23, v23
	v_or3_b32 v16, v22, v16, v12
.LBB1_2208:
	s_or_b64 exec, exec, s[6:7]
	s_nop 0
	v_mfma_f32_16x16x4f32 a[0:3], v21, v16, a[0:3]
	s_movk_i32 s4, 0x7f
	v_cmp_gt_i16_sdwa s[6:7], v17, s4 src0_sel:BYTE_0 src1_sel:DWORD
	s_mov_b64 s[4:5], 0
                                        ; implicit-def: $sgpr10
	s_and_saveexec_b64 s[8:9], s[6:7]
	s_xor_b64 s[6:7], exec, s[8:9]
	s_cbranch_execz .LBB1_2209
; %bb.12201:
	s_getpc_b64 s[14:15]
.Lpost_getpc2004:
	s_add_u32 s14, s14, (.LBB1_6305-.Lpost_getpc2004)&4294967295
	s_addc_u32 s15, s15, (.LBB1_6305-.Lpost_getpc2004)>>32
	s_setpc_b64 s[14:15]
.LBB1_2209:
	s_or_saveexec_b64 s[6:7], s[6:7]
	v_mov_b32_e32 v12, s10
	s_xor_b64 exec, exec, s[6:7]
	s_cbranch_execz .LBB1_2210
; %bb.12203:
	s_getpc_b64 s[14:15]
.Lpost_getpc2005:
	s_add_u32 s14, s14, (.LBB1_6308-.Lpost_getpc2005)&4294967295
	s_addc_u32 s15, s15, (.LBB1_6308-.Lpost_getpc2005)>>32
	s_setpc_b64 s[14:15]
.LBB1_2210:
	s_or_b64 exec, exec, s[6:7]
	s_and_saveexec_b64 s[6:7], s[4:5]
	s_cbranch_execz .LBB1_2212
.LBB1_2211:
	v_and_b32_e32 v12, 7, v17
	v_ffbh_u32_e32 v21, v12
	v_min_u32_e32 v21, 32, v21
	v_lshrrev_b16_e32 v16, 3, v17
	v_subrev_u32_e32 v22, 28, v21
	v_and_b32_e32 v16, 15, v16
	v_lshlrev_b32_e32 v22, v22, v17
	v_sub_u32_e32 v21, 29, v21
	v_and_b32_e32 v22, 7, v22
	v_cmp_eq_u16_e32 vcc, 0, v16
	v_cndmask_b32_e32 v12, v12, v22, vcc
	v_cndmask_b32_e32 v16, v16, v21, vcc
	v_lshlrev_b32_e32 v21, 24, v17
	v_mov_b32_e32 v22, 0x3b800000
	v_lshlrev_b32_e32 v12, 20, v12
	v_and_b32_e32 v21, 0x80000000, v21
	v_lshl_add_u32 v16, v16, 23, v22
	v_or3_b32 v12, v21, v16, v12
.LBB1_2212:
	s_or_b64 exec, exec, s[6:7]
	s_movk_i32 s4, 0x7f
	v_cmp_gt_i16_sdwa s[6:7], v13, s4 src0_sel:BYTE_0 src1_sel:DWORD
	s_mov_b64 s[4:5], 0
                                        ; implicit-def: $sgpr10
	s_and_saveexec_b64 s[8:9], s[6:7]
	s_xor_b64 s[6:7], exec, s[8:9]
	s_cbranch_execz .LBB1_2213
; %bb.12205:
	s_getpc_b64 s[14:15]
.Lpost_getpc2006:
	s_add_u32 s14, s14, (.LBB1_6309-.Lpost_getpc2006)&4294967295
	s_addc_u32 s15, s15, (.LBB1_6309-.Lpost_getpc2006)>>32
	s_setpc_b64 s[14:15]
.LBB1_2213:
	s_or_saveexec_b64 s[6:7], s[6:7]
	v_mov_b32_e32 v16, s10
	s_xor_b64 exec, exec, s[6:7]
	s_cbranch_execz .LBB1_2214
; %bb.12207:
	s_getpc_b64 s[14:15]
.Lpost_getpc2007:
	s_add_u32 s14, s14, (.LBB1_6312-.Lpost_getpc2007)&4294967295
	s_addc_u32 s15, s15, (.LBB1_6312-.Lpost_getpc2007)>>32
	s_setpc_b64 s[14:15]
.LBB1_2214:
	s_or_b64 exec, exec, s[6:7]
	s_and_saveexec_b64 s[6:7], s[4:5]
	s_cbranch_execz .LBB1_2216
.LBB1_2215:
	v_and_b32_e32 v16, 3, v13
	v_ffbh_u32_e32 v22, v16
	v_min_u32_e32 v22, 32, v22
	v_lshrrev_b16_e32 v21, 2, v13
	v_subrev_u32_e32 v23, 29, v22
	v_and_b32_e32 v21, 31, v21
	v_lshlrev_b32_e32 v23, v23, v13
	v_sub_u32_e32 v22, 30, v22
	v_and_b32_e32 v23, 3, v23
	v_cmp_eq_u16_e32 vcc, 0, v21
	v_cndmask_b32_e32 v16, v16, v23, vcc
	v_cndmask_b32_e32 v21, v21, v22, vcc
	v_lshlrev_b32_e32 v22, 24, v13
	v_mov_b32_e32 v23, 0x37800000
	v_lshlrev_b32_e32 v16, 21, v16
	v_and_b32_e32 v22, 0x80000000, v22
	v_lshl_add_u32 v21, v21, 23, v23
	v_or3_b32 v16, v22, v21, v16
.LBB1_2216:
	s_or_b64 exec, exec, s[6:7]
	s_nop 0
	v_mfma_f32_16x16x4f32 a[0:3], v12, v16, a[0:3]
	v_lshrrev_b32_e32 v16, 8, v17
	s_movk_i32 s4, 0x7f
	v_cmp_gt_i16_sdwa s[6:7], v16, s4 src0_sel:BYTE_0 src1_sel:DWORD
	s_mov_b64 s[4:5], 0
                                        ; implicit-def: $sgpr10
	s_and_saveexec_b64 s[8:9], s[6:7]
	s_xor_b64 s[6:7], exec, s[8:9]
	s_cbranch_execz .LBB1_2217
; %bb.12209:
	s_getpc_b64 s[14:15]
.Lpost_getpc2008:
	s_add_u32 s14, s14, (.LBB1_6313-.Lpost_getpc2008)&4294967295
	s_addc_u32 s15, s15, (.LBB1_6313-.Lpost_getpc2008)>>32
	s_setpc_b64 s[14:15]
.LBB1_2217:
	s_or_saveexec_b64 s[6:7], s[6:7]
	v_mov_b32_e32 v12, s10
	s_xor_b64 exec, exec, s[6:7]
	s_cbranch_execz .LBB1_2218
; %bb.12211:
	s_getpc_b64 s[14:15]
.Lpost_getpc2009:
	s_add_u32 s14, s14, (.LBB1_6316-.Lpost_getpc2009)&4294967295
	s_addc_u32 s15, s15, (.LBB1_6316-.Lpost_getpc2009)>>32
	s_setpc_b64 s[14:15]
.LBB1_2218:
	s_or_b64 exec, exec, s[6:7]
	s_and_saveexec_b64 s[6:7], s[4:5]
	s_cbranch_execz .LBB1_2220
.LBB1_2219:
	v_bfe_u32 v12, v17, 8, 3
	v_ffbh_u32_e32 v22, v12
	v_min_u32_e32 v22, 32, v22
	v_lshrrev_b16_e32 v21, 3, v16
	v_subrev_u32_e32 v23, 28, v22
	v_and_b32_e32 v21, 15, v21
	v_lshlrev_b32_e32 v16, v23, v16
	v_sub_u32_e32 v22, 29, v22
	v_and_b32_e32 v16, 7, v16
	v_cmp_eq_u16_e32 vcc, 0, v21
	v_cndmask_b32_e32 v12, v12, v16, vcc
	v_cndmask_b32_e32 v16, v21, v22, vcc
	v_lshlrev_b32_e32 v21, 16, v17
	v_mov_b32_e32 v22, 0x3b800000
	v_lshlrev_b32_e32 v12, 20, v12
	v_and_b32_e32 v21, 0x80000000, v21
	v_lshl_add_u32 v16, v16, 23, v22
	v_or3_b32 v12, v21, v16, v12
.LBB1_2220:
	s_or_b64 exec, exec, s[6:7]
	v_lshrrev_b32_e32 v16, 8, v13
	s_movk_i32 s4, 0x7f
	v_cmp_gt_i16_sdwa s[6:7], v16, s4 src0_sel:BYTE_0 src1_sel:DWORD
	s_mov_b64 s[4:5], 0
                                        ; implicit-def: $sgpr10
	s_and_saveexec_b64 s[8:9], s[6:7]
	s_xor_b64 s[6:7], exec, s[8:9]
	s_cbranch_execz .LBB1_2221
; %bb.12213:
	s_getpc_b64 s[14:15]
.Lpost_getpc2010:
	s_add_u32 s14, s14, (.LBB1_6317-.Lpost_getpc2010)&4294967295
	s_addc_u32 s15, s15, (.LBB1_6317-.Lpost_getpc2010)>>32
	s_setpc_b64 s[14:15]
.LBB1_2221:
	s_or_saveexec_b64 s[6:7], s[6:7]
	v_mov_b32_e32 v21, s10
	s_xor_b64 exec, exec, s[6:7]
	s_cbranch_execz .LBB1_2222
; %bb.12215:
	s_getpc_b64 s[14:15]
.Lpost_getpc2011:
	s_add_u32 s14, s14, (.LBB1_6320-.Lpost_getpc2011)&4294967295
	s_addc_u32 s15, s15, (.LBB1_6320-.Lpost_getpc2011)>>32
	s_setpc_b64 s[14:15]
.LBB1_2222:
	s_or_b64 exec, exec, s[6:7]
	s_and_saveexec_b64 s[6:7], s[4:5]
	s_cbranch_execz .LBB1_2224
.LBB1_2223:
	v_bfe_u32 v21, v13, 8, 2
	v_ffbh_u32_e32 v23, v21
	v_min_u32_e32 v23, 32, v23
	v_lshrrev_b16_e32 v22, 2, v16
	v_subrev_u32_e32 v24, 29, v23
	v_and_b32_e32 v22, 31, v22
	v_lshlrev_b32_e32 v16, v24, v16
	v_sub_u32_e32 v23, 30, v23
	v_and_b32_e32 v16, 3, v16
	v_cmp_eq_u16_e32 vcc, 0, v22
	v_cndmask_b32_e32 v16, v21, v16, vcc
	v_cndmask_b32_e32 v21, v22, v23, vcc
	v_lshlrev_b32_e32 v22, 16, v13
	v_mov_b32_e32 v23, 0x37800000
	v_lshlrev_b32_e32 v16, 21, v16
	v_and_b32_e32 v22, 0x80000000, v22
	v_lshl_add_u32 v21, v21, 23, v23
	v_or3_b32 v21, v22, v21, v16
.LBB1_2224:
	s_or_b64 exec, exec, s[6:7]
	s_nop 0
	v_mfma_f32_16x16x4f32 a[0:3], v12, v21, a[0:3]
	s_movk_i32 s4, 0xff
	v_and_b32_sdwa v16, v17, s4 dst_sel:DWORD dst_unused:UNUSED_PAD src0_sel:WORD_1 src1_sel:DWORD
	s_movk_i32 s4, 0x7f
	v_cmp_lt_i16_e32 vcc, s4, v16
	s_mov_b64 s[4:5], 0
                                        ; implicit-def: $sgpr10
	s_and_saveexec_b64 s[6:7], vcc
	s_xor_b64 s[6:7], exec, s[6:7]
	s_cbranch_execz .LBB1_2225
; %bb.12217:
	s_getpc_b64 s[14:15]
.Lpost_getpc2012:
	s_add_u32 s14, s14, (.LBB1_6321-.Lpost_getpc2012)&4294967295
	s_addc_u32 s15, s15, (.LBB1_6321-.Lpost_getpc2012)>>32
	s_setpc_b64 s[14:15]
.LBB1_2225:
	s_or_saveexec_b64 s[6:7], s[6:7]
	v_mov_b32_e32 v12, s10
	s_xor_b64 exec, exec, s[6:7]
	s_cbranch_execz .LBB1_2226
; %bb.12219:
	s_getpc_b64 s[14:15]
.Lpost_getpc2013:
	s_add_u32 s14, s14, (.LBB1_6324-.Lpost_getpc2013)&4294967295
	s_addc_u32 s15, s15, (.LBB1_6324-.Lpost_getpc2013)>>32
	s_setpc_b64 s[14:15]
.LBB1_2226:
	s_or_b64 exec, exec, s[6:7]
	s_and_saveexec_b64 s[6:7], s[4:5]
	s_cbranch_execz .LBB1_2228
.LBB1_2227:
	v_bfe_u32 v12, v17, 16, 3
	v_ffbh_u32_e32 v22, v12
	v_min_u32_e32 v22, 32, v22
	v_lshrrev_b32_e32 v16, 19, v17
	v_subrev_u32_e32 v23, 28, v22
	v_and_b32_e32 v16, 15, v16
	v_lshlrev_b32_sdwa v23, v23, v17 dst_sel:DWORD dst_unused:UNUSED_PAD src0_sel:DWORD src1_sel:WORD_1
	v_bfe_u32 v21, v17, 19, 4
	v_sub_u32_e32 v22, 29, v22
	v_and_b32_e32 v23, 7, v23
	v_cmp_eq_u16_e32 vcc, 0, v16
	v_cndmask_b32_e32 v12, v12, v23, vcc
	v_cndmask_b32_e32 v16, v21, v22, vcc
	v_lshlrev_b32_e32 v21, 8, v17
	v_mov_b32_e32 v22, 0x3b800000
	v_lshlrev_b32_e32 v12, 20, v12
	v_and_b32_e32 v21, 0x80000000, v21
	v_lshl_add_u32 v16, v16, 23, v22
	v_or3_b32 v12, v21, v16, v12
.LBB1_2228:
	s_or_b64 exec, exec, s[6:7]
	s_movk_i32 s4, 0xff
	v_and_b32_sdwa v16, v13, s4 dst_sel:DWORD dst_unused:UNUSED_PAD src0_sel:WORD_1 src1_sel:DWORD
	s_movk_i32 s4, 0x7f
	v_cmp_lt_i16_e32 vcc, s4, v16
	s_mov_b64 s[4:5], 0
                                        ; implicit-def: $sgpr10
	s_and_saveexec_b64 s[6:7], vcc
	s_xor_b64 s[6:7], exec, s[6:7]
	s_cbranch_execz .LBB1_2229
; %bb.12221:
	s_getpc_b64 s[14:15]
.Lpost_getpc2014:
	s_add_u32 s14, s14, (.LBB1_6325-.Lpost_getpc2014)&4294967295
	s_addc_u32 s15, s15, (.LBB1_6325-.Lpost_getpc2014)>>32
	s_setpc_b64 s[14:15]
.LBB1_2229:
	s_or_saveexec_b64 s[6:7], s[6:7]
	v_mov_b32_e32 v21, s10
	s_xor_b64 exec, exec, s[6:7]
	s_cbranch_execz .LBB1_2230
; %bb.12223:
	s_getpc_b64 s[14:15]
.Lpost_getpc2015:
	s_add_u32 s14, s14, (.LBB1_6328-.Lpost_getpc2015)&4294967295
	s_addc_u32 s15, s15, (.LBB1_6328-.Lpost_getpc2015)>>32
	s_setpc_b64 s[14:15]
.LBB1_2230:
	s_or_b64 exec, exec, s[6:7]
	s_and_saveexec_b64 s[6:7], s[4:5]
	s_cbranch_execz .LBB1_2232
.LBB1_2231:
	v_bfe_u32 v16, v13, 16, 2
	v_ffbh_u32_e32 v23, v16
	v_min_u32_e32 v23, 32, v23
	v_lshrrev_b32_e32 v21, 18, v13
	v_subrev_u32_e32 v24, 29, v23
	v_and_b32_e32 v21, 31, v21
	v_lshlrev_b32_sdwa v24, v24, v13 dst_sel:DWORD dst_unused:UNUSED_PAD src0_sel:DWORD src1_sel:WORD_1
	v_bfe_u32 v22, v13, 18, 5
	v_sub_u32_e32 v23, 30, v23
	v_and_b32_e32 v24, 3, v24
	v_cmp_eq_u16_e32 vcc, 0, v21
	v_cndmask_b32_e32 v16, v16, v24, vcc
	v_cndmask_b32_e32 v21, v22, v23, vcc
	v_lshlrev_b32_e32 v22, 8, v13
	v_mov_b32_e32 v23, 0x37800000
	v_lshlrev_b32_e32 v16, 21, v16
	v_and_b32_e32 v22, 0x80000000, v22
	v_lshl_add_u32 v21, v21, 23, v23
	v_or3_b32 v21, v22, v21, v16
.LBB1_2232:
	s_or_b64 exec, exec, s[6:7]
	s_nop 0
	v_mfma_f32_16x16x4f32 a[0:3], v12, v21, a[0:3]
	s_movk_i32 s4, 0x7f
	v_cmp_gt_i16_sdwa s[6:7], v17, s4 src0_sel:BYTE_3 src1_sel:DWORD
	s_mov_b64 s[4:5], 0
                                        ; implicit-def: $sgpr10
	s_and_saveexec_b64 s[8:9], s[6:7]
	s_xor_b64 s[6:7], exec, s[8:9]
	s_cbranch_execz .LBB1_2233
; %bb.12225:
	s_getpc_b64 s[14:15]
.Lpost_getpc2016:
	s_add_u32 s14, s14, (.LBB1_6329-.Lpost_getpc2016)&4294967295
	s_addc_u32 s15, s15, (.LBB1_6329-.Lpost_getpc2016)>>32
	s_setpc_b64 s[14:15]
.LBB1_2233:
	s_or_saveexec_b64 s[6:7], s[6:7]
	v_mov_b32_e32 v12, s10
	s_xor_b64 exec, exec, s[6:7]
	s_cbranch_execz .LBB1_2234
; %bb.12227:
	s_getpc_b64 s[14:15]
.Lpost_getpc2017:
	s_add_u32 s14, s14, (.LBB1_6332-.Lpost_getpc2017)&4294967295
	s_addc_u32 s15, s15, (.LBB1_6332-.Lpost_getpc2017)>>32
	s_setpc_b64 s[14:15]
.LBB1_2234:
	s_or_b64 exec, exec, s[6:7]
	s_and_saveexec_b64 s[6:7], s[4:5]
	s_cbranch_execz .LBB1_2236
.LBB1_2235:
	v_bfe_u32 v12, v17, 24, 3
	v_ffbh_u32_e32 v23, v12
	v_min_u32_e32 v23, 32, v23
	v_lshrrev_b32_e32 v21, 27, v17
	v_subrev_u32_e32 v24, 28, v23
	v_and_b32_e32 v16, 0x80000000, v17
	v_and_b32_e32 v21, 15, v21
	v_bfe_u32 v22, v17, 27, 4
	v_lshlrev_b32_sdwa v17, v24, v17 dst_sel:DWORD dst_unused:UNUSED_PAD src0_sel:DWORD src1_sel:BYTE_3
	v_sub_u32_e32 v23, 29, v23
	v_and_b32_e32 v17, 7, v17
	v_cmp_eq_u16_e32 vcc, 0, v21
	v_cndmask_b32_e32 v12, v12, v17, vcc
	v_cndmask_b32_e32 v17, v22, v23, vcc
	v_mov_b32_e32 v21, 0x3b800000
	v_lshlrev_b32_e32 v12, 20, v12
	v_lshl_add_u32 v17, v17, 23, v21
	v_or3_b32 v12, v16, v17, v12
.LBB1_2236:
	s_or_b64 exec, exec, s[6:7]
	s_movk_i32 s4, 0x7f
	v_cmp_gt_i16_sdwa s[6:7], v13, s4 src0_sel:BYTE_3 src1_sel:DWORD
	s_mov_b64 s[4:5], 0
                                        ; implicit-def: $sgpr10
	s_and_saveexec_b64 s[8:9], s[6:7]
	s_xor_b64 s[6:7], exec, s[8:9]
	s_cbranch_execz .LBB1_2237
; %bb.12229:
	s_getpc_b64 s[14:15]
.Lpost_getpc2018:
	s_add_u32 s14, s14, (.LBB1_6333-.Lpost_getpc2018)&4294967295
	s_addc_u32 s15, s15, (.LBB1_6333-.Lpost_getpc2018)>>32
	s_setpc_b64 s[14:15]
.LBB1_2237:
	s_or_saveexec_b64 s[6:7], s[6:7]
	v_mov_b32_e32 v16, s10
	s_xor_b64 exec, exec, s[6:7]
	s_cbranch_execz .LBB1_2238
; %bb.12231:
	s_getpc_b64 s[14:15]
.Lpost_getpc2019:
	s_add_u32 s14, s14, (.LBB1_6336-.Lpost_getpc2019)&4294967295
	s_addc_u32 s15, s15, (.LBB1_6336-.Lpost_getpc2019)>>32
	s_setpc_b64 s[14:15]
.LBB1_2238:
	s_or_b64 exec, exec, s[6:7]
	s_and_saveexec_b64 s[6:7], s[4:5]
	s_cbranch_execz .LBB1_2240
.LBB1_2239:
	v_bfe_u32 v16, v13, 24, 2
	v_ffbh_u32_e32 v23, v16
	v_min_u32_e32 v23, 32, v23
	v_lshrrev_b32_e32 v21, 26, v13
	v_subrev_u32_e32 v24, 29, v23
	v_and_b32_e32 v17, 0x80000000, v13
	v_and_b32_e32 v21, 31, v21
	v_bfe_u32 v22, v13, 26, 5
	v_lshlrev_b32_sdwa v13, v24, v13 dst_sel:DWORD dst_unused:UNUSED_PAD src0_sel:DWORD src1_sel:BYTE_3
	v_sub_u32_e32 v23, 30, v23
	v_and_b32_e32 v13, 3, v13
	v_cmp_eq_u16_e32 vcc, 0, v21
	v_cndmask_b32_e32 v13, v16, v13, vcc
	v_cndmask_b32_e32 v16, v22, v23, vcc
	v_mov_b32_e32 v21, 0x37800000
	v_lshlrev_b32_e32 v13, 21, v13
	v_lshl_add_u32 v16, v16, 23, v21
	v_or3_b32 v16, v17, v16, v13
.LBB1_2240:
	s_or_b64 exec, exec, s[6:7]
	s_nop 0
	v_mfma_f32_16x16x4f32 a[0:3], v12, v16, a[0:3]
	s_movk_i32 s4, 0x7f
	v_cmp_gt_i16_sdwa s[6:7], v18, s4 src0_sel:BYTE_0 src1_sel:DWORD
	s_mov_b64 s[4:5], 0
                                        ; implicit-def: $sgpr10
	s_and_saveexec_b64 s[8:9], s[6:7]
	s_xor_b64 s[6:7], exec, s[8:9]
	s_cbranch_execz .LBB1_2241
; %bb.12233:
	s_getpc_b64 s[14:15]
.Lpost_getpc2020:
	s_add_u32 s14, s14, (.LBB1_6337-.Lpost_getpc2020)&4294967295
	s_addc_u32 s15, s15, (.LBB1_6337-.Lpost_getpc2020)>>32
	s_setpc_b64 s[14:15]
.LBB1_2241:
	s_or_saveexec_b64 s[6:7], s[6:7]
	v_mov_b32_e32 v13, s10
	s_xor_b64 exec, exec, s[6:7]
	s_cbranch_execz .LBB1_2242
; %bb.12235:
	s_getpc_b64 s[14:15]
.Lpost_getpc2021:
	s_add_u32 s14, s14, (.LBB1_6340-.Lpost_getpc2021)&4294967295
	s_addc_u32 s15, s15, (.LBB1_6340-.Lpost_getpc2021)>>32
	s_setpc_b64 s[14:15]
.LBB1_2242:
	s_or_b64 exec, exec, s[6:7]
	s_and_saveexec_b64 s[6:7], s[4:5]
	s_cbranch_execz .LBB1_2244
.LBB1_2243:
	v_and_b32_e32 v12, 7, v18
	v_ffbh_u32_e32 v16, v12
	v_min_u32_e32 v16, 32, v16
	v_lshrrev_b16_e32 v13, 3, v18
	v_subrev_u32_e32 v17, 28, v16
	v_and_b32_e32 v13, 15, v13
	v_lshlrev_b32_e32 v17, v17, v18
	v_sub_u32_e32 v16, 29, v16
	v_and_b32_e32 v17, 7, v17
	v_cmp_eq_u16_e32 vcc, 0, v13
	v_cndmask_b32_e32 v12, v12, v17, vcc
	v_cndmask_b32_e32 v13, v13, v16, vcc
	v_lshlrev_b32_e32 v16, 24, v18
	v_mov_b32_e32 v17, 0x3b800000
	v_lshlrev_b32_e32 v12, 20, v12
	v_and_b32_e32 v16, 0x80000000, v16
	v_lshl_add_u32 v13, v13, 23, v17
	v_or3_b32 v13, v16, v13, v12
.LBB1_2244:
	s_or_b64 exec, exec, s[6:7]
	s_movk_i32 s4, 0xff
	v_mov_b32_e32 v12, 8
	v_or_b32_sdwa v16, v14, v20 dst_sel:DWORD dst_unused:UNUSED_PAD src0_sel:BYTE_0 src1_sel:DWORD
	v_lshlrev_b16_sdwa v12, v12, v14 dst_sel:DWORD dst_unused:UNUSED_PAD src0_sel:DWORD src1_sel:BYTE_3
	v_and_b32_sdwa v14, v14, s4 dst_sel:DWORD dst_unused:UNUSED_PAD src0_sel:WORD_1 src1_sel:DWORD
	s_movk_i32 s4, 0x7f
	v_or_b32_sdwa v12, v14, v12 dst_sel:WORD_1 dst_unused:UNUSED_PAD src0_sel:DWORD src1_sel:DWORD
	v_cmp_gt_i16_sdwa s[6:7], v16, s4 src0_sel:BYTE_0 src1_sel:DWORD
	s_mov_b64 s[4:5], 0
                                        ; implicit-def: $sgpr10
	s_and_saveexec_b64 s[8:9], s[6:7]
	s_xor_b64 s[6:7], exec, s[8:9]
	s_cbranch_execz .LBB1_2245
; %bb.12237:
	s_getpc_b64 s[14:15]
.Lpost_getpc2022:
	s_add_u32 s14, s14, (.LBB1_6341-.Lpost_getpc2022)&4294967295
	s_addc_u32 s15, s15, (.LBB1_6341-.Lpost_getpc2022)>>32
	s_setpc_b64 s[14:15]
.LBB1_2245:
	s_or_saveexec_b64 s[6:7], s[6:7]
	v_mov_b32_e32 v14, s10
	s_xor_b64 exec, exec, s[6:7]
	s_cbranch_execz .LBB1_2246
; %bb.12239:
	s_getpc_b64 s[14:15]
.Lpost_getpc2023:
	s_add_u32 s14, s14, (.LBB1_6344-.Lpost_getpc2023)&4294967295
	s_addc_u32 s15, s15, (.LBB1_6344-.Lpost_getpc2023)>>32
	s_setpc_b64 s[14:15]
.LBB1_2246:
	s_or_b64 exec, exec, s[6:7]
	v_or_b32_sdwa v12, v16, v12 dst_sel:DWORD dst_unused:UNUSED_PAD src0_sel:WORD_0 src1_sel:DWORD
	s_and_saveexec_b64 s[6:7], s[4:5]
	s_cbranch_execz .LBB1_2248
.LBB1_2247:
	v_and_b32_e32 v14, 3, v12
	v_ffbh_u32_e32 v17, v14
	v_min_u32_e32 v17, 32, v17
	v_lshrrev_b16_e32 v16, 2, v16
	v_subrev_u32_e32 v20, 29, v17
	v_and_b32_e32 v16, 31, v16
	v_lshlrev_b32_e32 v20, v20, v12
	v_sub_u32_e32 v17, 30, v17
	v_and_b32_e32 v20, 3, v20
	v_cmp_eq_u16_e32 vcc, 0, v16
	v_cndmask_b32_e32 v14, v14, v20, vcc
	v_cndmask_b32_e32 v16, v16, v17, vcc
	v_lshlrev_b32_e32 v17, 24, v12
	v_mov_b32_e32 v20, 0x37800000
	v_lshlrev_b32_e32 v14, 21, v14
	v_and_b32_e32 v17, 0x80000000, v17
	v_lshl_add_u32 v16, v16, 23, v20
	v_or3_b32 v14, v17, v16, v14
.LBB1_2248:
	s_or_b64 exec, exec, s[6:7]
	s_nop 0
	v_mfma_f32_16x16x4f32 a[0:3], v13, v14, a[0:3]
	v_lshrrev_b32_e32 v14, 8, v18
	s_movk_i32 s4, 0x7f
	v_cmp_gt_i16_sdwa s[6:7], v14, s4 src0_sel:BYTE_0 src1_sel:DWORD
	s_mov_b64 s[4:5], 0
                                        ; implicit-def: $sgpr10
	s_and_saveexec_b64 s[8:9], s[6:7]
	s_xor_b64 s[6:7], exec, s[8:9]
	s_cbranch_execz .LBB1_2249
; %bb.12241:
	s_getpc_b64 s[14:15]
.Lpost_getpc2024:
	s_add_u32 s14, s14, (.LBB1_6345-.Lpost_getpc2024)&4294967295
	s_addc_u32 s15, s15, (.LBB1_6345-.Lpost_getpc2024)>>32
	s_setpc_b64 s[14:15]
.LBB1_2249:
	s_or_saveexec_b64 s[6:7], s[6:7]
	v_mov_b32_e32 v13, s10
	s_xor_b64 exec, exec, s[6:7]
	s_cbranch_execz .LBB1_2250
; %bb.12243:
	s_getpc_b64 s[14:15]
.Lpost_getpc2025:
	s_add_u32 s14, s14, (.LBB1_6348-.Lpost_getpc2025)&4294967295
	s_addc_u32 s15, s15, (.LBB1_6348-.Lpost_getpc2025)>>32
	s_setpc_b64 s[14:15]
.LBB1_2250:
	s_or_b64 exec, exec, s[6:7]
	s_and_saveexec_b64 s[6:7], s[4:5]
	s_cbranch_execz .LBB1_2252
.LBB1_2251:
	v_bfe_u32 v13, v18, 8, 3
	v_ffbh_u32_e32 v17, v13
	v_min_u32_e32 v17, 32, v17
	v_lshrrev_b16_e32 v16, 3, v14
	v_subrev_u32_e32 v20, 28, v17
	v_and_b32_e32 v16, 15, v16
	v_lshlrev_b32_e32 v14, v20, v14
	v_sub_u32_e32 v17, 29, v17
	v_and_b32_e32 v14, 7, v14
	v_cmp_eq_u16_e32 vcc, 0, v16
	v_cndmask_b32_e32 v13, v13, v14, vcc
	v_cndmask_b32_e32 v14, v16, v17, vcc
	v_lshlrev_b32_e32 v16, 16, v18
	v_mov_b32_e32 v17, 0x3b800000
	v_lshlrev_b32_e32 v13, 20, v13
	v_and_b32_e32 v16, 0x80000000, v16
	v_lshl_add_u32 v14, v14, 23, v17
	v_or3_b32 v13, v16, v14, v13
.LBB1_2252:
	s_or_b64 exec, exec, s[6:7]
	v_lshrrev_b32_e32 v14, 8, v12
	s_movk_i32 s4, 0x7f
	v_cmp_gt_i16_sdwa s[6:7], v14, s4 src0_sel:BYTE_0 src1_sel:DWORD
	s_mov_b64 s[4:5], 0
                                        ; implicit-def: $sgpr10
	s_and_saveexec_b64 s[8:9], s[6:7]
	s_xor_b64 s[6:7], exec, s[8:9]
	s_cbranch_execz .LBB1_2253
; %bb.12245:
	s_getpc_b64 s[14:15]
.Lpost_getpc2026:
	s_add_u32 s14, s14, (.LBB1_6349-.Lpost_getpc2026)&4294967295
	s_addc_u32 s15, s15, (.LBB1_6349-.Lpost_getpc2026)>>32
	s_setpc_b64 s[14:15]
.LBB1_2253:
	s_or_saveexec_b64 s[6:7], s[6:7]
	v_mov_b32_e32 v16, s10
	s_xor_b64 exec, exec, s[6:7]
	s_cbranch_execz .LBB1_2254
; %bb.12247:
	s_getpc_b64 s[14:15]
.Lpost_getpc2027:
	s_add_u32 s14, s14, (.LBB1_6352-.Lpost_getpc2027)&4294967295
	s_addc_u32 s15, s15, (.LBB1_6352-.Lpost_getpc2027)>>32
	s_setpc_b64 s[14:15]
.LBB1_2254:
	s_or_b64 exec, exec, s[6:7]
	s_and_saveexec_b64 s[6:7], s[4:5]
	s_cbranch_execz .LBB1_2256
.LBB1_2255:
	v_bfe_u32 v16, v12, 8, 2
	v_ffbh_u32_e32 v20, v16
	v_min_u32_e32 v20, 32, v20
	v_lshrrev_b16_e32 v17, 2, v14
	v_subrev_u32_e32 v21, 29, v20
	v_and_b32_e32 v17, 31, v17
	v_lshlrev_b32_e32 v14, v21, v14
	v_sub_u32_e32 v20, 30, v20
	v_and_b32_e32 v14, 3, v14
	v_cmp_eq_u16_e32 vcc, 0, v17
	v_cndmask_b32_e32 v14, v16, v14, vcc
	v_cndmask_b32_e32 v16, v17, v20, vcc
	v_lshlrev_b32_e32 v17, 16, v12
	v_mov_b32_e32 v20, 0x37800000
	v_lshlrev_b32_e32 v14, 21, v14
	v_and_b32_e32 v17, 0x80000000, v17
	v_lshl_add_u32 v16, v16, 23, v20
	v_or3_b32 v16, v17, v16, v14
.LBB1_2256:
	s_or_b64 exec, exec, s[6:7]
	s_nop 0
	v_mfma_f32_16x16x4f32 a[0:3], v13, v16, a[0:3]
	s_movk_i32 s4, 0xff
	v_and_b32_sdwa v14, v18, s4 dst_sel:DWORD dst_unused:UNUSED_PAD src0_sel:WORD_1 src1_sel:DWORD
	s_movk_i32 s4, 0x7f
	v_cmp_lt_i16_e32 vcc, s4, v14
	s_mov_b64 s[4:5], 0
                                        ; implicit-def: $sgpr10
	s_and_saveexec_b64 s[6:7], vcc
	s_xor_b64 s[6:7], exec, s[6:7]
	s_cbranch_execz .LBB1_2257
; %bb.12249:
	s_getpc_b64 s[14:15]
.Lpost_getpc2028:
	s_add_u32 s14, s14, (.LBB1_6353-.Lpost_getpc2028)&4294967295
	s_addc_u32 s15, s15, (.LBB1_6353-.Lpost_getpc2028)>>32
	s_setpc_b64 s[14:15]
.LBB1_2257:
	s_or_saveexec_b64 s[6:7], s[6:7]
	v_mov_b32_e32 v13, s10
	s_xor_b64 exec, exec, s[6:7]
	s_cbranch_execz .LBB1_2258
; %bb.12251:
	s_getpc_b64 s[14:15]
.Lpost_getpc2029:
	s_add_u32 s14, s14, (.LBB1_6356-.Lpost_getpc2029)&4294967295
	s_addc_u32 s15, s15, (.LBB1_6356-.Lpost_getpc2029)>>32
	s_setpc_b64 s[14:15]
.LBB1_2258:
	s_or_b64 exec, exec, s[6:7]
	s_and_saveexec_b64 s[6:7], s[4:5]
	s_cbranch_execz .LBB1_2260
.LBB1_2259:
	v_bfe_u32 v13, v18, 16, 3
	v_ffbh_u32_e32 v17, v13
	v_min_u32_e32 v17, 32, v17
	v_lshrrev_b32_e32 v14, 19, v18
	v_subrev_u32_e32 v20, 28, v17
	v_and_b32_e32 v14, 15, v14
	v_lshlrev_b32_sdwa v20, v20, v18 dst_sel:DWORD dst_unused:UNUSED_PAD src0_sel:DWORD src1_sel:WORD_1
	v_bfe_u32 v16, v18, 19, 4
	v_sub_u32_e32 v17, 29, v17
	v_and_b32_e32 v20, 7, v20
	v_cmp_eq_u16_e32 vcc, 0, v14
	v_cndmask_b32_e32 v13, v13, v20, vcc
	v_cndmask_b32_e32 v14, v16, v17, vcc
	v_lshlrev_b32_e32 v16, 8, v18
	v_mov_b32_e32 v17, 0x3b800000
	v_lshlrev_b32_e32 v13, 20, v13
	v_and_b32_e32 v16, 0x80000000, v16
	v_lshl_add_u32 v14, v14, 23, v17
	v_or3_b32 v13, v16, v14, v13
.LBB1_2260:
	s_or_b64 exec, exec, s[6:7]
	s_movk_i32 s4, 0xff
	v_and_b32_sdwa v14, v12, s4 dst_sel:DWORD dst_unused:UNUSED_PAD src0_sel:WORD_1 src1_sel:DWORD
	s_movk_i32 s4, 0x7f
	v_cmp_lt_i16_e32 vcc, s4, v14
	s_mov_b64 s[4:5], 0
                                        ; implicit-def: $sgpr10
	s_and_saveexec_b64 s[6:7], vcc
	s_xor_b64 s[6:7], exec, s[6:7]
	s_cbranch_execz .LBB1_2261
; %bb.12253:
	s_getpc_b64 s[14:15]
.Lpost_getpc2030:
	s_add_u32 s14, s14, (.LBB1_6357-.Lpost_getpc2030)&4294967295
	s_addc_u32 s15, s15, (.LBB1_6357-.Lpost_getpc2030)>>32
	s_setpc_b64 s[14:15]
.LBB1_2261:
	s_or_saveexec_b64 s[6:7], s[6:7]
	v_mov_b32_e32 v16, s10
	s_xor_b64 exec, exec, s[6:7]
	s_cbranch_execz .LBB1_2262
; %bb.12255:
	s_getpc_b64 s[14:15]
.Lpost_getpc2031:
	s_add_u32 s14, s14, (.LBB1_6360-.Lpost_getpc2031)&4294967295
	s_addc_u32 s15, s15, (.LBB1_6360-.Lpost_getpc2031)>>32
	s_setpc_b64 s[14:15]
.LBB1_2262:
	s_or_b64 exec, exec, s[6:7]
	s_and_saveexec_b64 s[6:7], s[4:5]
	s_cbranch_execz .LBB1_2264
.LBB1_2263:
	v_bfe_u32 v14, v12, 16, 2
	v_ffbh_u32_e32 v20, v14
	v_min_u32_e32 v20, 32, v20
	v_lshrrev_b32_e32 v16, 18, v12
	v_subrev_u32_e32 v21, 29, v20
	v_and_b32_e32 v16, 31, v16
	v_lshlrev_b32_sdwa v21, v21, v12 dst_sel:DWORD dst_unused:UNUSED_PAD src0_sel:DWORD src1_sel:WORD_1
	v_bfe_u32 v17, v12, 18, 5
	v_sub_u32_e32 v20, 30, v20
	v_and_b32_e32 v21, 3, v21
	v_cmp_eq_u16_e32 vcc, 0, v16
	v_cndmask_b32_e32 v14, v14, v21, vcc
	v_cndmask_b32_e32 v16, v17, v20, vcc
	v_lshlrev_b32_e32 v17, 8, v12
	v_mov_b32_e32 v20, 0x37800000
	v_lshlrev_b32_e32 v14, 21, v14
	v_and_b32_e32 v17, 0x80000000, v17
	v_lshl_add_u32 v16, v16, 23, v20
	v_or3_b32 v16, v17, v16, v14
.LBB1_2264:
	s_or_b64 exec, exec, s[6:7]
	s_nop 0
	v_mfma_f32_16x16x4f32 a[0:3], v13, v16, a[0:3]
	s_movk_i32 s4, 0x7f
	v_cmp_gt_i16_sdwa s[6:7], v18, s4 src0_sel:BYTE_3 src1_sel:DWORD
	s_mov_b64 s[4:5], 0
                                        ; implicit-def: $sgpr10
	s_and_saveexec_b64 s[8:9], s[6:7]
	s_xor_b64 s[6:7], exec, s[8:9]
	s_cbranch_execz .LBB1_2265
; %bb.12257:
	s_getpc_b64 s[14:15]
.Lpost_getpc2032:
	s_add_u32 s14, s14, (.LBB1_6361-.Lpost_getpc2032)&4294967295
	s_addc_u32 s15, s15, (.LBB1_6361-.Lpost_getpc2032)>>32
	s_setpc_b64 s[14:15]
.LBB1_2265:
	s_or_saveexec_b64 s[6:7], s[6:7]
	v_mov_b32_e32 v13, s10
	s_xor_b64 exec, exec, s[6:7]
	s_cbranch_execz .LBB1_2266
; %bb.12259:
	s_getpc_b64 s[14:15]
.Lpost_getpc2033:
	s_add_u32 s14, s14, (.LBB1_6364-.Lpost_getpc2033)&4294967295
	s_addc_u32 s15, s15, (.LBB1_6364-.Lpost_getpc2033)>>32
	s_setpc_b64 s[14:15]
.LBB1_2266:
	s_or_b64 exec, exec, s[6:7]
	s_and_saveexec_b64 s[6:7], s[4:5]
	s_cbranch_execz .LBB1_2268
.LBB1_2267:
	v_bfe_u32 v13, v18, 24, 3
	v_ffbh_u32_e32 v20, v13
	v_min_u32_e32 v20, 32, v20
	v_lshrrev_b32_e32 v16, 27, v18
	v_subrev_u32_e32 v21, 28, v20
	v_and_b32_e32 v14, 0x80000000, v18
	v_and_b32_e32 v16, 15, v16
	v_bfe_u32 v17, v18, 27, 4
	v_lshlrev_b32_sdwa v18, v21, v18 dst_sel:DWORD dst_unused:UNUSED_PAD src0_sel:DWORD src1_sel:BYTE_3
	v_sub_u32_e32 v20, 29, v20
	v_and_b32_e32 v18, 7, v18
	v_cmp_eq_u16_e32 vcc, 0, v16
	v_cndmask_b32_e32 v13, v13, v18, vcc
	v_cndmask_b32_e32 v16, v17, v20, vcc
	v_mov_b32_e32 v17, 0x3b800000
	v_lshlrev_b32_e32 v13, 20, v13
	v_lshl_add_u32 v16, v16, 23, v17
	v_or3_b32 v13, v14, v16, v13
.LBB1_2268:
	s_or_b64 exec, exec, s[6:7]
	s_movk_i32 s4, 0x7f
	v_cmp_gt_i16_sdwa s[6:7], v12, s4 src0_sel:BYTE_3 src1_sel:DWORD
	s_mov_b64 s[4:5], 0
                                        ; implicit-def: $sgpr10
	s_and_saveexec_b64 s[8:9], s[6:7]
	s_xor_b64 s[6:7], exec, s[8:9]
	s_cbranch_execz .LBB1_2269
; %bb.12261:
	s_getpc_b64 s[14:15]
.Lpost_getpc2034:
	s_add_u32 s14, s14, (.LBB1_6365-.Lpost_getpc2034)&4294967295
	s_addc_u32 s15, s15, (.LBB1_6365-.Lpost_getpc2034)>>32
	s_setpc_b64 s[14:15]
.LBB1_2269:
	s_or_saveexec_b64 s[6:7], s[6:7]
	v_mov_b32_e32 v14, s10
	s_xor_b64 exec, exec, s[6:7]
	s_cbranch_execz .LBB1_2270
; %bb.12263:
	s_getpc_b64 s[14:15]
.Lpost_getpc2035:
	s_add_u32 s14, s14, (.LBB1_6368-.Lpost_getpc2035)&4294967295
	s_addc_u32 s15, s15, (.LBB1_6368-.Lpost_getpc2035)>>32
	s_setpc_b64 s[14:15]
.LBB1_2270:
	s_or_b64 exec, exec, s[6:7]
	s_and_saveexec_b64 s[6:7], s[4:5]
	s_cbranch_execz .LBB1_2272
.LBB1_2271:
	v_bfe_u32 v14, v12, 24, 2
	v_ffbh_u32_e32 v20, v14
	v_min_u32_e32 v20, 32, v20
	v_lshrrev_b32_e32 v17, 26, v12
	v_subrev_u32_e32 v21, 29, v20
	v_and_b32_e32 v16, 0x80000000, v12
	v_and_b32_e32 v17, 31, v17
	v_bfe_u32 v18, v12, 26, 5
	v_lshlrev_b32_sdwa v12, v21, v12 dst_sel:DWORD dst_unused:UNUSED_PAD src0_sel:DWORD src1_sel:BYTE_3
	v_sub_u32_e32 v20, 30, v20
	v_and_b32_e32 v12, 3, v12
	v_cmp_eq_u16_e32 vcc, 0, v17
	v_cndmask_b32_e32 v12, v14, v12, vcc
	v_cndmask_b32_e32 v14, v18, v20, vcc
	v_mov_b32_e32 v17, 0x37800000
	v_lshlrev_b32_e32 v12, 21, v12
	v_lshl_add_u32 v14, v14, 23, v17
	v_or3_b32 v14, v16, v14, v12
.LBB1_2272:
	s_or_b64 exec, exec, s[6:7]
	s_nop 0
	v_mfma_f32_16x16x4f32 a[0:3], v13, v14, a[0:3]
	s_movk_i32 s4, 0x7f
	v_cmp_gt_i16_sdwa s[6:7], v19, s4 src0_sel:BYTE_0 src1_sel:DWORD
	s_mov_b64 s[4:5], 0
                                        ; implicit-def: $sgpr10
	s_and_saveexec_b64 s[8:9], s[6:7]
	s_xor_b64 s[6:7], exec, s[8:9]
	s_cbranch_execz .LBB1_2273
; %bb.12265:
	s_getpc_b64 s[14:15]
.Lpost_getpc2036:
	s_add_u32 s14, s14, (.LBB1_6369-.Lpost_getpc2036)&4294967295
	s_addc_u32 s15, s15, (.LBB1_6369-.Lpost_getpc2036)>>32
	s_setpc_b64 s[14:15]
.LBB1_2273:
	s_or_saveexec_b64 s[6:7], s[6:7]
	v_mov_b32_e32 v12, s10
	s_xor_b64 exec, exec, s[6:7]
	s_cbranch_execz .LBB1_2274
; %bb.12267:
	s_getpc_b64 s[14:15]
.Lpost_getpc2037:
	s_add_u32 s14, s14, (.LBB1_6372-.Lpost_getpc2037)&4294967295
	s_addc_u32 s15, s15, (.LBB1_6372-.Lpost_getpc2037)>>32
	s_setpc_b64 s[14:15]
.LBB1_2274:
	s_or_b64 exec, exec, s[6:7]
	s_and_saveexec_b64 s[6:7], s[4:5]
	s_cbranch_execz .LBB1_2276
.LBB1_2275:
	v_mov_b32_e32 v12, 8
	v_and_b32_e32 v13, 7, v19
	v_lshrrev_b32_sdwa v12, v12, v19 dst_sel:BYTE_1 dst_unused:UNUSED_PAD src0_sel:DWORD src1_sel:DWORD
	v_ffbh_u32_e32 v14, v13
	v_or_b32_sdwa v12, v19, v12 dst_sel:DWORD dst_unused:UNUSED_PAD src0_sel:BYTE_0 src1_sel:DWORD
	v_min_u32_e32 v14, 32, v14
	v_lshrrev_b16_e32 v12, 3, v12
	v_subrev_u32_e32 v16, 28, v14
	v_and_b32_e32 v12, 15, v12
	v_lshlrev_b32_e32 v16, v16, v19
	v_sub_u32_e32 v14, 29, v14
	v_and_b32_e32 v16, 7, v16
	v_cmp_eq_u16_e32 vcc, 0, v12
	v_cndmask_b32_e32 v13, v13, v16, vcc
	v_cndmask_b32_e32 v12, v12, v14, vcc
	v_lshlrev_b32_e32 v14, 24, v19
	v_mov_b32_e32 v16, 0x3b800000
	v_lshlrev_b32_e32 v13, 20, v13
	v_and_b32_e32 v14, 0x80000000, v14
	v_lshl_add_u32 v12, v12, 23, v16
	v_or3_b32 v12, v14, v12, v13
.LBB1_2276:
	s_or_b64 exec, exec, s[6:7]
	s_movk_i32 s4, 0x7f
	v_cmp_gt_i16_sdwa s[6:7], v15, s4 src0_sel:BYTE_0 src1_sel:DWORD
	s_mov_b64 s[4:5], 0
                                        ; implicit-def: $sgpr10
	s_and_saveexec_b64 s[8:9], s[6:7]
	s_xor_b64 s[6:7], exec, s[8:9]
	s_cbranch_execz .LBB1_2277
; %bb.12269:
	s_getpc_b64 s[14:15]
.Lpost_getpc2038:
	s_add_u32 s14, s14, (.LBB1_6373-.Lpost_getpc2038)&4294967295
	s_addc_u32 s15, s15, (.LBB1_6373-.Lpost_getpc2038)>>32
	s_setpc_b64 s[14:15]
.LBB1_2277:
	s_or_saveexec_b64 s[6:7], s[6:7]
	v_mov_b32_e32 v13, s10
	s_xor_b64 exec, exec, s[6:7]
	s_cbranch_execz .LBB1_2278
; %bb.12271:
	s_getpc_b64 s[14:15]
.Lpost_getpc2039:
	s_add_u32 s14, s14, (.LBB1_6376-.Lpost_getpc2039)&4294967295
	s_addc_u32 s15, s15, (.LBB1_6376-.Lpost_getpc2039)>>32
	s_setpc_b64 s[14:15]
.LBB1_2278:
	s_or_b64 exec, exec, s[6:7]
	s_and_saveexec_b64 s[6:7], s[4:5]
	s_cbranch_execz .LBB1_2280
.LBB1_2279:
	v_and_b32_e32 v13, 3, v15
	v_ffbh_u32_e32 v16, v13
	v_min_u32_e32 v16, 32, v16
	v_lshrrev_b16_e32 v14, 2, v15
	v_subrev_u32_e32 v17, 29, v16
	v_and_b32_e32 v14, 31, v14
	v_lshlrev_b32_e32 v17, v17, v15
	v_sub_u32_e32 v16, 30, v16
	v_and_b32_e32 v17, 3, v17
	v_cmp_eq_u16_e32 vcc, 0, v14
	v_cndmask_b32_e32 v13, v13, v17, vcc
	v_cndmask_b32_e32 v14, v14, v16, vcc
	v_lshlrev_b32_e32 v16, 24, v15
	v_mov_b32_e32 v17, 0x37800000
	v_lshlrev_b32_e32 v13, 21, v13
	v_and_b32_e32 v16, 0x80000000, v16
	v_lshl_add_u32 v14, v14, 23, v17
	v_or3_b32 v13, v16, v14, v13
.LBB1_2280:
	s_or_b64 exec, exec, s[6:7]
	s_nop 0
	v_mfma_f32_16x16x4f32 a[0:3], v12, v13, a[0:3]
	v_lshrrev_b32_e32 v13, 8, v19
	s_movk_i32 s4, 0x7f
	v_cmp_gt_i16_sdwa s[6:7], v13, s4 src0_sel:BYTE_0 src1_sel:DWORD
	s_mov_b64 s[4:5], 0
                                        ; implicit-def: $sgpr10
	s_and_saveexec_b64 s[8:9], s[6:7]
	s_xor_b64 s[6:7], exec, s[8:9]
	s_cbranch_execz .LBB1_2281
; %bb.12273:
	s_getpc_b64 s[14:15]
.Lpost_getpc2040:
	s_add_u32 s14, s14, (.LBB1_6377-.Lpost_getpc2040)&4294967295
	s_addc_u32 s15, s15, (.LBB1_6377-.Lpost_getpc2040)>>32
	s_setpc_b64 s[14:15]
.LBB1_2281:
	s_or_saveexec_b64 s[6:7], s[6:7]
	v_mov_b32_e32 v12, s10
	s_xor_b64 exec, exec, s[6:7]
	s_cbranch_execz .LBB1_2282
; %bb.12275:
	s_getpc_b64 s[14:15]
.Lpost_getpc2041:
	s_add_u32 s14, s14, (.LBB1_6380-.Lpost_getpc2041)&4294967295
	s_addc_u32 s15, s15, (.LBB1_6380-.Lpost_getpc2041)>>32
	s_setpc_b64 s[14:15]
.LBB1_2282:
	s_or_b64 exec, exec, s[6:7]
	s_and_saveexec_b64 s[6:7], s[4:5]
	s_cbranch_execz .LBB1_2284
.LBB1_2283:
	v_bfe_u32 v12, v19, 8, 3
	v_ffbh_u32_e32 v16, v12
	v_min_u32_e32 v16, 32, v16
	v_lshrrev_b16_e32 v14, 3, v13
	v_subrev_u32_e32 v17, 28, v16
	v_and_b32_e32 v14, 15, v14
	v_lshlrev_b32_e32 v13, v17, v13
	v_sub_u32_e32 v16, 29, v16
	v_and_b32_e32 v13, 7, v13
	v_cmp_eq_u16_e32 vcc, 0, v14
	v_cndmask_b32_e32 v12, v12, v13, vcc
	v_cndmask_b32_e32 v13, v14, v16, vcc
	v_lshlrev_b32_e32 v14, 16, v19
	v_mov_b32_e32 v16, 0x3b800000
	v_lshlrev_b32_e32 v12, 20, v12
	v_and_b32_e32 v14, 0x80000000, v14
	v_lshl_add_u32 v13, v13, 23, v16
	v_or3_b32 v12, v14, v13, v12
.LBB1_2284:
	s_or_b64 exec, exec, s[6:7]
	v_lshrrev_b32_e32 v13, 8, v15
	s_movk_i32 s4, 0x7f
	v_cmp_gt_i16_sdwa s[6:7], v13, s4 src0_sel:BYTE_0 src1_sel:DWORD
	s_mov_b64 s[4:5], 0
                                        ; implicit-def: $sgpr10
	s_and_saveexec_b64 s[8:9], s[6:7]
	s_xor_b64 s[6:7], exec, s[8:9]
	s_cbranch_execz .LBB1_2285
; %bb.12277:
	s_getpc_b64 s[14:15]
.Lpost_getpc2042:
	s_add_u32 s14, s14, (.LBB1_6381-.Lpost_getpc2042)&4294967295
	s_addc_u32 s15, s15, (.LBB1_6381-.Lpost_getpc2042)>>32
	s_setpc_b64 s[14:15]
.LBB1_2285:
	s_or_saveexec_b64 s[6:7], s[6:7]
	v_mov_b32_e32 v14, s10
	s_xor_b64 exec, exec, s[6:7]
	s_cbranch_execz .LBB1_2286
; %bb.12279:
	s_getpc_b64 s[14:15]
.Lpost_getpc2043:
	s_add_u32 s14, s14, (.LBB1_6384-.Lpost_getpc2043)&4294967295
	s_addc_u32 s15, s15, (.LBB1_6384-.Lpost_getpc2043)>>32
	s_setpc_b64 s[14:15]
.LBB1_2286:
	s_or_b64 exec, exec, s[6:7]
	s_and_saveexec_b64 s[6:7], s[4:5]
	s_cbranch_execz .LBB1_2288
.LBB1_2287:
	v_bfe_u32 v14, v15, 8, 2
	v_ffbh_u32_e32 v17, v14
	v_min_u32_e32 v17, 32, v17
	v_lshrrev_b16_e32 v16, 2, v13
	v_subrev_u32_e32 v18, 29, v17
	v_and_b32_e32 v16, 31, v16
	v_lshlrev_b32_e32 v13, v18, v13
	v_sub_u32_e32 v17, 30, v17
	v_and_b32_e32 v13, 3, v13
	v_cmp_eq_u16_e32 vcc, 0, v16
	v_cndmask_b32_e32 v13, v14, v13, vcc
	v_cndmask_b32_e32 v14, v16, v17, vcc
	v_lshlrev_b32_e32 v16, 16, v15
	v_mov_b32_e32 v17, 0x37800000
	v_lshlrev_b32_e32 v13, 21, v13
	v_and_b32_e32 v16, 0x80000000, v16
	v_lshl_add_u32 v14, v14, 23, v17
	v_or3_b32 v14, v16, v14, v13
.LBB1_2288:
	s_or_b64 exec, exec, s[6:7]
	s_nop 0
	v_mfma_f32_16x16x4f32 a[0:3], v12, v14, a[0:3]
	s_movk_i32 s4, 0xff
	v_and_b32_sdwa v13, v19, s4 dst_sel:DWORD dst_unused:UNUSED_PAD src0_sel:WORD_1 src1_sel:DWORD
	s_movk_i32 s4, 0x7f
	v_cmp_lt_i16_e32 vcc, s4, v13
	s_mov_b64 s[4:5], 0
                                        ; implicit-def: $sgpr10
	s_and_saveexec_b64 s[6:7], vcc
	s_xor_b64 s[6:7], exec, s[6:7]
	s_cbranch_execz .LBB1_2289
; %bb.16133:
	s_getpc_b64 s[14:15]
.Lpost_getpc3970:
	s_add_u32 s14, s14, (.LBB1_6385-.Lpost_getpc3970)&4294967295
	s_addc_u32 s15, s15, (.LBB1_6385-.Lpost_getpc3970)>>32
	s_setpc_b64 s[14:15]
.LBB1_2289:
	s_or_saveexec_b64 s[6:7], s[6:7]
	v_mov_b32_e32 v12, s10
	s_xor_b64 exec, exec, s[6:7]
	s_cbranch_execz .LBB1_2290
; %bb.12281:
	s_getpc_b64 s[14:15]
.Lpost_getpc2044:
	s_add_u32 s14, s14, (.LBB1_6388-.Lpost_getpc2044)&4294967295
	s_addc_u32 s15, s15, (.LBB1_6388-.Lpost_getpc2044)>>32
	s_setpc_b64 s[14:15]
.LBB1_2290:
	s_or_b64 exec, exec, s[6:7]
	s_and_saveexec_b64 s[6:7], s[4:5]
	s_cbranch_execz .LBB1_2292
.LBB1_2291:
	v_bfe_u32 v12, v19, 16, 3
	v_ffbh_u32_e32 v16, v12
	v_min_u32_e32 v16, 32, v16
	v_lshrrev_b32_e32 v13, 19, v19
	v_subrev_u32_e32 v17, 28, v16
	v_and_b32_e32 v13, 15, v13
	v_lshlrev_b32_sdwa v17, v17, v19 dst_sel:DWORD dst_unused:UNUSED_PAD src0_sel:DWORD src1_sel:WORD_1
	v_bfe_u32 v14, v19, 19, 4
	v_sub_u32_e32 v16, 29, v16
	v_and_b32_e32 v17, 7, v17
	v_cmp_eq_u16_e32 vcc, 0, v13
	v_cndmask_b32_e32 v12, v12, v17, vcc
	v_cndmask_b32_e32 v13, v14, v16, vcc
	v_lshlrev_b32_e32 v14, 8, v19
	v_mov_b32_e32 v16, 0x3b800000
	v_lshlrev_b32_e32 v12, 20, v12
	v_and_b32_e32 v14, 0x80000000, v14
	v_lshl_add_u32 v13, v13, 23, v16
	v_or3_b32 v12, v14, v13, v12
.LBB1_2292:
	s_or_b64 exec, exec, s[6:7]
	s_movk_i32 s4, 0xff
	v_and_b32_sdwa v13, v15, s4 dst_sel:DWORD dst_unused:UNUSED_PAD src0_sel:WORD_1 src1_sel:DWORD
	s_movk_i32 s4, 0x7f
	v_cmp_lt_i16_e32 vcc, s4, v13
	s_mov_b64 s[4:5], 0
                                        ; implicit-def: $sgpr10
	s_and_saveexec_b64 s[6:7], vcc
	s_xor_b64 s[6:7], exec, s[6:7]
	s_cbranch_execz .LBB1_2293
; %bb.16135:
	s_getpc_b64 s[14:15]
.Lpost_getpc3971:
	s_add_u32 s14, s14, (.LBB1_6389-.Lpost_getpc3971)&4294967295
	s_addc_u32 s15, s15, (.LBB1_6389-.Lpost_getpc3971)>>32
	s_setpc_b64 s[14:15]
.LBB1_2293:
	s_or_saveexec_b64 s[6:7], s[6:7]
	v_mov_b32_e32 v14, s10
	s_xor_b64 exec, exec, s[6:7]
	s_cbranch_execz .LBB1_2294
; %bb.16137:
	s_getpc_b64 s[14:15]
.Lpost_getpc3972:
	s_add_u32 s14, s14, (.LBB1_6392-.Lpost_getpc3972)&4294967295
	s_addc_u32 s15, s15, (.LBB1_6392-.Lpost_getpc3972)>>32
	s_setpc_b64 s[14:15]
.LBB1_2294:
	s_or_b64 exec, exec, s[6:7]
	s_and_saveexec_b64 s[6:7], s[4:5]
	s_cbranch_execz .LBB1_2296
.LBB1_2295:
	v_bfe_u32 v13, v15, 16, 2
	v_ffbh_u32_e32 v17, v13
	v_min_u32_e32 v17, 32, v17
	v_lshrrev_b32_e32 v14, 18, v15
	v_subrev_u32_e32 v18, 29, v17
	v_and_b32_e32 v14, 31, v14
	v_lshlrev_b32_sdwa v18, v18, v15 dst_sel:DWORD dst_unused:UNUSED_PAD src0_sel:DWORD src1_sel:WORD_1
	v_bfe_u32 v16, v15, 18, 5
	v_sub_u32_e32 v17, 30, v17
	v_and_b32_e32 v18, 3, v18
	v_cmp_eq_u16_e32 vcc, 0, v14
	v_cndmask_b32_e32 v13, v13, v18, vcc
	v_cndmask_b32_e32 v14, v16, v17, vcc
	v_lshlrev_b32_e32 v16, 8, v15
	v_mov_b32_e32 v17, 0x37800000
	v_lshlrev_b32_e32 v13, 21, v13
	v_and_b32_e32 v16, 0x80000000, v16
	v_lshl_add_u32 v14, v14, 23, v17
	v_or3_b32 v14, v16, v14, v13
.LBB1_2296:
	s_or_b64 exec, exec, s[6:7]
	s_nop 0
	v_mfma_f32_16x16x4f32 a[0:3], v12, v14, a[0:3]
	s_movk_i32 s4, 0x7f
	v_cmp_gt_i16_sdwa s[6:7], v19, s4 src0_sel:BYTE_3 src1_sel:DWORD
	s_mov_b64 s[4:5], 0
                                        ; implicit-def: $sgpr10
	s_and_saveexec_b64 s[8:9], s[6:7]
	s_xor_b64 s[6:7], exec, s[8:9]
	s_cbranch_execz .LBB1_2297
; %bb.16139:
	s_getpc_b64 s[14:15]
.Lpost_getpc3973:
	s_add_u32 s14, s14, (.LBB1_6393-.Lpost_getpc3973)&4294967295
	s_addc_u32 s15, s15, (.LBB1_6393-.Lpost_getpc3973)>>32
	s_setpc_b64 s[14:15]
.LBB1_2297:
	s_or_saveexec_b64 s[6:7], s[6:7]
	v_mov_b32_e32 v12, s10
	s_xor_b64 exec, exec, s[6:7]
	s_cbranch_execz .LBB1_2298
; %bb.16141:
	s_getpc_b64 s[14:15]
.Lpost_getpc3974:
	s_add_u32 s14, s14, (.LBB1_6396-.Lpost_getpc3974)&4294967295
	s_addc_u32 s15, s15, (.LBB1_6396-.Lpost_getpc3974)>>32
	s_setpc_b64 s[14:15]
.LBB1_2298:
	s_or_b64 exec, exec, s[6:7]
	s_and_saveexec_b64 s[6:7], s[4:5]
	s_cbranch_execz .LBB1_2300
.LBB1_2299:
	v_bfe_u32 v12, v19, 24, 3
	v_ffbh_u32_e32 v17, v12
	v_min_u32_e32 v17, 32, v17
	v_lshrrev_b32_e32 v14, 27, v19
	v_subrev_u32_e32 v18, 28, v17
	v_and_b32_e32 v14, 15, v14
	v_lshlrev_b32_sdwa v18, v18, v19 dst_sel:DWORD dst_unused:UNUSED_PAD src0_sel:DWORD src1_sel:BYTE_3
	v_bfe_u32 v16, v19, 27, 4
	v_sub_u32_e32 v17, 29, v17
	v_and_b32_e32 v18, 7, v18
	v_cmp_eq_u16_e32 vcc, 0, v14
	v_cndmask_b32_e32 v12, v12, v18, vcc
	v_cndmask_b32_e32 v14, v16, v17, vcc
	v_mov_b32_e32 v16, 0x3b800000
	v_and_b32_e32 v13, 0x80000000, v19
	v_lshlrev_b32_e32 v12, 20, v12
	v_lshl_add_u32 v14, v14, 23, v16
	v_or3_b32 v12, v13, v14, v12
.LBB1_2300:
	s_or_b64 exec, exec, s[6:7]
	s_movk_i32 s4, 0x7f
	v_cmp_gt_i16_sdwa s[6:7], v15, s4 src0_sel:BYTE_3 src1_sel:DWORD
	s_mov_b64 s[4:5], 0
                                        ; implicit-def: $sgpr10
	s_and_saveexec_b64 s[8:9], s[6:7]
	s_xor_b64 s[6:7], exec, s[8:9]
	s_cbranch_execz .LBB1_2301
; %bb.16143:
	s_getpc_b64 s[14:15]
.Lpost_getpc3975:
	s_add_u32 s14, s14, (.LBB1_6397-.Lpost_getpc3975)&4294967295
	s_addc_u32 s15, s15, (.LBB1_6397-.Lpost_getpc3975)>>32
	s_setpc_b64 s[14:15]
.LBB1_2301:
	s_or_saveexec_b64 s[6:7], s[6:7]
	v_mov_b32_e32 v13, s10
	s_xor_b64 exec, exec, s[6:7]
	s_cbranch_execz .LBB1_2302
; %bb.16145:
	s_getpc_b64 s[14:15]
.Lpost_getpc3976:
	s_add_u32 s14, s14, (.LBB1_6400-.Lpost_getpc3976)&4294967295
	s_addc_u32 s15, s15, (.LBB1_6400-.Lpost_getpc3976)>>32
	s_setpc_b64 s[14:15]
.LBB1_2302:
	s_or_b64 exec, exec, s[6:7]
	s_and_saveexec_b64 s[6:7], s[4:5]
	s_cbranch_execz .LBB1_2304
.LBB1_2303:
	v_bfe_u32 v13, v15, 24, 2
	v_ffbh_u32_e32 v18, v13
	v_min_u32_e32 v18, 32, v18
	v_lshrrev_b32_e32 v16, 26, v15
	v_subrev_u32_e32 v19, 29, v18
	v_and_b32_e32 v14, 0x80000000, v15
	v_and_b32_e32 v16, 31, v16
	v_bfe_u32 v17, v15, 26, 5
	v_lshlrev_b32_sdwa v15, v19, v15 dst_sel:DWORD dst_unused:UNUSED_PAD src0_sel:DWORD src1_sel:BYTE_3
	v_sub_u32_e32 v18, 30, v18
	v_and_b32_e32 v15, 3, v15
	v_cmp_eq_u16_e32 vcc, 0, v16
	v_cndmask_b32_e32 v13, v13, v15, vcc
	v_cndmask_b32_e32 v15, v17, v18, vcc
	v_mov_b32_e32 v16, 0x37800000
	v_lshlrev_b32_e32 v13, 21, v13
	v_lshl_add_u32 v15, v15, 23, v16
	v_or3_b32 v13, v14, v15, v13
.LBB1_2304:
	s_or_b64 exec, exec, s[6:7]
	s_nop 0
	v_mfma_f32_16x16x4f32 a[0:3], v12, v13, a[0:3]
	v_mov_b32_e32 v16, 8
	s_movk_i32 s4, 0x7f
                                        ; implicit-def: $sgpr10
	s_nop 7
	s_nop 0
	flat_store_dwordx4 v[10:11], a[0:3] offset:272
	flat_load_dword v14, v[0:1] offset:544
	flat_load_dwordx2 v[12:13], v[6:7]
	s_waitcnt vmcnt(0) lgkmcnt(0)
	v_ashrrev_i32_e32 v15, 31, v14
	v_add_co_u32_e32 v12, vcc, v12, v14
	v_addc_co_u32_e32 v13, vcc, v13, v15, vcc
	flat_load_dwordx4 v[12:15], v[12:13] offset:1024
	s_waitcnt vmcnt(0) lgkmcnt(0)
	v_lshrrev_b32_sdwa v20, v16, v14 dst_sel:BYTE_1 dst_unused:UNUSED_PAD src0_sel:DWORD src1_sel:DWORD
	flat_store_dwordx4 v[8:9], v[12:15]
	flat_load_dwordx4 v[16:19], v[4:5]
	s_waitcnt vmcnt(0) lgkmcnt(0)
	v_cmp_gt_i16_sdwa s[6:7], v16, s4 src0_sel:BYTE_0 src1_sel:DWORD
	s_mov_b64 s[4:5], 0
	s_and_saveexec_b64 s[8:9], s[6:7]
	s_xor_b64 s[6:7], exec, s[8:9]
	s_cbranch_execz .LBB1_2305
; %bb.16147:
	s_getpc_b64 s[14:15]
.Lpost_getpc3977:
	s_add_u32 s14, s14, (.LBB1_6401-.Lpost_getpc3977)&4294967295
	s_addc_u32 s15, s15, (.LBB1_6401-.Lpost_getpc3977)>>32
	s_setpc_b64 s[14:15]
.LBB1_2305:
	s_or_saveexec_b64 s[6:7], s[6:7]
	v_mov_b32_e32 v21, s10
	s_xor_b64 exec, exec, s[6:7]
	s_cbranch_execz .LBB1_2306
; %bb.16149:
	s_getpc_b64 s[14:15]
.Lpost_getpc3978:
	s_add_u32 s14, s14, (.LBB1_6404-.Lpost_getpc3978)&4294967295
	s_addc_u32 s15, s15, (.LBB1_6404-.Lpost_getpc3978)>>32
	s_setpc_b64 s[14:15]
.LBB1_2306:
	s_or_b64 exec, exec, s[6:7]
	s_and_saveexec_b64 s[6:7], s[4:5]
	s_cbranch_execz .LBB1_2308
.LBB1_2307:
	v_and_b32_e32 v21, 7, v16
	v_ffbh_u32_e32 v23, v21
	v_min_u32_e32 v23, 32, v23
	v_lshrrev_b16_e32 v22, 3, v16
	v_subrev_u32_e32 v24, 28, v23
	v_and_b32_e32 v22, 15, v22
	v_lshlrev_b32_e32 v24, v24, v16
	v_sub_u32_e32 v23, 29, v23
	v_and_b32_e32 v24, 7, v24
	v_cmp_eq_u16_e32 vcc, 0, v22
	v_cndmask_b32_e32 v21, v21, v24, vcc
	v_cndmask_b32_e32 v22, v22, v23, vcc
	v_lshlrev_b32_e32 v23, 24, v16
	v_mov_b32_e32 v24, 0x3b800000
	v_lshlrev_b32_e32 v21, 20, v21
	v_and_b32_e32 v23, 0x80000000, v23
	v_lshl_add_u32 v22, v22, 23, v24
	v_or3_b32 v21, v23, v22, v21
.LBB1_2308:
	s_or_b64 exec, exec, s[6:7]
	s_movk_i32 s4, 0x7f
	v_cmp_gt_i16_sdwa s[6:7], v12, s4 src0_sel:BYTE_0 src1_sel:DWORD
	s_mov_b64 s[4:5], 0
                                        ; implicit-def: $sgpr10
	s_and_saveexec_b64 s[8:9], s[6:7]
	s_xor_b64 s[6:7], exec, s[8:9]
	s_cbranch_execz .LBB1_2309
; %bb.16151:
	s_getpc_b64 s[14:15]
.Lpost_getpc3979:
	s_add_u32 s14, s14, (.LBB1_6405-.Lpost_getpc3979)&4294967295
	s_addc_u32 s15, s15, (.LBB1_6405-.Lpost_getpc3979)>>32
	s_setpc_b64 s[14:15]
.LBB1_2309:
	s_or_saveexec_b64 s[6:7], s[6:7]
	v_mov_b32_e32 v22, s10
	s_xor_b64 exec, exec, s[6:7]
	s_cbranch_execz .LBB1_2310
; %bb.16153:
	s_getpc_b64 s[14:15]
.Lpost_getpc3980:
	s_add_u32 s14, s14, (.LBB1_6408-.Lpost_getpc3980)&4294967295
	s_addc_u32 s15, s15, (.LBB1_6408-.Lpost_getpc3980)>>32
	s_setpc_b64 s[14:15]
.LBB1_2310:
	s_or_b64 exec, exec, s[6:7]
	s_and_saveexec_b64 s[6:7], s[4:5]
	s_cbranch_execz .LBB1_2312
.LBB1_2311:
	v_and_b32_e32 v22, 3, v12
	v_ffbh_u32_e32 v24, v22
	v_min_u32_e32 v24, 32, v24
	v_lshrrev_b16_e32 v23, 2, v12
	v_subrev_u32_e32 v25, 29, v24
	v_and_b32_e32 v23, 31, v23
	v_lshlrev_b32_e32 v25, v25, v12
	v_sub_u32_e32 v24, 30, v24
	v_and_b32_e32 v25, 3, v25
	v_cmp_eq_u16_e32 vcc, 0, v23
	v_cndmask_b32_e32 v22, v22, v25, vcc
	v_cndmask_b32_e32 v23, v23, v24, vcc
	v_lshlrev_b32_e32 v24, 24, v12
	v_mov_b32_e32 v25, 0x37800000
	v_lshlrev_b32_e32 v22, 21, v22
	v_and_b32_e32 v24, 0x80000000, v24
	v_lshl_add_u32 v23, v23, 23, v25
	v_or3_b32 v22, v24, v23, v22
.LBB1_2312:
	s_or_b64 exec, exec, s[6:7]
	flat_load_dwordx4 a[0:3], v[10:11] offset:288
	s_movk_i32 s4, 0x7f
                                        ; implicit-def: $sgpr10
	s_waitcnt vmcnt(0) lgkmcnt(0)
	v_mfma_f32_16x16x4f32 a[0:3], v21, v22, a[0:3]
	v_lshrrev_b32_e32 v22, 8, v16
	v_cmp_gt_i16_sdwa s[6:7], v22, s4 src0_sel:BYTE_0 src1_sel:DWORD
	s_mov_b64 s[4:5], 0
	s_and_saveexec_b64 s[8:9], s[6:7]
	s_xor_b64 s[6:7], exec, s[8:9]
	s_cbranch_execz .LBB1_2313
; %bb.16155:
	s_getpc_b64 s[14:15]
.Lpost_getpc3981:
	s_add_u32 s14, s14, (.LBB1_6409-.Lpost_getpc3981)&4294967295
	s_addc_u32 s15, s15, (.LBB1_6409-.Lpost_getpc3981)>>32
	s_setpc_b64 s[14:15]
.LBB1_2313:
	s_or_saveexec_b64 s[6:7], s[6:7]
	v_mov_b32_e32 v21, s10
	s_xor_b64 exec, exec, s[6:7]
	s_cbranch_execz .LBB1_2314
; %bb.16157:
	s_getpc_b64 s[14:15]
.Lpost_getpc3982:
	s_add_u32 s14, s14, (.LBB1_6412-.Lpost_getpc3982)&4294967295
	s_addc_u32 s15, s15, (.LBB1_6412-.Lpost_getpc3982)>>32
	s_setpc_b64 s[14:15]
.LBB1_2314:
	s_or_b64 exec, exec, s[6:7]
	s_and_saveexec_b64 s[6:7], s[4:5]
	s_cbranch_execz .LBB1_2316
.LBB1_2315:
	v_bfe_u32 v21, v16, 8, 3
	v_ffbh_u32_e32 v24, v21
	v_min_u32_e32 v24, 32, v24
	v_lshrrev_b16_e32 v23, 3, v22
	v_subrev_u32_e32 v25, 28, v24
	v_and_b32_e32 v23, 15, v23
	v_lshlrev_b32_e32 v22, v25, v22
	v_sub_u32_e32 v24, 29, v24
	v_and_b32_e32 v22, 7, v22
	v_cmp_eq_u16_e32 vcc, 0, v23
	v_cndmask_b32_e32 v21, v21, v22, vcc
	v_cndmask_b32_e32 v22, v23, v24, vcc
	v_lshlrev_b32_e32 v23, 16, v16
	v_mov_b32_e32 v24, 0x3b800000
	v_lshlrev_b32_e32 v21, 20, v21
	v_and_b32_e32 v23, 0x80000000, v23
	v_lshl_add_u32 v22, v22, 23, v24
	v_or3_b32 v21, v23, v22, v21
.LBB1_2316:
	s_or_b64 exec, exec, s[6:7]
	v_lshrrev_b32_e32 v22, 8, v12
	s_movk_i32 s4, 0x7f
	v_cmp_gt_i16_sdwa s[6:7], v22, s4 src0_sel:BYTE_0 src1_sel:DWORD
	s_mov_b64 s[4:5], 0
                                        ; implicit-def: $sgpr10
	s_and_saveexec_b64 s[8:9], s[6:7]
	s_xor_b64 s[6:7], exec, s[8:9]
	s_cbranch_execz .LBB1_2317
; %bb.16159:
	s_getpc_b64 s[14:15]
.Lpost_getpc3983:
	s_add_u32 s14, s14, (.LBB1_6413-.Lpost_getpc3983)&4294967295
	s_addc_u32 s15, s15, (.LBB1_6413-.Lpost_getpc3983)>>32
	s_setpc_b64 s[14:15]
.LBB1_2317:
	s_or_saveexec_b64 s[6:7], s[6:7]
	v_mov_b32_e32 v23, s10
	s_xor_b64 exec, exec, s[6:7]
	s_cbranch_execz .LBB1_2318
; %bb.16161:
	s_getpc_b64 s[14:15]
.Lpost_getpc3984:
	s_add_u32 s14, s14, (.LBB1_6416-.Lpost_getpc3984)&4294967295
	s_addc_u32 s15, s15, (.LBB1_6416-.Lpost_getpc3984)>>32
	s_setpc_b64 s[14:15]
.LBB1_2318:
	s_or_b64 exec, exec, s[6:7]
	s_and_saveexec_b64 s[6:7], s[4:5]
	s_cbranch_execz .LBB1_2320
.LBB1_2319:
	v_bfe_u32 v23, v12, 8, 2
	v_ffbh_u32_e32 v25, v23
	v_min_u32_e32 v25, 32, v25
	v_lshrrev_b16_e32 v24, 2, v22
	v_subrev_u32_e32 v26, 29, v25
	v_and_b32_e32 v24, 31, v24
	v_lshlrev_b32_e32 v22, v26, v22
	v_sub_u32_e32 v25, 30, v25
	v_and_b32_e32 v22, 3, v22
	v_cmp_eq_u16_e32 vcc, 0, v24
	v_cndmask_b32_e32 v22, v23, v22, vcc
	v_cndmask_b32_e32 v23, v24, v25, vcc
	v_lshlrev_b32_e32 v24, 16, v12
	v_mov_b32_e32 v25, 0x37800000
	v_lshlrev_b32_e32 v22, 21, v22
	v_and_b32_e32 v24, 0x80000000, v24
	v_lshl_add_u32 v23, v23, 23, v25
	v_or3_b32 v23, v24, v23, v22
.LBB1_2320:
	s_or_b64 exec, exec, s[6:7]
	s_nop 0
	v_mfma_f32_16x16x4f32 a[0:3], v21, v23, a[0:3]
	s_movk_i32 s4, 0xff
	v_and_b32_sdwa v22, v16, s4 dst_sel:DWORD dst_unused:UNUSED_PAD src0_sel:WORD_1 src1_sel:DWORD
	s_movk_i32 s4, 0x7f
	v_cmp_lt_i16_e32 vcc, s4, v22
	s_mov_b64 s[4:5], 0
                                        ; implicit-def: $sgpr10
	s_and_saveexec_b64 s[6:7], vcc
	s_xor_b64 s[6:7], exec, s[6:7]
	s_cbranch_execz .LBB1_2321
; %bb.16163:
	s_getpc_b64 s[14:15]
.Lpost_getpc3985:
	s_add_u32 s14, s14, (.LBB1_6417-.Lpost_getpc3985)&4294967295
	s_addc_u32 s15, s15, (.LBB1_6417-.Lpost_getpc3985)>>32
	s_setpc_b64 s[14:15]
.LBB1_2321:
	s_or_saveexec_b64 s[6:7], s[6:7]
	v_mov_b32_e32 v21, s10
	s_xor_b64 exec, exec, s[6:7]
	s_cbranch_execz .LBB1_2322
; %bb.16165:
	s_getpc_b64 s[14:15]
.Lpost_getpc3986:
	s_add_u32 s14, s14, (.LBB1_6420-.Lpost_getpc3986)&4294967295
	s_addc_u32 s15, s15, (.LBB1_6420-.Lpost_getpc3986)>>32
	s_setpc_b64 s[14:15]
.LBB1_2322:
	s_or_b64 exec, exec, s[6:7]
	s_and_saveexec_b64 s[6:7], s[4:5]
	s_cbranch_execz .LBB1_2324
.LBB1_2323:
	v_bfe_u32 v21, v16, 16, 3
	v_ffbh_u32_e32 v24, v21
	v_min_u32_e32 v24, 32, v24
	v_lshrrev_b32_e32 v22, 19, v16
	v_subrev_u32_e32 v25, 28, v24
	v_and_b32_e32 v22, 15, v22
	v_lshlrev_b32_sdwa v25, v25, v16 dst_sel:DWORD dst_unused:UNUSED_PAD src0_sel:DWORD src1_sel:WORD_1
	v_bfe_u32 v23, v16, 19, 4
	v_sub_u32_e32 v24, 29, v24
	v_and_b32_e32 v25, 7, v25
	v_cmp_eq_u16_e32 vcc, 0, v22
	v_cndmask_b32_e32 v21, v21, v25, vcc
	v_cndmask_b32_e32 v22, v23, v24, vcc
	v_lshlrev_b32_e32 v23, 8, v16
	v_mov_b32_e32 v24, 0x3b800000
	v_lshlrev_b32_e32 v21, 20, v21
	v_and_b32_e32 v23, 0x80000000, v23
	v_lshl_add_u32 v22, v22, 23, v24
	v_or3_b32 v21, v23, v22, v21
.LBB1_2324:
	s_or_b64 exec, exec, s[6:7]
	s_movk_i32 s4, 0xff
	v_and_b32_sdwa v22, v12, s4 dst_sel:DWORD dst_unused:UNUSED_PAD src0_sel:WORD_1 src1_sel:DWORD
	s_movk_i32 s4, 0x7f
	v_cmp_lt_i16_e32 vcc, s4, v22
	s_mov_b64 s[4:5], 0
                                        ; implicit-def: $sgpr10
	s_and_saveexec_b64 s[6:7], vcc
	s_xor_b64 s[6:7], exec, s[6:7]
	s_cbranch_execz .LBB1_2325
; %bb.16167:
	s_getpc_b64 s[14:15]
.Lpost_getpc3987:
	s_add_u32 s14, s14, (.LBB1_6421-.Lpost_getpc3987)&4294967295
	s_addc_u32 s15, s15, (.LBB1_6421-.Lpost_getpc3987)>>32
	s_setpc_b64 s[14:15]
.LBB1_2325:
	s_or_saveexec_b64 s[6:7], s[6:7]
	v_mov_b32_e32 v23, s10
	s_xor_b64 exec, exec, s[6:7]
	s_cbranch_execz .LBB1_2326
; %bb.16169:
	s_getpc_b64 s[14:15]
.Lpost_getpc3988:
	s_add_u32 s14, s14, (.LBB1_6424-.Lpost_getpc3988)&4294967295
	s_addc_u32 s15, s15, (.LBB1_6424-.Lpost_getpc3988)>>32
	s_setpc_b64 s[14:15]
.LBB1_2326:
	s_or_b64 exec, exec, s[6:7]
	s_and_saveexec_b64 s[6:7], s[4:5]
	s_cbranch_execz .LBB1_2328
.LBB1_2327:
	v_bfe_u32 v22, v12, 16, 2
	v_ffbh_u32_e32 v25, v22
	v_min_u32_e32 v25, 32, v25
	v_lshrrev_b32_e32 v23, 18, v12
	v_subrev_u32_e32 v26, 29, v25
	v_and_b32_e32 v23, 31, v23
	v_lshlrev_b32_sdwa v26, v26, v12 dst_sel:DWORD dst_unused:UNUSED_PAD src0_sel:DWORD src1_sel:WORD_1
	v_bfe_u32 v24, v12, 18, 5
	v_sub_u32_e32 v25, 30, v25
	v_and_b32_e32 v26, 3, v26
	v_cmp_eq_u16_e32 vcc, 0, v23
	v_cndmask_b32_e32 v22, v22, v26, vcc
	v_cndmask_b32_e32 v23, v24, v25, vcc
	v_lshlrev_b32_e32 v24, 8, v12
	v_mov_b32_e32 v25, 0x37800000
	v_lshlrev_b32_e32 v22, 21, v22
	v_and_b32_e32 v24, 0x80000000, v24
	v_lshl_add_u32 v23, v23, 23, v25
	v_or3_b32 v23, v24, v23, v22
.LBB1_2328:
	s_or_b64 exec, exec, s[6:7]
	s_nop 0
	v_mfma_f32_16x16x4f32 a[0:3], v21, v23, a[0:3]
	s_movk_i32 s4, 0x7f
	v_cmp_gt_i16_sdwa s[6:7], v16, s4 src0_sel:BYTE_3 src1_sel:DWORD
	s_mov_b64 s[4:5], 0
                                        ; implicit-def: $sgpr10
	s_and_saveexec_b64 s[8:9], s[6:7]
	s_xor_b64 s[6:7], exec, s[8:9]
	s_cbranch_execz .LBB1_2329
; %bb.16171:
	s_getpc_b64 s[14:15]
.Lpost_getpc3989:
	s_add_u32 s14, s14, (.LBB1_6425-.Lpost_getpc3989)&4294967295
	s_addc_u32 s15, s15, (.LBB1_6425-.Lpost_getpc3989)>>32
	s_setpc_b64 s[14:15]
.LBB1_2329:
	s_or_saveexec_b64 s[6:7], s[6:7]
	v_mov_b32_e32 v21, s10
	s_xor_b64 exec, exec, s[6:7]
	s_cbranch_execz .LBB1_2330
; %bb.16173:
	s_getpc_b64 s[14:15]
.Lpost_getpc3990:
	s_add_u32 s14, s14, (.LBB1_6428-.Lpost_getpc3990)&4294967295
	s_addc_u32 s15, s15, (.LBB1_6428-.Lpost_getpc3990)>>32
	s_setpc_b64 s[14:15]
.LBB1_2330:
	s_or_b64 exec, exec, s[6:7]
	s_and_saveexec_b64 s[6:7], s[4:5]
	s_cbranch_execz .LBB1_2332
.LBB1_2331:
	v_bfe_u32 v21, v16, 24, 3
	v_ffbh_u32_e32 v25, v21
	v_min_u32_e32 v25, 32, v25
	v_lshrrev_b32_e32 v23, 27, v16
	v_subrev_u32_e32 v26, 28, v25
	v_and_b32_e32 v22, 0x80000000, v16
	v_and_b32_e32 v23, 15, v23
	v_bfe_u32 v24, v16, 27, 4
	v_lshlrev_b32_sdwa v16, v26, v16 dst_sel:DWORD dst_unused:UNUSED_PAD src0_sel:DWORD src1_sel:BYTE_3
	v_sub_u32_e32 v25, 29, v25
	v_and_b32_e32 v16, 7, v16
	v_cmp_eq_u16_e32 vcc, 0, v23
	v_cndmask_b32_e32 v16, v21, v16, vcc
	v_cndmask_b32_e32 v21, v24, v25, vcc
	v_mov_b32_e32 v23, 0x3b800000
	v_lshlrev_b32_e32 v16, 20, v16
	v_lshl_add_u32 v21, v21, 23, v23
	v_or3_b32 v21, v22, v21, v16
.LBB1_2332:
	s_or_b64 exec, exec, s[6:7]
	s_movk_i32 s4, 0x7f
	v_cmp_gt_i16_sdwa s[6:7], v12, s4 src0_sel:BYTE_3 src1_sel:DWORD
	s_mov_b64 s[4:5], 0
                                        ; implicit-def: $sgpr10
	s_and_saveexec_b64 s[8:9], s[6:7]
	s_xor_b64 s[6:7], exec, s[8:9]
	s_cbranch_execz .LBB1_2333
; %bb.16175:
	s_getpc_b64 s[14:15]
.Lpost_getpc3991:
	s_add_u32 s14, s14, (.LBB1_6429-.Lpost_getpc3991)&4294967295
	s_addc_u32 s15, s15, (.LBB1_6429-.Lpost_getpc3991)>>32
	s_setpc_b64 s[14:15]
.LBB1_2333:
	s_or_saveexec_b64 s[6:7], s[6:7]
	v_mov_b32_e32 v16, s10
	s_xor_b64 exec, exec, s[6:7]
	s_cbranch_execz .LBB1_2334
; %bb.16177:
	s_getpc_b64 s[14:15]
.Lpost_getpc3992:
	s_add_u32 s14, s14, (.LBB1_6432-.Lpost_getpc3992)&4294967295
	s_addc_u32 s15, s15, (.LBB1_6432-.Lpost_getpc3992)>>32
	s_setpc_b64 s[14:15]
.LBB1_2334:
	s_or_b64 exec, exec, s[6:7]
	s_and_saveexec_b64 s[6:7], s[4:5]
	s_cbranch_execz .LBB1_2336
.LBB1_2335:
	v_bfe_u32 v16, v12, 24, 2
	v_ffbh_u32_e32 v25, v16
	v_min_u32_e32 v25, 32, v25
	v_lshrrev_b32_e32 v23, 26, v12
	v_subrev_u32_e32 v26, 29, v25
	v_and_b32_e32 v22, 0x80000000, v12
	v_and_b32_e32 v23, 31, v23
	v_bfe_u32 v24, v12, 26, 5
	v_lshlrev_b32_sdwa v12, v26, v12 dst_sel:DWORD dst_unused:UNUSED_PAD src0_sel:DWORD src1_sel:BYTE_3
	v_sub_u32_e32 v25, 30, v25
	v_and_b32_e32 v12, 3, v12
	v_cmp_eq_u16_e32 vcc, 0, v23
	v_cndmask_b32_e32 v12, v16, v12, vcc
	v_cndmask_b32_e32 v16, v24, v25, vcc
	v_mov_b32_e32 v23, 0x37800000
	v_lshlrev_b32_e32 v12, 21, v12
	v_lshl_add_u32 v16, v16, 23, v23
	v_or3_b32 v16, v22, v16, v12
.LBB1_2336:
	s_or_b64 exec, exec, s[6:7]
	s_nop 0
	v_mfma_f32_16x16x4f32 a[0:3], v21, v16, a[0:3]
	s_movk_i32 s4, 0x7f
	v_cmp_gt_i16_sdwa s[6:7], v17, s4 src0_sel:BYTE_0 src1_sel:DWORD
	s_mov_b64 s[4:5], 0
                                        ; implicit-def: $sgpr10
	s_and_saveexec_b64 s[8:9], s[6:7]
	s_xor_b64 s[6:7], exec, s[8:9]
	s_cbranch_execz .LBB1_2337
; %bb.16179:
	s_getpc_b64 s[14:15]
.Lpost_getpc3993:
	s_add_u32 s14, s14, (.LBB1_6433-.Lpost_getpc3993)&4294967295
	s_addc_u32 s15, s15, (.LBB1_6433-.Lpost_getpc3993)>>32
	s_setpc_b64 s[14:15]
.LBB1_2337:
	s_or_saveexec_b64 s[6:7], s[6:7]
	v_mov_b32_e32 v12, s10
	s_xor_b64 exec, exec, s[6:7]
	s_cbranch_execz .LBB1_2338
; %bb.16181:
	s_getpc_b64 s[14:15]
.Lpost_getpc3994:
	s_add_u32 s14, s14, (.LBB1_6436-.Lpost_getpc3994)&4294967295
	s_addc_u32 s15, s15, (.LBB1_6436-.Lpost_getpc3994)>>32
	s_setpc_b64 s[14:15]
.LBB1_2338:
	s_or_b64 exec, exec, s[6:7]
	s_and_saveexec_b64 s[6:7], s[4:5]
	s_cbranch_execz .LBB1_2340
.LBB1_2339:
	v_and_b32_e32 v12, 7, v17
	v_ffbh_u32_e32 v21, v12
	v_min_u32_e32 v21, 32, v21
	v_lshrrev_b16_e32 v16, 3, v17
	v_subrev_u32_e32 v22, 28, v21
	v_and_b32_e32 v16, 15, v16
	v_lshlrev_b32_e32 v22, v22, v17
	v_sub_u32_e32 v21, 29, v21
	v_and_b32_e32 v22, 7, v22
	v_cmp_eq_u16_e32 vcc, 0, v16
	v_cndmask_b32_e32 v12, v12, v22, vcc
	v_cndmask_b32_e32 v16, v16, v21, vcc
	v_lshlrev_b32_e32 v21, 24, v17
	v_mov_b32_e32 v22, 0x3b800000
	v_lshlrev_b32_e32 v12, 20, v12
	v_and_b32_e32 v21, 0x80000000, v21
	v_lshl_add_u32 v16, v16, 23, v22
	v_or3_b32 v12, v21, v16, v12
.LBB1_2340:
	s_or_b64 exec, exec, s[6:7]
	s_movk_i32 s4, 0x7f
	v_cmp_gt_i16_sdwa s[6:7], v13, s4 src0_sel:BYTE_0 src1_sel:DWORD
	s_mov_b64 s[4:5], 0
                                        ; implicit-def: $sgpr10
	s_and_saveexec_b64 s[8:9], s[6:7]
	s_xor_b64 s[6:7], exec, s[8:9]
	s_cbranch_execz .LBB1_2341
; %bb.16183:
	s_getpc_b64 s[14:15]
.Lpost_getpc3995:
	s_add_u32 s14, s14, (.LBB1_6437-.Lpost_getpc3995)&4294967295
	s_addc_u32 s15, s15, (.LBB1_6437-.Lpost_getpc3995)>>32
	s_setpc_b64 s[14:15]
.LBB1_2341:
	s_or_saveexec_b64 s[6:7], s[6:7]
	v_mov_b32_e32 v16, s10
	s_xor_b64 exec, exec, s[6:7]
	s_cbranch_execz .LBB1_2342
; %bb.16185:
	s_getpc_b64 s[14:15]
.Lpost_getpc3996:
	s_add_u32 s14, s14, (.LBB1_6440-.Lpost_getpc3996)&4294967295
	s_addc_u32 s15, s15, (.LBB1_6440-.Lpost_getpc3996)>>32
	s_setpc_b64 s[14:15]
.LBB1_2342:
	s_or_b64 exec, exec, s[6:7]
	s_and_saveexec_b64 s[6:7], s[4:5]
	s_cbranch_execz .LBB1_2344
.LBB1_2343:
	v_and_b32_e32 v16, 3, v13
	v_ffbh_u32_e32 v22, v16
	v_min_u32_e32 v22, 32, v22
	v_lshrrev_b16_e32 v21, 2, v13
	v_subrev_u32_e32 v23, 29, v22
	v_and_b32_e32 v21, 31, v21
	v_lshlrev_b32_e32 v23, v23, v13
	v_sub_u32_e32 v22, 30, v22
	v_and_b32_e32 v23, 3, v23
	v_cmp_eq_u16_e32 vcc, 0, v21
	v_cndmask_b32_e32 v16, v16, v23, vcc
	v_cndmask_b32_e32 v21, v21, v22, vcc
	v_lshlrev_b32_e32 v22, 24, v13
	v_mov_b32_e32 v23, 0x37800000
	v_lshlrev_b32_e32 v16, 21, v16
	v_and_b32_e32 v22, 0x80000000, v22
	v_lshl_add_u32 v21, v21, 23, v23
	v_or3_b32 v16, v22, v21, v16
.LBB1_2344:
	s_or_b64 exec, exec, s[6:7]
	s_nop 0
	v_mfma_f32_16x16x4f32 a[0:3], v12, v16, a[0:3]
	v_lshrrev_b32_e32 v16, 8, v17
	s_movk_i32 s4, 0x7f
	v_cmp_gt_i16_sdwa s[6:7], v16, s4 src0_sel:BYTE_0 src1_sel:DWORD
	s_mov_b64 s[4:5], 0
                                        ; implicit-def: $sgpr10
	s_and_saveexec_b64 s[8:9], s[6:7]
	s_xor_b64 s[6:7], exec, s[8:9]
	s_cbranch_execz .LBB1_2345
; %bb.16187:
	s_getpc_b64 s[14:15]
.Lpost_getpc3997:
	s_add_u32 s14, s14, (.LBB1_6441-.Lpost_getpc3997)&4294967295
	s_addc_u32 s15, s15, (.LBB1_6441-.Lpost_getpc3997)>>32
	s_setpc_b64 s[14:15]
.LBB1_2345:
	s_or_saveexec_b64 s[6:7], s[6:7]
	v_mov_b32_e32 v12, s10
	s_xor_b64 exec, exec, s[6:7]
	s_cbranch_execz .LBB1_2346
; %bb.16189:
	s_getpc_b64 s[14:15]
.Lpost_getpc3998:
	s_add_u32 s14, s14, (.LBB1_6444-.Lpost_getpc3998)&4294967295
	s_addc_u32 s15, s15, (.LBB1_6444-.Lpost_getpc3998)>>32
	s_setpc_b64 s[14:15]
.LBB1_2346:
	s_or_b64 exec, exec, s[6:7]
	s_and_saveexec_b64 s[6:7], s[4:5]
	s_cbranch_execz .LBB1_2348
.LBB1_2347:
	v_bfe_u32 v12, v17, 8, 3
	v_ffbh_u32_e32 v22, v12
	v_min_u32_e32 v22, 32, v22
	v_lshrrev_b16_e32 v21, 3, v16
	v_subrev_u32_e32 v23, 28, v22
	v_and_b32_e32 v21, 15, v21
	v_lshlrev_b32_e32 v16, v23, v16
	v_sub_u32_e32 v22, 29, v22
	v_and_b32_e32 v16, 7, v16
	v_cmp_eq_u16_e32 vcc, 0, v21
	v_cndmask_b32_e32 v12, v12, v16, vcc
	v_cndmask_b32_e32 v16, v21, v22, vcc
	v_lshlrev_b32_e32 v21, 16, v17
	v_mov_b32_e32 v22, 0x3b800000
	v_lshlrev_b32_e32 v12, 20, v12
	v_and_b32_e32 v21, 0x80000000, v21
	v_lshl_add_u32 v16, v16, 23, v22
	v_or3_b32 v12, v21, v16, v12
.LBB1_2348:
	s_or_b64 exec, exec, s[6:7]
	v_lshrrev_b32_e32 v16, 8, v13
	s_movk_i32 s4, 0x7f
	v_cmp_gt_i16_sdwa s[6:7], v16, s4 src0_sel:BYTE_0 src1_sel:DWORD
	s_mov_b64 s[4:5], 0
                                        ; implicit-def: $sgpr10
	s_and_saveexec_b64 s[8:9], s[6:7]
	s_xor_b64 s[6:7], exec, s[8:9]
	s_cbranch_execz .LBB1_2349
; %bb.16191:
	s_getpc_b64 s[14:15]
.Lpost_getpc3999:
	s_add_u32 s14, s14, (.LBB1_6445-.Lpost_getpc3999)&4294967295
	s_addc_u32 s15, s15, (.LBB1_6445-.Lpost_getpc3999)>>32
	s_setpc_b64 s[14:15]
.LBB1_2349:
	s_or_saveexec_b64 s[6:7], s[6:7]
	v_mov_b32_e32 v21, s10
	s_xor_b64 exec, exec, s[6:7]
	s_cbranch_execz .LBB1_2350
; %bb.16193:
	s_getpc_b64 s[14:15]
.Lpost_getpc4000:
	s_add_u32 s14, s14, (.LBB1_6448-.Lpost_getpc4000)&4294967295
	s_addc_u32 s15, s15, (.LBB1_6448-.Lpost_getpc4000)>>32
	s_setpc_b64 s[14:15]
.LBB1_2350:
	s_or_b64 exec, exec, s[6:7]
	s_and_saveexec_b64 s[6:7], s[4:5]
	s_cbranch_execz .LBB1_2352
.LBB1_2351:
	v_bfe_u32 v21, v13, 8, 2
	v_ffbh_u32_e32 v23, v21
	v_min_u32_e32 v23, 32, v23
	v_lshrrev_b16_e32 v22, 2, v16
	v_subrev_u32_e32 v24, 29, v23
	v_and_b32_e32 v22, 31, v22
	v_lshlrev_b32_e32 v16, v24, v16
	v_sub_u32_e32 v23, 30, v23
	v_and_b32_e32 v16, 3, v16
	v_cmp_eq_u16_e32 vcc, 0, v22
	v_cndmask_b32_e32 v16, v21, v16, vcc
	v_cndmask_b32_e32 v21, v22, v23, vcc
	v_lshlrev_b32_e32 v22, 16, v13
	v_mov_b32_e32 v23, 0x37800000
	v_lshlrev_b32_e32 v16, 21, v16
	v_and_b32_e32 v22, 0x80000000, v22
	v_lshl_add_u32 v21, v21, 23, v23
	v_or3_b32 v21, v22, v21, v16
.LBB1_2352:
	s_or_b64 exec, exec, s[6:7]
	s_nop 0
	v_mfma_f32_16x16x4f32 a[0:3], v12, v21, a[0:3]
	s_movk_i32 s4, 0xff
	v_and_b32_sdwa v16, v17, s4 dst_sel:DWORD dst_unused:UNUSED_PAD src0_sel:WORD_1 src1_sel:DWORD
	s_movk_i32 s4, 0x7f
	v_cmp_lt_i16_e32 vcc, s4, v16
	s_mov_b64 s[4:5], 0
                                        ; implicit-def: $sgpr10
	s_and_saveexec_b64 s[6:7], vcc
	s_xor_b64 s[6:7], exec, s[6:7]
	s_cbranch_execz .LBB1_2353
; %bb.16195:
	s_getpc_b64 s[14:15]
.Lpost_getpc4001:
	s_add_u32 s14, s14, (.LBB1_6449-.Lpost_getpc4001)&4294967295
	s_addc_u32 s15, s15, (.LBB1_6449-.Lpost_getpc4001)>>32
	s_setpc_b64 s[14:15]
.LBB1_2353:
	s_or_saveexec_b64 s[6:7], s[6:7]
	v_mov_b32_e32 v12, s10
	s_xor_b64 exec, exec, s[6:7]
	s_cbranch_execz .LBB1_2354
; %bb.16197:
	s_getpc_b64 s[14:15]
.Lpost_getpc4002:
	s_add_u32 s14, s14, (.LBB1_6452-.Lpost_getpc4002)&4294967295
	s_addc_u32 s15, s15, (.LBB1_6452-.Lpost_getpc4002)>>32
	s_setpc_b64 s[14:15]
.LBB1_2354:
	s_or_b64 exec, exec, s[6:7]
	s_and_saveexec_b64 s[6:7], s[4:5]
	s_cbranch_execz .LBB1_2356
.LBB1_2355:
	v_bfe_u32 v12, v17, 16, 3
	v_ffbh_u32_e32 v22, v12
	v_min_u32_e32 v22, 32, v22
	v_lshrrev_b32_e32 v16, 19, v17
	v_subrev_u32_e32 v23, 28, v22
	v_and_b32_e32 v16, 15, v16
	v_lshlrev_b32_sdwa v23, v23, v17 dst_sel:DWORD dst_unused:UNUSED_PAD src0_sel:DWORD src1_sel:WORD_1
	v_bfe_u32 v21, v17, 19, 4
	v_sub_u32_e32 v22, 29, v22
	v_and_b32_e32 v23, 7, v23
	v_cmp_eq_u16_e32 vcc, 0, v16
	v_cndmask_b32_e32 v12, v12, v23, vcc
	v_cndmask_b32_e32 v16, v21, v22, vcc
	v_lshlrev_b32_e32 v21, 8, v17
	v_mov_b32_e32 v22, 0x3b800000
	v_lshlrev_b32_e32 v12, 20, v12
	v_and_b32_e32 v21, 0x80000000, v21
	v_lshl_add_u32 v16, v16, 23, v22
	v_or3_b32 v12, v21, v16, v12
.LBB1_2356:
	s_or_b64 exec, exec, s[6:7]
	s_movk_i32 s4, 0xff
	v_and_b32_sdwa v16, v13, s4 dst_sel:DWORD dst_unused:UNUSED_PAD src0_sel:WORD_1 src1_sel:DWORD
	s_movk_i32 s4, 0x7f
	v_cmp_lt_i16_e32 vcc, s4, v16
	s_mov_b64 s[4:5], 0
                                        ; implicit-def: $sgpr10
	s_and_saveexec_b64 s[6:7], vcc
	s_xor_b64 s[6:7], exec, s[6:7]
	s_cbranch_execz .LBB1_2357
; %bb.16199:
	s_getpc_b64 s[14:15]
.Lpost_getpc4003:
	s_add_u32 s14, s14, (.LBB1_6453-.Lpost_getpc4003)&4294967295
	s_addc_u32 s15, s15, (.LBB1_6453-.Lpost_getpc4003)>>32
	s_setpc_b64 s[14:15]
.LBB1_2357:
	s_or_saveexec_b64 s[6:7], s[6:7]
	v_mov_b32_e32 v21, s10
	s_xor_b64 exec, exec, s[6:7]
	s_cbranch_execz .LBB1_2358
; %bb.16201:
	s_getpc_b64 s[14:15]
.Lpost_getpc4004:
	s_add_u32 s14, s14, (.LBB1_6456-.Lpost_getpc4004)&4294967295
	s_addc_u32 s15, s15, (.LBB1_6456-.Lpost_getpc4004)>>32
	s_setpc_b64 s[14:15]
.LBB1_2358:
	s_or_b64 exec, exec, s[6:7]
	s_and_saveexec_b64 s[6:7], s[4:5]
	s_cbranch_execz .LBB1_2360
.LBB1_2359:
	v_bfe_u32 v16, v13, 16, 2
	v_ffbh_u32_e32 v23, v16
	v_min_u32_e32 v23, 32, v23
	v_lshrrev_b32_e32 v21, 18, v13
	v_subrev_u32_e32 v24, 29, v23
	v_and_b32_e32 v21, 31, v21
	v_lshlrev_b32_sdwa v24, v24, v13 dst_sel:DWORD dst_unused:UNUSED_PAD src0_sel:DWORD src1_sel:WORD_1
	v_bfe_u32 v22, v13, 18, 5
	v_sub_u32_e32 v23, 30, v23
	v_and_b32_e32 v24, 3, v24
	v_cmp_eq_u16_e32 vcc, 0, v21
	v_cndmask_b32_e32 v16, v16, v24, vcc
	v_cndmask_b32_e32 v21, v22, v23, vcc
	v_lshlrev_b32_e32 v22, 8, v13
	v_mov_b32_e32 v23, 0x37800000
	v_lshlrev_b32_e32 v16, 21, v16
	v_and_b32_e32 v22, 0x80000000, v22
	v_lshl_add_u32 v21, v21, 23, v23
	v_or3_b32 v21, v22, v21, v16
.LBB1_2360:
	s_or_b64 exec, exec, s[6:7]
	s_nop 0
	v_mfma_f32_16x16x4f32 a[0:3], v12, v21, a[0:3]
	s_movk_i32 s4, 0x7f
	v_cmp_gt_i16_sdwa s[6:7], v17, s4 src0_sel:BYTE_3 src1_sel:DWORD
	s_mov_b64 s[4:5], 0
                                        ; implicit-def: $sgpr10
	s_and_saveexec_b64 s[8:9], s[6:7]
	s_xor_b64 s[6:7], exec, s[8:9]
	s_cbranch_execz .LBB1_2361
; %bb.16203:
	s_getpc_b64 s[14:15]
.Lpost_getpc4005:
	s_add_u32 s14, s14, (.LBB1_6457-.Lpost_getpc4005)&4294967295
	s_addc_u32 s15, s15, (.LBB1_6457-.Lpost_getpc4005)>>32
	s_setpc_b64 s[14:15]
.LBB1_2361:
	s_or_saveexec_b64 s[6:7], s[6:7]
	v_mov_b32_e32 v12, s10
	s_xor_b64 exec, exec, s[6:7]
	s_cbranch_execz .LBB1_2362
; %bb.16205:
	s_getpc_b64 s[14:15]
.Lpost_getpc4006:
	s_add_u32 s14, s14, (.LBB1_6460-.Lpost_getpc4006)&4294967295
	s_addc_u32 s15, s15, (.LBB1_6460-.Lpost_getpc4006)>>32
	s_setpc_b64 s[14:15]
.LBB1_2362:
	s_or_b64 exec, exec, s[6:7]
	s_and_saveexec_b64 s[6:7], s[4:5]
	s_cbranch_execz .LBB1_2364
.LBB1_2363:
	v_bfe_u32 v12, v17, 24, 3
	v_ffbh_u32_e32 v23, v12
	v_min_u32_e32 v23, 32, v23
	v_lshrrev_b32_e32 v21, 27, v17
	v_subrev_u32_e32 v24, 28, v23
	v_and_b32_e32 v16, 0x80000000, v17
	v_and_b32_e32 v21, 15, v21
	v_bfe_u32 v22, v17, 27, 4
	v_lshlrev_b32_sdwa v17, v24, v17 dst_sel:DWORD dst_unused:UNUSED_PAD src0_sel:DWORD src1_sel:BYTE_3
	v_sub_u32_e32 v23, 29, v23
	v_and_b32_e32 v17, 7, v17
	v_cmp_eq_u16_e32 vcc, 0, v21
	v_cndmask_b32_e32 v12, v12, v17, vcc
	v_cndmask_b32_e32 v17, v22, v23, vcc
	v_mov_b32_e32 v21, 0x3b800000
	v_lshlrev_b32_e32 v12, 20, v12
	v_lshl_add_u32 v17, v17, 23, v21
	v_or3_b32 v12, v16, v17, v12
.LBB1_2364:
	s_or_b64 exec, exec, s[6:7]
	s_movk_i32 s4, 0x7f
	v_cmp_gt_i16_sdwa s[6:7], v13, s4 src0_sel:BYTE_3 src1_sel:DWORD
	s_mov_b64 s[4:5], 0
                                        ; implicit-def: $sgpr10
	s_and_saveexec_b64 s[8:9], s[6:7]
	s_xor_b64 s[6:7], exec, s[8:9]
	s_cbranch_execz .LBB1_2365
; %bb.16207:
	s_getpc_b64 s[14:15]
.Lpost_getpc4007:
	s_add_u32 s14, s14, (.LBB1_6461-.Lpost_getpc4007)&4294967295
	s_addc_u32 s15, s15, (.LBB1_6461-.Lpost_getpc4007)>>32
	s_setpc_b64 s[14:15]
.LBB1_2365:
	s_or_saveexec_b64 s[6:7], s[6:7]
	v_mov_b32_e32 v16, s10
	s_xor_b64 exec, exec, s[6:7]
	s_cbranch_execz .LBB1_2366
; %bb.16209:
	s_getpc_b64 s[14:15]
.Lpost_getpc4008:
	s_add_u32 s14, s14, (.LBB1_6464-.Lpost_getpc4008)&4294967295
	s_addc_u32 s15, s15, (.LBB1_6464-.Lpost_getpc4008)>>32
	s_setpc_b64 s[14:15]
.LBB1_2366:
	s_or_b64 exec, exec, s[6:7]
	s_and_saveexec_b64 s[6:7], s[4:5]
	s_cbranch_execz .LBB1_2368
.LBB1_2367:
	v_bfe_u32 v16, v13, 24, 2
	v_ffbh_u32_e32 v23, v16
	v_min_u32_e32 v23, 32, v23
	v_lshrrev_b32_e32 v21, 26, v13
	v_subrev_u32_e32 v24, 29, v23
	v_and_b32_e32 v17, 0x80000000, v13
	v_and_b32_e32 v21, 31, v21
	v_bfe_u32 v22, v13, 26, 5
	v_lshlrev_b32_sdwa v13, v24, v13 dst_sel:DWORD dst_unused:UNUSED_PAD src0_sel:DWORD src1_sel:BYTE_3
	v_sub_u32_e32 v23, 30, v23
	v_and_b32_e32 v13, 3, v13
	v_cmp_eq_u16_e32 vcc, 0, v21
	v_cndmask_b32_e32 v13, v16, v13, vcc
	v_cndmask_b32_e32 v16, v22, v23, vcc
	v_mov_b32_e32 v21, 0x37800000
	v_lshlrev_b32_e32 v13, 21, v13
	v_lshl_add_u32 v16, v16, 23, v21
	v_or3_b32 v16, v17, v16, v13
.LBB1_2368:
	s_or_b64 exec, exec, s[6:7]
	s_nop 0
	v_mfma_f32_16x16x4f32 a[0:3], v12, v16, a[0:3]
	s_movk_i32 s4, 0x7f
	v_cmp_gt_i16_sdwa s[6:7], v18, s4 src0_sel:BYTE_0 src1_sel:DWORD
	s_mov_b64 s[4:5], 0
                                        ; implicit-def: $sgpr10
	s_and_saveexec_b64 s[8:9], s[6:7]
	s_xor_b64 s[6:7], exec, s[8:9]
	s_cbranch_execz .LBB1_2369
; %bb.16211:
	s_getpc_b64 s[14:15]
.Lpost_getpc4009:
	s_add_u32 s14, s14, (.LBB1_6465-.Lpost_getpc4009)&4294967295
	s_addc_u32 s15, s15, (.LBB1_6465-.Lpost_getpc4009)>>32
	s_setpc_b64 s[14:15]
.LBB1_2369:
	s_or_saveexec_b64 s[6:7], s[6:7]
	v_mov_b32_e32 v13, s10
	s_xor_b64 exec, exec, s[6:7]
	s_cbranch_execz .LBB1_2370
; %bb.16213:
	s_getpc_b64 s[14:15]
.Lpost_getpc4010:
	s_add_u32 s14, s14, (.LBB1_6468-.Lpost_getpc4010)&4294967295
	s_addc_u32 s15, s15, (.LBB1_6468-.Lpost_getpc4010)>>32
	s_setpc_b64 s[14:15]
.LBB1_2370:
	s_or_b64 exec, exec, s[6:7]
	s_and_saveexec_b64 s[6:7], s[4:5]
	s_cbranch_execz .LBB1_2372
.LBB1_2371:
	v_and_b32_e32 v12, 7, v18
	v_ffbh_u32_e32 v16, v12
	v_min_u32_e32 v16, 32, v16
	v_lshrrev_b16_e32 v13, 3, v18
	v_subrev_u32_e32 v17, 28, v16
	v_and_b32_e32 v13, 15, v13
	v_lshlrev_b32_e32 v17, v17, v18
	v_sub_u32_e32 v16, 29, v16
	v_and_b32_e32 v17, 7, v17
	v_cmp_eq_u16_e32 vcc, 0, v13
	v_cndmask_b32_e32 v12, v12, v17, vcc
	v_cndmask_b32_e32 v13, v13, v16, vcc
	v_lshlrev_b32_e32 v16, 24, v18
	v_mov_b32_e32 v17, 0x3b800000
	v_lshlrev_b32_e32 v12, 20, v12
	v_and_b32_e32 v16, 0x80000000, v16
	v_lshl_add_u32 v13, v13, 23, v17
	v_or3_b32 v13, v16, v13, v12
.LBB1_2372:
	s_or_b64 exec, exec, s[6:7]
	s_movk_i32 s4, 0xff
	v_mov_b32_e32 v12, 8
	v_or_b32_sdwa v16, v14, v20 dst_sel:DWORD dst_unused:UNUSED_PAD src0_sel:BYTE_0 src1_sel:DWORD
	v_lshlrev_b16_sdwa v12, v12, v14 dst_sel:DWORD dst_unused:UNUSED_PAD src0_sel:DWORD src1_sel:BYTE_3
	v_and_b32_sdwa v14, v14, s4 dst_sel:DWORD dst_unused:UNUSED_PAD src0_sel:WORD_1 src1_sel:DWORD
	s_movk_i32 s4, 0x7f
	v_or_b32_sdwa v12, v14, v12 dst_sel:WORD_1 dst_unused:UNUSED_PAD src0_sel:DWORD src1_sel:DWORD
	v_cmp_gt_i16_sdwa s[6:7], v16, s4 src0_sel:BYTE_0 src1_sel:DWORD
	s_mov_b64 s[4:5], 0
                                        ; implicit-def: $sgpr10
	s_and_saveexec_b64 s[8:9], s[6:7]
	s_xor_b64 s[6:7], exec, s[8:9]
	s_cbranch_execz .LBB1_2373
; %bb.16215:
	s_getpc_b64 s[14:15]
.Lpost_getpc4011:
	s_add_u32 s14, s14, (.LBB1_6469-.Lpost_getpc4011)&4294967295
	s_addc_u32 s15, s15, (.LBB1_6469-.Lpost_getpc4011)>>32
	s_setpc_b64 s[14:15]
.LBB1_2373:
	s_or_saveexec_b64 s[6:7], s[6:7]
	v_mov_b32_e32 v14, s10
	s_xor_b64 exec, exec, s[6:7]
	s_cbranch_execz .LBB1_2374
; %bb.16217:
	s_getpc_b64 s[14:15]
.Lpost_getpc4012:
	s_add_u32 s14, s14, (.LBB1_6472-.Lpost_getpc4012)&4294967295
	s_addc_u32 s15, s15, (.LBB1_6472-.Lpost_getpc4012)>>32
	s_setpc_b64 s[14:15]
.LBB1_2374:
	s_or_b64 exec, exec, s[6:7]
	v_or_b32_sdwa v12, v16, v12 dst_sel:DWORD dst_unused:UNUSED_PAD src0_sel:WORD_0 src1_sel:DWORD
	s_and_saveexec_b64 s[6:7], s[4:5]
	s_cbranch_execz .LBB1_2376
.LBB1_2375:
	v_and_b32_e32 v14, 3, v12
	v_ffbh_u32_e32 v17, v14
	v_min_u32_e32 v17, 32, v17
	v_lshrrev_b16_e32 v16, 2, v16
	v_subrev_u32_e32 v20, 29, v17
	v_and_b32_e32 v16, 31, v16
	v_lshlrev_b32_e32 v20, v20, v12
	v_sub_u32_e32 v17, 30, v17
	v_and_b32_e32 v20, 3, v20
	v_cmp_eq_u16_e32 vcc, 0, v16
	v_cndmask_b32_e32 v14, v14, v20, vcc
	v_cndmask_b32_e32 v16, v16, v17, vcc
	v_lshlrev_b32_e32 v17, 24, v12
	v_mov_b32_e32 v20, 0x37800000
	v_lshlrev_b32_e32 v14, 21, v14
	v_and_b32_e32 v17, 0x80000000, v17
	v_lshl_add_u32 v16, v16, 23, v20
	v_or3_b32 v14, v17, v16, v14
.LBB1_2376:
	s_or_b64 exec, exec, s[6:7]
	s_nop 0
	v_mfma_f32_16x16x4f32 a[0:3], v13, v14, a[0:3]
	v_lshrrev_b32_e32 v14, 8, v18
	s_movk_i32 s4, 0x7f
	v_cmp_gt_i16_sdwa s[6:7], v14, s4 src0_sel:BYTE_0 src1_sel:DWORD
	s_mov_b64 s[4:5], 0
                                        ; implicit-def: $sgpr10
	s_and_saveexec_b64 s[8:9], s[6:7]
	s_xor_b64 s[6:7], exec, s[8:9]
	s_cbranch_execz .LBB1_2377
; %bb.16219:
	s_getpc_b64 s[14:15]
.Lpost_getpc4013:
	s_add_u32 s14, s14, (.LBB1_6473-.Lpost_getpc4013)&4294967295
	s_addc_u32 s15, s15, (.LBB1_6473-.Lpost_getpc4013)>>32
	s_setpc_b64 s[14:15]
.LBB1_2377:
	s_or_saveexec_b64 s[6:7], s[6:7]
	v_mov_b32_e32 v13, s10
	s_xor_b64 exec, exec, s[6:7]
	s_cbranch_execz .LBB1_2378
; %bb.16221:
	s_getpc_b64 s[14:15]
.Lpost_getpc4014:
	s_add_u32 s14, s14, (.LBB1_6476-.Lpost_getpc4014)&4294967295
	s_addc_u32 s15, s15, (.LBB1_6476-.Lpost_getpc4014)>>32
	s_setpc_b64 s[14:15]
.LBB1_2378:
	s_or_b64 exec, exec, s[6:7]
	s_and_saveexec_b64 s[6:7], s[4:5]
	s_cbranch_execz .LBB1_2380
.LBB1_2379:
	v_bfe_u32 v13, v18, 8, 3
	v_ffbh_u32_e32 v17, v13
	v_min_u32_e32 v17, 32, v17
	v_lshrrev_b16_e32 v16, 3, v14
	v_subrev_u32_e32 v20, 28, v17
	v_and_b32_e32 v16, 15, v16
	v_lshlrev_b32_e32 v14, v20, v14
	v_sub_u32_e32 v17, 29, v17
	v_and_b32_e32 v14, 7, v14
	v_cmp_eq_u16_e32 vcc, 0, v16
	v_cndmask_b32_e32 v13, v13, v14, vcc
	v_cndmask_b32_e32 v14, v16, v17, vcc
	v_lshlrev_b32_e32 v16, 16, v18
	v_mov_b32_e32 v17, 0x3b800000
	v_lshlrev_b32_e32 v13, 20, v13
	v_and_b32_e32 v16, 0x80000000, v16
	v_lshl_add_u32 v14, v14, 23, v17
	v_or3_b32 v13, v16, v14, v13
.LBB1_2380:
	s_or_b64 exec, exec, s[6:7]
	v_lshrrev_b32_e32 v14, 8, v12
	s_movk_i32 s4, 0x7f
	v_cmp_gt_i16_sdwa s[6:7], v14, s4 src0_sel:BYTE_0 src1_sel:DWORD
	s_mov_b64 s[4:5], 0
                                        ; implicit-def: $sgpr10
	s_and_saveexec_b64 s[8:9], s[6:7]
	s_xor_b64 s[6:7], exec, s[8:9]
	s_cbranch_execz .LBB1_2381
; %bb.16223:
	s_getpc_b64 s[14:15]
.Lpost_getpc4015:
	s_add_u32 s14, s14, (.LBB1_6477-.Lpost_getpc4015)&4294967295
	s_addc_u32 s15, s15, (.LBB1_6477-.Lpost_getpc4015)>>32
	s_setpc_b64 s[14:15]
.LBB1_2381:
	s_or_saveexec_b64 s[6:7], s[6:7]
	v_mov_b32_e32 v16, s10
	s_xor_b64 exec, exec, s[6:7]
	s_cbranch_execz .LBB1_2382
; %bb.16225:
	s_getpc_b64 s[14:15]
.Lpost_getpc4016:
	s_add_u32 s14, s14, (.LBB1_6480-.Lpost_getpc4016)&4294967295
	s_addc_u32 s15, s15, (.LBB1_6480-.Lpost_getpc4016)>>32
	s_setpc_b64 s[14:15]
.LBB1_2382:
	s_or_b64 exec, exec, s[6:7]
	s_and_saveexec_b64 s[6:7], s[4:5]
	s_cbranch_execz .LBB1_2384
.LBB1_2383:
	v_bfe_u32 v16, v12, 8, 2
	v_ffbh_u32_e32 v20, v16
	v_min_u32_e32 v20, 32, v20
	v_lshrrev_b16_e32 v17, 2, v14
	v_subrev_u32_e32 v21, 29, v20
	v_and_b32_e32 v17, 31, v17
	v_lshlrev_b32_e32 v14, v21, v14
	v_sub_u32_e32 v20, 30, v20
	v_and_b32_e32 v14, 3, v14
	v_cmp_eq_u16_e32 vcc, 0, v17
	v_cndmask_b32_e32 v14, v16, v14, vcc
	v_cndmask_b32_e32 v16, v17, v20, vcc
	v_lshlrev_b32_e32 v17, 16, v12
	v_mov_b32_e32 v20, 0x37800000
	v_lshlrev_b32_e32 v14, 21, v14
	v_and_b32_e32 v17, 0x80000000, v17
	v_lshl_add_u32 v16, v16, 23, v20
	v_or3_b32 v16, v17, v16, v14
.LBB1_2384:
	s_or_b64 exec, exec, s[6:7]
	s_nop 0
	v_mfma_f32_16x16x4f32 a[0:3], v13, v16, a[0:3]
	s_movk_i32 s4, 0xff
	v_and_b32_sdwa v14, v18, s4 dst_sel:DWORD dst_unused:UNUSED_PAD src0_sel:WORD_1 src1_sel:DWORD
	s_movk_i32 s4, 0x7f
	v_cmp_lt_i16_e32 vcc, s4, v14
	s_mov_b64 s[4:5], 0
                                        ; implicit-def: $sgpr10
	s_and_saveexec_b64 s[6:7], vcc
	s_xor_b64 s[6:7], exec, s[6:7]
	s_cbranch_execz .LBB1_2385
; %bb.16227:
	s_getpc_b64 s[14:15]
.Lpost_getpc4017:
	s_add_u32 s14, s14, (.LBB1_6481-.Lpost_getpc4017)&4294967295
	s_addc_u32 s15, s15, (.LBB1_6481-.Lpost_getpc4017)>>32
	s_setpc_b64 s[14:15]
.LBB1_2385:
	s_or_saveexec_b64 s[6:7], s[6:7]
	v_mov_b32_e32 v13, s10
	s_xor_b64 exec, exec, s[6:7]
	s_cbranch_execz .LBB1_2386
; %bb.16229:
	s_getpc_b64 s[14:15]
.Lpost_getpc4018:
	s_add_u32 s14, s14, (.LBB1_6484-.Lpost_getpc4018)&4294967295
	s_addc_u32 s15, s15, (.LBB1_6484-.Lpost_getpc4018)>>32
	s_setpc_b64 s[14:15]
.LBB1_2386:
	s_or_b64 exec, exec, s[6:7]
	s_and_saveexec_b64 s[6:7], s[4:5]
	s_cbranch_execz .LBB1_2388
.LBB1_2387:
	v_bfe_u32 v13, v18, 16, 3
	v_ffbh_u32_e32 v17, v13
	v_min_u32_e32 v17, 32, v17
	v_lshrrev_b32_e32 v14, 19, v18
	v_subrev_u32_e32 v20, 28, v17
	v_and_b32_e32 v14, 15, v14
	v_lshlrev_b32_sdwa v20, v20, v18 dst_sel:DWORD dst_unused:UNUSED_PAD src0_sel:DWORD src1_sel:WORD_1
	v_bfe_u32 v16, v18, 19, 4
	v_sub_u32_e32 v17, 29, v17
	v_and_b32_e32 v20, 7, v20
	v_cmp_eq_u16_e32 vcc, 0, v14
	v_cndmask_b32_e32 v13, v13, v20, vcc
	v_cndmask_b32_e32 v14, v16, v17, vcc
	v_lshlrev_b32_e32 v16, 8, v18
	v_mov_b32_e32 v17, 0x3b800000
	v_lshlrev_b32_e32 v13, 20, v13
	v_and_b32_e32 v16, 0x80000000, v16
	v_lshl_add_u32 v14, v14, 23, v17
	v_or3_b32 v13, v16, v14, v13
.LBB1_2388:
	s_or_b64 exec, exec, s[6:7]
	s_movk_i32 s4, 0xff
	v_and_b32_sdwa v14, v12, s4 dst_sel:DWORD dst_unused:UNUSED_PAD src0_sel:WORD_1 src1_sel:DWORD
	s_movk_i32 s4, 0x7f
	v_cmp_lt_i16_e32 vcc, s4, v14
	s_mov_b64 s[4:5], 0
                                        ; implicit-def: $sgpr10
	s_and_saveexec_b64 s[6:7], vcc
	s_xor_b64 s[6:7], exec, s[6:7]
	s_cbranch_execz .LBB1_2389
; %bb.16231:
	s_getpc_b64 s[14:15]
.Lpost_getpc4019:
	s_add_u32 s14, s14, (.LBB1_6485-.Lpost_getpc4019)&4294967295
	s_addc_u32 s15, s15, (.LBB1_6485-.Lpost_getpc4019)>>32
	s_setpc_b64 s[14:15]
.LBB1_2389:
	s_or_saveexec_b64 s[6:7], s[6:7]
	v_mov_b32_e32 v16, s10
	s_xor_b64 exec, exec, s[6:7]
	s_cbranch_execz .LBB1_2390
; %bb.16233:
	s_getpc_b64 s[14:15]
.Lpost_getpc4020:
	s_add_u32 s14, s14, (.LBB1_6488-.Lpost_getpc4020)&4294967295
	s_addc_u32 s15, s15, (.LBB1_6488-.Lpost_getpc4020)>>32
	s_setpc_b64 s[14:15]
.LBB1_2390:
	s_or_b64 exec, exec, s[6:7]
	s_and_saveexec_b64 s[6:7], s[4:5]
	s_cbranch_execz .LBB1_2392
.LBB1_2391:
	v_bfe_u32 v14, v12, 16, 2
	v_ffbh_u32_e32 v20, v14
	v_min_u32_e32 v20, 32, v20
	v_lshrrev_b32_e32 v16, 18, v12
	v_subrev_u32_e32 v21, 29, v20
	v_and_b32_e32 v16, 31, v16
	v_lshlrev_b32_sdwa v21, v21, v12 dst_sel:DWORD dst_unused:UNUSED_PAD src0_sel:DWORD src1_sel:WORD_1
	v_bfe_u32 v17, v12, 18, 5
	v_sub_u32_e32 v20, 30, v20
	v_and_b32_e32 v21, 3, v21
	v_cmp_eq_u16_e32 vcc, 0, v16
	v_cndmask_b32_e32 v14, v14, v21, vcc
	v_cndmask_b32_e32 v16, v17, v20, vcc
	v_lshlrev_b32_e32 v17, 8, v12
	v_mov_b32_e32 v20, 0x37800000
	v_lshlrev_b32_e32 v14, 21, v14
	v_and_b32_e32 v17, 0x80000000, v17
	v_lshl_add_u32 v16, v16, 23, v20
	v_or3_b32 v16, v17, v16, v14
.LBB1_2392:
	s_or_b64 exec, exec, s[6:7]
	s_nop 0
	v_mfma_f32_16x16x4f32 a[0:3], v13, v16, a[0:3]
	s_movk_i32 s4, 0x7f
	v_cmp_gt_i16_sdwa s[6:7], v18, s4 src0_sel:BYTE_3 src1_sel:DWORD
	s_mov_b64 s[4:5], 0
                                        ; implicit-def: $sgpr10
	s_and_saveexec_b64 s[8:9], s[6:7]
	s_xor_b64 s[6:7], exec, s[8:9]
	s_cbranch_execz .LBB1_2393
; %bb.16235:
	s_getpc_b64 s[14:15]
.Lpost_getpc4021:
	s_add_u32 s14, s14, (.LBB1_6489-.Lpost_getpc4021)&4294967295
	s_addc_u32 s15, s15, (.LBB1_6489-.Lpost_getpc4021)>>32
	s_setpc_b64 s[14:15]
.LBB1_2393:
	s_or_saveexec_b64 s[6:7], s[6:7]
	v_mov_b32_e32 v13, s10
	s_xor_b64 exec, exec, s[6:7]
	s_cbranch_execz .LBB1_2394
; %bb.16237:
	s_getpc_b64 s[14:15]
.Lpost_getpc4022:
	s_add_u32 s14, s14, (.LBB1_6492-.Lpost_getpc4022)&4294967295
	s_addc_u32 s15, s15, (.LBB1_6492-.Lpost_getpc4022)>>32
	s_setpc_b64 s[14:15]
.LBB1_2394:
	s_or_b64 exec, exec, s[6:7]
	s_and_saveexec_b64 s[6:7], s[4:5]
	s_cbranch_execz .LBB1_2396
.LBB1_2395:
	v_bfe_u32 v13, v18, 24, 3
	v_ffbh_u32_e32 v20, v13
	v_min_u32_e32 v20, 32, v20
	v_lshrrev_b32_e32 v16, 27, v18
	v_subrev_u32_e32 v21, 28, v20
	v_and_b32_e32 v14, 0x80000000, v18
	v_and_b32_e32 v16, 15, v16
	v_bfe_u32 v17, v18, 27, 4
	v_lshlrev_b32_sdwa v18, v21, v18 dst_sel:DWORD dst_unused:UNUSED_PAD src0_sel:DWORD src1_sel:BYTE_3
	v_sub_u32_e32 v20, 29, v20
	v_and_b32_e32 v18, 7, v18
	v_cmp_eq_u16_e32 vcc, 0, v16
	v_cndmask_b32_e32 v13, v13, v18, vcc
	v_cndmask_b32_e32 v16, v17, v20, vcc
	v_mov_b32_e32 v17, 0x3b800000
	v_lshlrev_b32_e32 v13, 20, v13
	v_lshl_add_u32 v16, v16, 23, v17
	v_or3_b32 v13, v14, v16, v13
.LBB1_2396:
	s_or_b64 exec, exec, s[6:7]
	s_movk_i32 s4, 0x7f
	v_cmp_gt_i16_sdwa s[6:7], v12, s4 src0_sel:BYTE_3 src1_sel:DWORD
	s_mov_b64 s[4:5], 0
                                        ; implicit-def: $sgpr10
	s_and_saveexec_b64 s[8:9], s[6:7]
	s_xor_b64 s[6:7], exec, s[8:9]
	s_cbranch_execz .LBB1_2397
; %bb.16239:
	s_getpc_b64 s[14:15]
.Lpost_getpc4023:
	s_add_u32 s14, s14, (.LBB1_6493-.Lpost_getpc4023)&4294967295
	s_addc_u32 s15, s15, (.LBB1_6493-.Lpost_getpc4023)>>32
	s_setpc_b64 s[14:15]
.LBB1_2397:
	s_or_saveexec_b64 s[6:7], s[6:7]
	v_mov_b32_e32 v14, s10
	s_xor_b64 exec, exec, s[6:7]
	s_cbranch_execz .LBB1_2398
; %bb.16241:
	s_getpc_b64 s[14:15]
.Lpost_getpc4024:
	s_add_u32 s14, s14, (.LBB1_6496-.Lpost_getpc4024)&4294967295
	s_addc_u32 s15, s15, (.LBB1_6496-.Lpost_getpc4024)>>32
	s_setpc_b64 s[14:15]
.LBB1_2398:
	s_or_b64 exec, exec, s[6:7]
	s_and_saveexec_b64 s[6:7], s[4:5]
	s_cbranch_execz .LBB1_2400
.LBB1_2399:
	v_bfe_u32 v14, v12, 24, 2
	v_ffbh_u32_e32 v20, v14
	v_min_u32_e32 v20, 32, v20
	v_lshrrev_b32_e32 v17, 26, v12
	v_subrev_u32_e32 v21, 29, v20
	v_and_b32_e32 v16, 0x80000000, v12
	v_and_b32_e32 v17, 31, v17
	v_bfe_u32 v18, v12, 26, 5
	v_lshlrev_b32_sdwa v12, v21, v12 dst_sel:DWORD dst_unused:UNUSED_PAD src0_sel:DWORD src1_sel:BYTE_3
	v_sub_u32_e32 v20, 30, v20
	v_and_b32_e32 v12, 3, v12
	v_cmp_eq_u16_e32 vcc, 0, v17
	v_cndmask_b32_e32 v12, v14, v12, vcc
	v_cndmask_b32_e32 v14, v18, v20, vcc
	v_mov_b32_e32 v17, 0x37800000
	v_lshlrev_b32_e32 v12, 21, v12
	v_lshl_add_u32 v14, v14, 23, v17
	v_or3_b32 v14, v16, v14, v12
.LBB1_2400:
	s_or_b64 exec, exec, s[6:7]
	s_nop 0
	v_mfma_f32_16x16x4f32 a[0:3], v13, v14, a[0:3]
	s_movk_i32 s4, 0x7f
	v_cmp_gt_i16_sdwa s[6:7], v19, s4 src0_sel:BYTE_0 src1_sel:DWORD
	s_mov_b64 s[4:5], 0
                                        ; implicit-def: $sgpr10
	s_and_saveexec_b64 s[8:9], s[6:7]
	s_xor_b64 s[6:7], exec, s[8:9]
	s_cbranch_execz .LBB1_2401
; %bb.16243:
	s_getpc_b64 s[14:15]
.Lpost_getpc4025:
	s_add_u32 s14, s14, (.LBB1_6497-.Lpost_getpc4025)&4294967295
	s_addc_u32 s15, s15, (.LBB1_6497-.Lpost_getpc4025)>>32
	s_setpc_b64 s[14:15]
.LBB1_2401:
	s_or_saveexec_b64 s[6:7], s[6:7]
	v_mov_b32_e32 v12, s10
	s_xor_b64 exec, exec, s[6:7]
	s_cbranch_execz .LBB1_2402
; %bb.16245:
	s_getpc_b64 s[14:15]
.Lpost_getpc4026:
	s_add_u32 s14, s14, (.LBB1_6500-.Lpost_getpc4026)&4294967295
	s_addc_u32 s15, s15, (.LBB1_6500-.Lpost_getpc4026)>>32
	s_setpc_b64 s[14:15]
.LBB1_2402:
	s_or_b64 exec, exec, s[6:7]
	s_and_saveexec_b64 s[6:7], s[4:5]
	s_cbranch_execz .LBB1_2404
.LBB1_2403:
	v_mov_b32_e32 v12, 8
	v_and_b32_e32 v13, 7, v19
	v_lshrrev_b32_sdwa v12, v12, v19 dst_sel:BYTE_1 dst_unused:UNUSED_PAD src0_sel:DWORD src1_sel:DWORD
	v_ffbh_u32_e32 v14, v13
	v_or_b32_sdwa v12, v19, v12 dst_sel:DWORD dst_unused:UNUSED_PAD src0_sel:BYTE_0 src1_sel:DWORD
	v_min_u32_e32 v14, 32, v14
	v_lshrrev_b16_e32 v12, 3, v12
	v_subrev_u32_e32 v16, 28, v14
	v_and_b32_e32 v12, 15, v12
	v_lshlrev_b32_e32 v16, v16, v19
	v_sub_u32_e32 v14, 29, v14
	v_and_b32_e32 v16, 7, v16
	v_cmp_eq_u16_e32 vcc, 0, v12
	v_cndmask_b32_e32 v13, v13, v16, vcc
	v_cndmask_b32_e32 v12, v12, v14, vcc
	v_lshlrev_b32_e32 v14, 24, v19
	v_mov_b32_e32 v16, 0x3b800000
	v_lshlrev_b32_e32 v13, 20, v13
	v_and_b32_e32 v14, 0x80000000, v14
	v_lshl_add_u32 v12, v12, 23, v16
	v_or3_b32 v12, v14, v12, v13
.LBB1_2404:
	s_or_b64 exec, exec, s[6:7]
	s_movk_i32 s4, 0x7f
	v_cmp_gt_i16_sdwa s[6:7], v15, s4 src0_sel:BYTE_0 src1_sel:DWORD
	s_mov_b64 s[4:5], 0
                                        ; implicit-def: $sgpr10
	s_and_saveexec_b64 s[8:9], s[6:7]
	s_xor_b64 s[6:7], exec, s[8:9]
	s_cbranch_execz .LBB1_2405
; %bb.16247:
	s_getpc_b64 s[14:15]
.Lpost_getpc4027:
	s_add_u32 s14, s14, (.LBB1_6501-.Lpost_getpc4027)&4294967295
	s_addc_u32 s15, s15, (.LBB1_6501-.Lpost_getpc4027)>>32
	s_setpc_b64 s[14:15]
.LBB1_2405:
	s_or_saveexec_b64 s[6:7], s[6:7]
	v_mov_b32_e32 v13, s10
	s_xor_b64 exec, exec, s[6:7]
	s_cbranch_execz .LBB1_2406
; %bb.16249:
	s_getpc_b64 s[14:15]
.Lpost_getpc4028:
	s_add_u32 s14, s14, (.LBB1_6504-.Lpost_getpc4028)&4294967295
	s_addc_u32 s15, s15, (.LBB1_6504-.Lpost_getpc4028)>>32
	s_setpc_b64 s[14:15]
.LBB1_2406:
	s_or_b64 exec, exec, s[6:7]
	s_and_saveexec_b64 s[6:7], s[4:5]
	s_cbranch_execz .LBB1_2408
.LBB1_2407:
	v_and_b32_e32 v13, 3, v15
	v_ffbh_u32_e32 v16, v13
	v_min_u32_e32 v16, 32, v16
	v_lshrrev_b16_e32 v14, 2, v15
	v_subrev_u32_e32 v17, 29, v16
	v_and_b32_e32 v14, 31, v14
	v_lshlrev_b32_e32 v17, v17, v15
	v_sub_u32_e32 v16, 30, v16
	v_and_b32_e32 v17, 3, v17
	v_cmp_eq_u16_e32 vcc, 0, v14
	v_cndmask_b32_e32 v13, v13, v17, vcc
	v_cndmask_b32_e32 v14, v14, v16, vcc
	v_lshlrev_b32_e32 v16, 24, v15
	v_mov_b32_e32 v17, 0x37800000
	v_lshlrev_b32_e32 v13, 21, v13
	v_and_b32_e32 v16, 0x80000000, v16
	v_lshl_add_u32 v14, v14, 23, v17
	v_or3_b32 v13, v16, v14, v13
.LBB1_2408:
	s_or_b64 exec, exec, s[6:7]
	s_nop 0
	v_mfma_f32_16x16x4f32 a[0:3], v12, v13, a[0:3]
	v_lshrrev_b32_e32 v13, 8, v19
	s_movk_i32 s4, 0x7f
	v_cmp_gt_i16_sdwa s[6:7], v13, s4 src0_sel:BYTE_0 src1_sel:DWORD
	s_mov_b64 s[4:5], 0
                                        ; implicit-def: $sgpr10
	s_and_saveexec_b64 s[8:9], s[6:7]
	s_xor_b64 s[6:7], exec, s[8:9]
	s_cbranch_execz .LBB1_2409
; %bb.16251:
	s_getpc_b64 s[14:15]
.Lpost_getpc4029:
	s_add_u32 s14, s14, (.LBB1_6505-.Lpost_getpc4029)&4294967295
	s_addc_u32 s15, s15, (.LBB1_6505-.Lpost_getpc4029)>>32
	s_setpc_b64 s[14:15]
.LBB1_2409:
	s_or_saveexec_b64 s[6:7], s[6:7]
	v_mov_b32_e32 v12, s10
	s_xor_b64 exec, exec, s[6:7]
	s_cbranch_execz .LBB1_2410
; %bb.16253:
	s_getpc_b64 s[14:15]
.Lpost_getpc4030:
	s_add_u32 s14, s14, (.LBB1_6508-.Lpost_getpc4030)&4294967295
	s_addc_u32 s15, s15, (.LBB1_6508-.Lpost_getpc4030)>>32
	s_setpc_b64 s[14:15]
.LBB1_2410:
	s_or_b64 exec, exec, s[6:7]
	s_and_saveexec_b64 s[6:7], s[4:5]
	s_cbranch_execz .LBB1_2412
.LBB1_2411:
	v_bfe_u32 v12, v19, 8, 3
	v_ffbh_u32_e32 v16, v12
	v_min_u32_e32 v16, 32, v16
	v_lshrrev_b16_e32 v14, 3, v13
	v_subrev_u32_e32 v17, 28, v16
	v_and_b32_e32 v14, 15, v14
	v_lshlrev_b32_e32 v13, v17, v13
	v_sub_u32_e32 v16, 29, v16
	v_and_b32_e32 v13, 7, v13
	v_cmp_eq_u16_e32 vcc, 0, v14
	v_cndmask_b32_e32 v12, v12, v13, vcc
	v_cndmask_b32_e32 v13, v14, v16, vcc
	v_lshlrev_b32_e32 v14, 16, v19
	v_mov_b32_e32 v16, 0x3b800000
	v_lshlrev_b32_e32 v12, 20, v12
	v_and_b32_e32 v14, 0x80000000, v14
	v_lshl_add_u32 v13, v13, 23, v16
	v_or3_b32 v12, v14, v13, v12
.LBB1_2412:
	s_or_b64 exec, exec, s[6:7]
	v_lshrrev_b32_e32 v13, 8, v15
	s_movk_i32 s4, 0x7f
	v_cmp_gt_i16_sdwa s[6:7], v13, s4 src0_sel:BYTE_0 src1_sel:DWORD
	s_mov_b64 s[4:5], 0
                                        ; implicit-def: $sgpr10
	s_and_saveexec_b64 s[8:9], s[6:7]
	s_xor_b64 s[6:7], exec, s[8:9]
	s_cbranch_execz .LBB1_2413
; %bb.16255:
	s_getpc_b64 s[14:15]
.Lpost_getpc4031:
	s_add_u32 s14, s14, (.LBB1_6509-.Lpost_getpc4031)&4294967295
	s_addc_u32 s15, s15, (.LBB1_6509-.Lpost_getpc4031)>>32
	s_setpc_b64 s[14:15]
.LBB1_2413:
	s_or_saveexec_b64 s[6:7], s[6:7]
	v_mov_b32_e32 v14, s10
	s_xor_b64 exec, exec, s[6:7]
	s_cbranch_execz .LBB1_2414
; %bb.16257:
	s_getpc_b64 s[14:15]
.Lpost_getpc4032:
	s_add_u32 s14, s14, (.LBB1_6512-.Lpost_getpc4032)&4294967295
	s_addc_u32 s15, s15, (.LBB1_6512-.Lpost_getpc4032)>>32
	s_setpc_b64 s[14:15]
.LBB1_2414:
	s_or_b64 exec, exec, s[6:7]
	s_and_saveexec_b64 s[6:7], s[4:5]
	s_cbranch_execz .LBB1_2416
.LBB1_2415:
	v_bfe_u32 v14, v15, 8, 2
	v_ffbh_u32_e32 v17, v14
	v_min_u32_e32 v17, 32, v17
	v_lshrrev_b16_e32 v16, 2, v13
	v_subrev_u32_e32 v18, 29, v17
	v_and_b32_e32 v16, 31, v16
	v_lshlrev_b32_e32 v13, v18, v13
	v_sub_u32_e32 v17, 30, v17
	v_and_b32_e32 v13, 3, v13
	v_cmp_eq_u16_e32 vcc, 0, v16
	v_cndmask_b32_e32 v13, v14, v13, vcc
	v_cndmask_b32_e32 v14, v16, v17, vcc
	v_lshlrev_b32_e32 v16, 16, v15
	v_mov_b32_e32 v17, 0x37800000
	v_lshlrev_b32_e32 v13, 21, v13
	v_and_b32_e32 v16, 0x80000000, v16
	v_lshl_add_u32 v14, v14, 23, v17
	v_or3_b32 v14, v16, v14, v13
.LBB1_2416:
	s_or_b64 exec, exec, s[6:7]
	s_nop 0
	v_mfma_f32_16x16x4f32 a[0:3], v12, v14, a[0:3]
	s_movk_i32 s4, 0xff
	v_and_b32_sdwa v13, v19, s4 dst_sel:DWORD dst_unused:UNUSED_PAD src0_sel:WORD_1 src1_sel:DWORD
	s_movk_i32 s4, 0x7f
	v_cmp_lt_i16_e32 vcc, s4, v13
	s_mov_b64 s[4:5], 0
                                        ; implicit-def: $sgpr10
	s_and_saveexec_b64 s[6:7], vcc
	s_xor_b64 s[6:7], exec, s[6:7]
	s_cbranch_execz .LBB1_2417
; %bb.16259:
	s_getpc_b64 s[14:15]
.Lpost_getpc4033:
	s_add_u32 s14, s14, (.LBB1_6513-.Lpost_getpc4033)&4294967295
	s_addc_u32 s15, s15, (.LBB1_6513-.Lpost_getpc4033)>>32
	s_setpc_b64 s[14:15]
.LBB1_2417:
	s_or_saveexec_b64 s[6:7], s[6:7]
	v_mov_b32_e32 v12, s10
	s_xor_b64 exec, exec, s[6:7]
	s_cbranch_execz .LBB1_2418
; %bb.16261:
	s_getpc_b64 s[14:15]
.Lpost_getpc4034:
	s_add_u32 s14, s14, (.LBB1_6516-.Lpost_getpc4034)&4294967295
	s_addc_u32 s15, s15, (.LBB1_6516-.Lpost_getpc4034)>>32
	s_setpc_b64 s[14:15]
.LBB1_2418:
	s_or_b64 exec, exec, s[6:7]
	s_and_saveexec_b64 s[6:7], s[4:5]
	s_cbranch_execz .LBB1_2420
.LBB1_2419:
	v_bfe_u32 v12, v19, 16, 3
	v_ffbh_u32_e32 v16, v12
	v_min_u32_e32 v16, 32, v16
	v_lshrrev_b32_e32 v13, 19, v19
	v_subrev_u32_e32 v17, 28, v16
	v_and_b32_e32 v13, 15, v13
	v_lshlrev_b32_sdwa v17, v17, v19 dst_sel:DWORD dst_unused:UNUSED_PAD src0_sel:DWORD src1_sel:WORD_1
	v_bfe_u32 v14, v19, 19, 4
	v_sub_u32_e32 v16, 29, v16
	v_and_b32_e32 v17, 7, v17
	v_cmp_eq_u16_e32 vcc, 0, v13
	v_cndmask_b32_e32 v12, v12, v17, vcc
	v_cndmask_b32_e32 v13, v14, v16, vcc
	v_lshlrev_b32_e32 v14, 8, v19
	v_mov_b32_e32 v16, 0x3b800000
	v_lshlrev_b32_e32 v12, 20, v12
	v_and_b32_e32 v14, 0x80000000, v14
	v_lshl_add_u32 v13, v13, 23, v16
	v_or3_b32 v12, v14, v13, v12
.LBB1_2420:
	s_or_b64 exec, exec, s[6:7]
	s_movk_i32 s4, 0xff
	v_and_b32_sdwa v13, v15, s4 dst_sel:DWORD dst_unused:UNUSED_PAD src0_sel:WORD_1 src1_sel:DWORD
	s_movk_i32 s4, 0x7f
	v_cmp_lt_i16_e32 vcc, s4, v13
	s_mov_b64 s[4:5], 0
                                        ; implicit-def: $sgpr10
	s_and_saveexec_b64 s[6:7], vcc
	s_xor_b64 s[6:7], exec, s[6:7]
	s_cbranch_execz .LBB1_2421
; %bb.16263:
	s_getpc_b64 s[14:15]
.Lpost_getpc4035:
	s_add_u32 s14, s14, (.LBB1_6517-.Lpost_getpc4035)&4294967295
	s_addc_u32 s15, s15, (.LBB1_6517-.Lpost_getpc4035)>>32
	s_setpc_b64 s[14:15]
.LBB1_2421:
	s_or_saveexec_b64 s[6:7], s[6:7]
	v_mov_b32_e32 v14, s10
	s_xor_b64 exec, exec, s[6:7]
	s_cbranch_execz .LBB1_2422
; %bb.16265:
	s_getpc_b64 s[14:15]
.Lpost_getpc4036:
	s_add_u32 s14, s14, (.LBB1_6520-.Lpost_getpc4036)&4294967295
	s_addc_u32 s15, s15, (.LBB1_6520-.Lpost_getpc4036)>>32
	s_setpc_b64 s[14:15]
.LBB1_2422:
	s_or_b64 exec, exec, s[6:7]
	s_and_saveexec_b64 s[6:7], s[4:5]
	s_cbranch_execz .LBB1_2424
.LBB1_2423:
	v_bfe_u32 v13, v15, 16, 2
	v_ffbh_u32_e32 v17, v13
	v_min_u32_e32 v17, 32, v17
	v_lshrrev_b32_e32 v14, 18, v15
	v_subrev_u32_e32 v18, 29, v17
	v_and_b32_e32 v14, 31, v14
	v_lshlrev_b32_sdwa v18, v18, v15 dst_sel:DWORD dst_unused:UNUSED_PAD src0_sel:DWORD src1_sel:WORD_1
	v_bfe_u32 v16, v15, 18, 5
	v_sub_u32_e32 v17, 30, v17
	v_and_b32_e32 v18, 3, v18
	v_cmp_eq_u16_e32 vcc, 0, v14
	v_cndmask_b32_e32 v13, v13, v18, vcc
	v_cndmask_b32_e32 v14, v16, v17, vcc
	v_lshlrev_b32_e32 v16, 8, v15
	v_mov_b32_e32 v17, 0x37800000
	v_lshlrev_b32_e32 v13, 21, v13
	v_and_b32_e32 v16, 0x80000000, v16
	v_lshl_add_u32 v14, v14, 23, v17
	v_or3_b32 v14, v16, v14, v13
.LBB1_2424:
	s_or_b64 exec, exec, s[6:7]
	s_nop 0
	v_mfma_f32_16x16x4f32 a[0:3], v12, v14, a[0:3]
	s_movk_i32 s4, 0x7f
	v_cmp_gt_i16_sdwa s[6:7], v19, s4 src0_sel:BYTE_3 src1_sel:DWORD
	s_mov_b64 s[4:5], 0
                                        ; implicit-def: $sgpr10
	s_and_saveexec_b64 s[8:9], s[6:7]
	s_xor_b64 s[6:7], exec, s[8:9]
	s_cbranch_execz .LBB1_2425
; %bb.16267:
	s_getpc_b64 s[14:15]
.Lpost_getpc4037:
	s_add_u32 s14, s14, (.LBB1_6521-.Lpost_getpc4037)&4294967295
	s_addc_u32 s15, s15, (.LBB1_6521-.Lpost_getpc4037)>>32
	s_setpc_b64 s[14:15]
.LBB1_2425:
	s_or_saveexec_b64 s[6:7], s[6:7]
	v_mov_b32_e32 v12, s10
	s_xor_b64 exec, exec, s[6:7]
	s_cbranch_execz .LBB1_2426
; %bb.16269:
	s_getpc_b64 s[14:15]
.Lpost_getpc4038:
	s_add_u32 s14, s14, (.LBB1_6524-.Lpost_getpc4038)&4294967295
	s_addc_u32 s15, s15, (.LBB1_6524-.Lpost_getpc4038)>>32
	s_setpc_b64 s[14:15]
.LBB1_2426:
	s_or_b64 exec, exec, s[6:7]
	s_and_saveexec_b64 s[6:7], s[4:5]
	s_cbranch_execz .LBB1_2428
.LBB1_2427:
	v_bfe_u32 v12, v19, 24, 3
	v_ffbh_u32_e32 v17, v12
	v_min_u32_e32 v17, 32, v17
	v_lshrrev_b32_e32 v14, 27, v19
	v_subrev_u32_e32 v18, 28, v17
	v_and_b32_e32 v14, 15, v14
	v_lshlrev_b32_sdwa v18, v18, v19 dst_sel:DWORD dst_unused:UNUSED_PAD src0_sel:DWORD src1_sel:BYTE_3
	v_bfe_u32 v16, v19, 27, 4
	v_sub_u32_e32 v17, 29, v17
	v_and_b32_e32 v18, 7, v18
	v_cmp_eq_u16_e32 vcc, 0, v14
	v_cndmask_b32_e32 v12, v12, v18, vcc
	v_cndmask_b32_e32 v14, v16, v17, vcc
	v_mov_b32_e32 v16, 0x3b800000
	v_and_b32_e32 v13, 0x80000000, v19
	v_lshlrev_b32_e32 v12, 20, v12
	v_lshl_add_u32 v14, v14, 23, v16
	v_or3_b32 v12, v13, v14, v12
.LBB1_2428:
	s_or_b64 exec, exec, s[6:7]
	s_movk_i32 s4, 0x7f
	v_cmp_gt_i16_sdwa s[6:7], v15, s4 src0_sel:BYTE_3 src1_sel:DWORD
	s_mov_b64 s[4:5], 0
                                        ; implicit-def: $sgpr10
	s_and_saveexec_b64 s[8:9], s[6:7]
	s_xor_b64 s[6:7], exec, s[8:9]
	s_cbranch_execz .LBB1_2429
; %bb.16271:
	s_getpc_b64 s[14:15]
.Lpost_getpc4039:
	s_add_u32 s14, s14, (.LBB1_6525-.Lpost_getpc4039)&4294967295
	s_addc_u32 s15, s15, (.LBB1_6525-.Lpost_getpc4039)>>32
	s_setpc_b64 s[14:15]
.LBB1_2429:
	s_or_saveexec_b64 s[6:7], s[6:7]
	v_mov_b32_e32 v13, s10
	s_xor_b64 exec, exec, s[6:7]
	s_cbranch_execz .LBB1_2430
; %bb.16273:
	s_getpc_b64 s[14:15]
.Lpost_getpc4040:
	s_add_u32 s14, s14, (.LBB1_6528-.Lpost_getpc4040)&4294967295
	s_addc_u32 s15, s15, (.LBB1_6528-.Lpost_getpc4040)>>32
	s_setpc_b64 s[14:15]
.LBB1_2430:
	s_or_b64 exec, exec, s[6:7]
	s_and_saveexec_b64 s[6:7], s[4:5]
	s_cbranch_execz .LBB1_2432
.LBB1_2431:
	v_bfe_u32 v13, v15, 24, 2
	v_ffbh_u32_e32 v18, v13
	v_min_u32_e32 v18, 32, v18
	v_lshrrev_b32_e32 v16, 26, v15
	v_subrev_u32_e32 v19, 29, v18
	v_and_b32_e32 v14, 0x80000000, v15
	v_and_b32_e32 v16, 31, v16
	v_bfe_u32 v17, v15, 26, 5
	v_lshlrev_b32_sdwa v15, v19, v15 dst_sel:DWORD dst_unused:UNUSED_PAD src0_sel:DWORD src1_sel:BYTE_3
	v_sub_u32_e32 v18, 30, v18
	v_and_b32_e32 v15, 3, v15
	v_cmp_eq_u16_e32 vcc, 0, v16
	v_cndmask_b32_e32 v13, v13, v15, vcc
	v_cndmask_b32_e32 v15, v17, v18, vcc
	v_mov_b32_e32 v16, 0x37800000
	v_lshlrev_b32_e32 v13, 21, v13
	v_lshl_add_u32 v15, v15, 23, v16
	v_or3_b32 v13, v14, v15, v13
.LBB1_2432:
	s_or_b64 exec, exec, s[6:7]
	s_nop 0
	v_mfma_f32_16x16x4f32 a[0:3], v12, v13, a[0:3]
	v_mov_b32_e32 v16, 8
	s_movk_i32 s4, 0x7f
                                        ; implicit-def: $sgpr10
	s_nop 7
	s_nop 0
	flat_store_dwordx4 v[10:11], a[0:3] offset:288
	flat_load_dword v14, v[0:1] offset:544
	flat_load_dwordx2 v[12:13], v[6:7]
	s_waitcnt vmcnt(0) lgkmcnt(0)
	v_ashrrev_i32_e32 v15, 31, v14
	v_add_co_u32_e32 v12, vcc, v12, v14
	v_addc_co_u32_e32 v13, vcc, v13, v15, vcc
	flat_load_dwordx4 v[12:15], v[12:13] offset:1536
	s_waitcnt vmcnt(0) lgkmcnt(0)
	v_lshrrev_b32_sdwa v20, v16, v14 dst_sel:BYTE_1 dst_unused:UNUSED_PAD src0_sel:DWORD src1_sel:DWORD
	flat_store_dwordx4 v[8:9], v[12:15]
	flat_load_dwordx4 v[16:19], v[4:5]
	s_waitcnt vmcnt(0) lgkmcnt(0)
	v_cmp_gt_i16_sdwa s[6:7], v16, s4 src0_sel:BYTE_0 src1_sel:DWORD
	s_mov_b64 s[4:5], 0
	s_and_saveexec_b64 s[8:9], s[6:7]
	s_xor_b64 s[6:7], exec, s[8:9]
	s_cbranch_execz .LBB1_2433
; %bb.16275:
	s_getpc_b64 s[14:15]
.Lpost_getpc4041:
	s_add_u32 s14, s14, (.LBB1_6529-.Lpost_getpc4041)&4294967295
	s_addc_u32 s15, s15, (.LBB1_6529-.Lpost_getpc4041)>>32
	s_setpc_b64 s[14:15]
.LBB1_2433:
	s_or_saveexec_b64 s[6:7], s[6:7]
	v_mov_b32_e32 v21, s10
	s_xor_b64 exec, exec, s[6:7]
	s_cbranch_execz .LBB1_2434
; %bb.16277:
	s_getpc_b64 s[14:15]
.Lpost_getpc4042:
	s_add_u32 s14, s14, (.LBB1_6532-.Lpost_getpc4042)&4294967295
	s_addc_u32 s15, s15, (.LBB1_6532-.Lpost_getpc4042)>>32
	s_setpc_b64 s[14:15]
.LBB1_2434:
	s_or_b64 exec, exec, s[6:7]
	s_and_saveexec_b64 s[6:7], s[4:5]
	s_cbranch_execz .LBB1_2436
.LBB1_2435:
	v_and_b32_e32 v21, 7, v16
	v_ffbh_u32_e32 v23, v21
	v_min_u32_e32 v23, 32, v23
	v_lshrrev_b16_e32 v22, 3, v16
	v_subrev_u32_e32 v24, 28, v23
	v_and_b32_e32 v22, 15, v22
	v_lshlrev_b32_e32 v24, v24, v16
	v_sub_u32_e32 v23, 29, v23
	v_and_b32_e32 v24, 7, v24
	v_cmp_eq_u16_e32 vcc, 0, v22
	v_cndmask_b32_e32 v21, v21, v24, vcc
	v_cndmask_b32_e32 v22, v22, v23, vcc
	v_lshlrev_b32_e32 v23, 24, v16
	v_mov_b32_e32 v24, 0x3b800000
	v_lshlrev_b32_e32 v21, 20, v21
	v_and_b32_e32 v23, 0x80000000, v23
	v_lshl_add_u32 v22, v22, 23, v24
	v_or3_b32 v21, v23, v22, v21
.LBB1_2436:
	s_or_b64 exec, exec, s[6:7]
	s_movk_i32 s4, 0x7f
	v_cmp_gt_i16_sdwa s[6:7], v12, s4 src0_sel:BYTE_0 src1_sel:DWORD
	s_mov_b64 s[4:5], 0
                                        ; implicit-def: $sgpr10
	s_and_saveexec_b64 s[8:9], s[6:7]
	s_xor_b64 s[6:7], exec, s[8:9]
	s_cbranch_execz .LBB1_2437
; %bb.16279:
	s_getpc_b64 s[14:15]
.Lpost_getpc4043:
	s_add_u32 s14, s14, (.LBB1_6533-.Lpost_getpc4043)&4294967295
	s_addc_u32 s15, s15, (.LBB1_6533-.Lpost_getpc4043)>>32
	s_setpc_b64 s[14:15]
.LBB1_2437:
	s_or_saveexec_b64 s[6:7], s[6:7]
	v_mov_b32_e32 v22, s10
	s_xor_b64 exec, exec, s[6:7]
	s_cbranch_execz .LBB1_2438
; %bb.16281:
	s_getpc_b64 s[14:15]
.Lpost_getpc4044:
	s_add_u32 s14, s14, (.LBB1_6536-.Lpost_getpc4044)&4294967295
	s_addc_u32 s15, s15, (.LBB1_6536-.Lpost_getpc4044)>>32
	s_setpc_b64 s[14:15]
.LBB1_2438:
	s_or_b64 exec, exec, s[6:7]
	s_and_saveexec_b64 s[6:7], s[4:5]
	s_cbranch_execz .LBB1_2440
.LBB1_2439:
	v_and_b32_e32 v22, 3, v12
	v_ffbh_u32_e32 v24, v22
	v_min_u32_e32 v24, 32, v24
	v_lshrrev_b16_e32 v23, 2, v12
	v_subrev_u32_e32 v25, 29, v24
	v_and_b32_e32 v23, 31, v23
	v_lshlrev_b32_e32 v25, v25, v12
	v_sub_u32_e32 v24, 30, v24
	v_and_b32_e32 v25, 3, v25
	v_cmp_eq_u16_e32 vcc, 0, v23
	v_cndmask_b32_e32 v22, v22, v25, vcc
	v_cndmask_b32_e32 v23, v23, v24, vcc
	v_lshlrev_b32_e32 v24, 24, v12
	v_mov_b32_e32 v25, 0x37800000
	v_lshlrev_b32_e32 v22, 21, v22
	v_and_b32_e32 v24, 0x80000000, v24
	v_lshl_add_u32 v23, v23, 23, v25
	v_or3_b32 v22, v24, v23, v22
.LBB1_2440:
	s_or_b64 exec, exec, s[6:7]
	flat_load_dwordx4 a[0:3], v[10:11] offset:304
	s_movk_i32 s4, 0x7f
                                        ; implicit-def: $sgpr10
	s_waitcnt vmcnt(0) lgkmcnt(0)
	v_mfma_f32_16x16x4f32 a[0:3], v21, v22, a[0:3]
	v_lshrrev_b32_e32 v22, 8, v16
	v_cmp_gt_i16_sdwa s[6:7], v22, s4 src0_sel:BYTE_0 src1_sel:DWORD
	s_mov_b64 s[4:5], 0
	s_and_saveexec_b64 s[8:9], s[6:7]
	s_xor_b64 s[6:7], exec, s[8:9]
	s_cbranch_execz .LBB1_2441
; %bb.16283:
	s_getpc_b64 s[14:15]
.Lpost_getpc4045:
	s_add_u32 s14, s14, (.LBB1_6537-.Lpost_getpc4045)&4294967295
	s_addc_u32 s15, s15, (.LBB1_6537-.Lpost_getpc4045)>>32
	s_setpc_b64 s[14:15]
.LBB1_2441:
	s_or_saveexec_b64 s[6:7], s[6:7]
	v_mov_b32_e32 v21, s10
	s_xor_b64 exec, exec, s[6:7]
	s_cbranch_execz .LBB1_2442
; %bb.16285:
	s_getpc_b64 s[14:15]
.Lpost_getpc4046:
	s_add_u32 s14, s14, (.LBB1_6540-.Lpost_getpc4046)&4294967295
	s_addc_u32 s15, s15, (.LBB1_6540-.Lpost_getpc4046)>>32
	s_setpc_b64 s[14:15]
.LBB1_2442:
	s_or_b64 exec, exec, s[6:7]
	s_and_saveexec_b64 s[6:7], s[4:5]
	s_cbranch_execz .LBB1_2444
.LBB1_2443:
	v_bfe_u32 v21, v16, 8, 3
	v_ffbh_u32_e32 v24, v21
	v_min_u32_e32 v24, 32, v24
	v_lshrrev_b16_e32 v23, 3, v22
	v_subrev_u32_e32 v25, 28, v24
	v_and_b32_e32 v23, 15, v23
	v_lshlrev_b32_e32 v22, v25, v22
	v_sub_u32_e32 v24, 29, v24
	v_and_b32_e32 v22, 7, v22
	v_cmp_eq_u16_e32 vcc, 0, v23
	v_cndmask_b32_e32 v21, v21, v22, vcc
	v_cndmask_b32_e32 v22, v23, v24, vcc
	v_lshlrev_b32_e32 v23, 16, v16
	v_mov_b32_e32 v24, 0x3b800000
	v_lshlrev_b32_e32 v21, 20, v21
	v_and_b32_e32 v23, 0x80000000, v23
	v_lshl_add_u32 v22, v22, 23, v24
	v_or3_b32 v21, v23, v22, v21
.LBB1_2444:
	s_or_b64 exec, exec, s[6:7]
	v_lshrrev_b32_e32 v22, 8, v12
	s_movk_i32 s4, 0x7f
	v_cmp_gt_i16_sdwa s[6:7], v22, s4 src0_sel:BYTE_0 src1_sel:DWORD
	s_mov_b64 s[4:5], 0
                                        ; implicit-def: $sgpr10
	s_and_saveexec_b64 s[8:9], s[6:7]
	s_xor_b64 s[6:7], exec, s[8:9]
	s_cbranch_execz .LBB1_2445
; %bb.16287:
	s_getpc_b64 s[14:15]
.Lpost_getpc4047:
	s_add_u32 s14, s14, (.LBB1_6541-.Lpost_getpc4047)&4294967295
	s_addc_u32 s15, s15, (.LBB1_6541-.Lpost_getpc4047)>>32
	s_setpc_b64 s[14:15]
.LBB1_2445:
	s_or_saveexec_b64 s[6:7], s[6:7]
	v_mov_b32_e32 v23, s10
	s_xor_b64 exec, exec, s[6:7]
	s_cbranch_execz .LBB1_2446
; %bb.16289:
	s_getpc_b64 s[14:15]
.Lpost_getpc4048:
	s_add_u32 s14, s14, (.LBB1_6544-.Lpost_getpc4048)&4294967295
	s_addc_u32 s15, s15, (.LBB1_6544-.Lpost_getpc4048)>>32
	s_setpc_b64 s[14:15]
.LBB1_2446:
	s_or_b64 exec, exec, s[6:7]
	s_and_saveexec_b64 s[6:7], s[4:5]
	s_cbranch_execz .LBB1_2448
.LBB1_2447:
	v_bfe_u32 v23, v12, 8, 2
	v_ffbh_u32_e32 v25, v23
	v_min_u32_e32 v25, 32, v25
	v_lshrrev_b16_e32 v24, 2, v22
	v_subrev_u32_e32 v26, 29, v25
	v_and_b32_e32 v24, 31, v24
	v_lshlrev_b32_e32 v22, v26, v22
	v_sub_u32_e32 v25, 30, v25
	v_and_b32_e32 v22, 3, v22
	v_cmp_eq_u16_e32 vcc, 0, v24
	v_cndmask_b32_e32 v22, v23, v22, vcc
	v_cndmask_b32_e32 v23, v24, v25, vcc
	v_lshlrev_b32_e32 v24, 16, v12
	v_mov_b32_e32 v25, 0x37800000
	v_lshlrev_b32_e32 v22, 21, v22
	v_and_b32_e32 v24, 0x80000000, v24
	v_lshl_add_u32 v23, v23, 23, v25
	v_or3_b32 v23, v24, v23, v22
.LBB1_2448:
	s_or_b64 exec, exec, s[6:7]
	s_nop 0
	v_mfma_f32_16x16x4f32 a[0:3], v21, v23, a[0:3]
	s_movk_i32 s4, 0xff
	v_and_b32_sdwa v22, v16, s4 dst_sel:DWORD dst_unused:UNUSED_PAD src0_sel:WORD_1 src1_sel:DWORD
	s_movk_i32 s4, 0x7f
	v_cmp_lt_i16_e32 vcc, s4, v22
	s_mov_b64 s[4:5], 0
                                        ; implicit-def: $sgpr10
	s_and_saveexec_b64 s[6:7], vcc
	s_xor_b64 s[6:7], exec, s[6:7]
	s_cbranch_execz .LBB1_2449
; %bb.16291:
	s_getpc_b64 s[14:15]
.Lpost_getpc4049:
	s_add_u32 s14, s14, (.LBB1_6545-.Lpost_getpc4049)&4294967295
	s_addc_u32 s15, s15, (.LBB1_6545-.Lpost_getpc4049)>>32
	s_setpc_b64 s[14:15]
.LBB1_2449:
	s_or_saveexec_b64 s[6:7], s[6:7]
	v_mov_b32_e32 v21, s10
	s_xor_b64 exec, exec, s[6:7]
	s_cbranch_execz .LBB1_2450
; %bb.16293:
	s_getpc_b64 s[14:15]
.Lpost_getpc4050:
	s_add_u32 s14, s14, (.LBB1_6548-.Lpost_getpc4050)&4294967295
	s_addc_u32 s15, s15, (.LBB1_6548-.Lpost_getpc4050)>>32
	s_setpc_b64 s[14:15]
.LBB1_2450:
	s_or_b64 exec, exec, s[6:7]
	s_and_saveexec_b64 s[6:7], s[4:5]
	s_cbranch_execz .LBB1_2452
.LBB1_2451:
	v_bfe_u32 v21, v16, 16, 3
	v_ffbh_u32_e32 v24, v21
	v_min_u32_e32 v24, 32, v24
	v_lshrrev_b32_e32 v22, 19, v16
	v_subrev_u32_e32 v25, 28, v24
	v_and_b32_e32 v22, 15, v22
	v_lshlrev_b32_sdwa v25, v25, v16 dst_sel:DWORD dst_unused:UNUSED_PAD src0_sel:DWORD src1_sel:WORD_1
	v_bfe_u32 v23, v16, 19, 4
	v_sub_u32_e32 v24, 29, v24
	v_and_b32_e32 v25, 7, v25
	v_cmp_eq_u16_e32 vcc, 0, v22
	v_cndmask_b32_e32 v21, v21, v25, vcc
	v_cndmask_b32_e32 v22, v23, v24, vcc
	v_lshlrev_b32_e32 v23, 8, v16
	v_mov_b32_e32 v24, 0x3b800000
	v_lshlrev_b32_e32 v21, 20, v21
	v_and_b32_e32 v23, 0x80000000, v23
	v_lshl_add_u32 v22, v22, 23, v24
	v_or3_b32 v21, v23, v22, v21
.LBB1_2452:
	s_or_b64 exec, exec, s[6:7]
	s_movk_i32 s4, 0xff
	v_and_b32_sdwa v22, v12, s4 dst_sel:DWORD dst_unused:UNUSED_PAD src0_sel:WORD_1 src1_sel:DWORD
	s_movk_i32 s4, 0x7f
	v_cmp_lt_i16_e32 vcc, s4, v22
	s_mov_b64 s[4:5], 0
                                        ; implicit-def: $sgpr10
	s_and_saveexec_b64 s[6:7], vcc
	s_xor_b64 s[6:7], exec, s[6:7]
	s_cbranch_execz .LBB1_2453
; %bb.16295:
	s_getpc_b64 s[14:15]
.Lpost_getpc4051:
	s_add_u32 s14, s14, (.LBB1_6549-.Lpost_getpc4051)&4294967295
	s_addc_u32 s15, s15, (.LBB1_6549-.Lpost_getpc4051)>>32
	s_setpc_b64 s[14:15]
.LBB1_2453:
	s_or_saveexec_b64 s[6:7], s[6:7]
	v_mov_b32_e32 v23, s10
	s_xor_b64 exec, exec, s[6:7]
	s_cbranch_execz .LBB1_2454
; %bb.16297:
	s_getpc_b64 s[14:15]
.Lpost_getpc4052:
	s_add_u32 s14, s14, (.LBB1_6552-.Lpost_getpc4052)&4294967295
	s_addc_u32 s15, s15, (.LBB1_6552-.Lpost_getpc4052)>>32
	s_setpc_b64 s[14:15]
.LBB1_2454:
	s_or_b64 exec, exec, s[6:7]
	s_and_saveexec_b64 s[6:7], s[4:5]
	s_cbranch_execz .LBB1_2456
.LBB1_2455:
	v_bfe_u32 v22, v12, 16, 2
	v_ffbh_u32_e32 v25, v22
	v_min_u32_e32 v25, 32, v25
	v_lshrrev_b32_e32 v23, 18, v12
	v_subrev_u32_e32 v26, 29, v25
	v_and_b32_e32 v23, 31, v23
	v_lshlrev_b32_sdwa v26, v26, v12 dst_sel:DWORD dst_unused:UNUSED_PAD src0_sel:DWORD src1_sel:WORD_1
	v_bfe_u32 v24, v12, 18, 5
	v_sub_u32_e32 v25, 30, v25
	v_and_b32_e32 v26, 3, v26
	v_cmp_eq_u16_e32 vcc, 0, v23
	v_cndmask_b32_e32 v22, v22, v26, vcc
	v_cndmask_b32_e32 v23, v24, v25, vcc
	v_lshlrev_b32_e32 v24, 8, v12
	v_mov_b32_e32 v25, 0x37800000
	v_lshlrev_b32_e32 v22, 21, v22
	v_and_b32_e32 v24, 0x80000000, v24
	v_lshl_add_u32 v23, v23, 23, v25
	v_or3_b32 v23, v24, v23, v22
.LBB1_2456:
	s_or_b64 exec, exec, s[6:7]
	s_nop 0
	v_mfma_f32_16x16x4f32 a[0:3], v21, v23, a[0:3]
	s_movk_i32 s4, 0x7f
	v_cmp_gt_i16_sdwa s[6:7], v16, s4 src0_sel:BYTE_3 src1_sel:DWORD
	s_mov_b64 s[4:5], 0
                                        ; implicit-def: $sgpr10
	s_and_saveexec_b64 s[8:9], s[6:7]
	s_xor_b64 s[6:7], exec, s[8:9]
	s_cbranch_execz .LBB1_2457
; %bb.16299:
	s_getpc_b64 s[14:15]
.Lpost_getpc4053:
	s_add_u32 s14, s14, (.LBB1_6553-.Lpost_getpc4053)&4294967295
	s_addc_u32 s15, s15, (.LBB1_6553-.Lpost_getpc4053)>>32
	s_setpc_b64 s[14:15]
.LBB1_2457:
	s_or_saveexec_b64 s[6:7], s[6:7]
	v_mov_b32_e32 v21, s10
	s_xor_b64 exec, exec, s[6:7]
	s_cbranch_execz .LBB1_2458
; %bb.16301:
	s_getpc_b64 s[14:15]
.Lpost_getpc4054:
	s_add_u32 s14, s14, (.LBB1_6556-.Lpost_getpc4054)&4294967295
	s_addc_u32 s15, s15, (.LBB1_6556-.Lpost_getpc4054)>>32
	s_setpc_b64 s[14:15]
.LBB1_2458:
	s_or_b64 exec, exec, s[6:7]
	s_and_saveexec_b64 s[6:7], s[4:5]
	s_cbranch_execz .LBB1_2460
.LBB1_2459:
	v_bfe_u32 v21, v16, 24, 3
	v_ffbh_u32_e32 v25, v21
	v_min_u32_e32 v25, 32, v25
	v_lshrrev_b32_e32 v23, 27, v16
	v_subrev_u32_e32 v26, 28, v25
	v_and_b32_e32 v22, 0x80000000, v16
	v_and_b32_e32 v23, 15, v23
	v_bfe_u32 v24, v16, 27, 4
	v_lshlrev_b32_sdwa v16, v26, v16 dst_sel:DWORD dst_unused:UNUSED_PAD src0_sel:DWORD src1_sel:BYTE_3
	v_sub_u32_e32 v25, 29, v25
	v_and_b32_e32 v16, 7, v16
	v_cmp_eq_u16_e32 vcc, 0, v23
	v_cndmask_b32_e32 v16, v21, v16, vcc
	v_cndmask_b32_e32 v21, v24, v25, vcc
	v_mov_b32_e32 v23, 0x3b800000
	v_lshlrev_b32_e32 v16, 20, v16
	v_lshl_add_u32 v21, v21, 23, v23
	v_or3_b32 v21, v22, v21, v16
.LBB1_2460:
	s_or_b64 exec, exec, s[6:7]
	s_movk_i32 s4, 0x7f
	v_cmp_gt_i16_sdwa s[6:7], v12, s4 src0_sel:BYTE_3 src1_sel:DWORD
	s_mov_b64 s[4:5], 0
                                        ; implicit-def: $sgpr10
	s_and_saveexec_b64 s[8:9], s[6:7]
	s_xor_b64 s[6:7], exec, s[8:9]
	s_cbranch_execz .LBB1_2461
; %bb.16303:
	s_getpc_b64 s[14:15]
.Lpost_getpc4055:
	s_add_u32 s14, s14, (.LBB1_6557-.Lpost_getpc4055)&4294967295
	s_addc_u32 s15, s15, (.LBB1_6557-.Lpost_getpc4055)>>32
	s_setpc_b64 s[14:15]
.LBB1_2461:
	s_or_saveexec_b64 s[6:7], s[6:7]
	v_mov_b32_e32 v16, s10
	s_xor_b64 exec, exec, s[6:7]
	s_cbranch_execz .LBB1_2462
; %bb.16305:
	s_getpc_b64 s[14:15]
.Lpost_getpc4056:
	s_add_u32 s14, s14, (.LBB1_6560-.Lpost_getpc4056)&4294967295
	s_addc_u32 s15, s15, (.LBB1_6560-.Lpost_getpc4056)>>32
	s_setpc_b64 s[14:15]
.LBB1_2462:
	s_or_b64 exec, exec, s[6:7]
	s_and_saveexec_b64 s[6:7], s[4:5]
	s_cbranch_execz .LBB1_2464
.LBB1_2463:
	v_bfe_u32 v16, v12, 24, 2
	v_ffbh_u32_e32 v25, v16
	v_min_u32_e32 v25, 32, v25
	v_lshrrev_b32_e32 v23, 26, v12
	v_subrev_u32_e32 v26, 29, v25
	v_and_b32_e32 v22, 0x80000000, v12
	v_and_b32_e32 v23, 31, v23
	v_bfe_u32 v24, v12, 26, 5
	v_lshlrev_b32_sdwa v12, v26, v12 dst_sel:DWORD dst_unused:UNUSED_PAD src0_sel:DWORD src1_sel:BYTE_3
	v_sub_u32_e32 v25, 30, v25
	v_and_b32_e32 v12, 3, v12
	v_cmp_eq_u16_e32 vcc, 0, v23
	v_cndmask_b32_e32 v12, v16, v12, vcc
	v_cndmask_b32_e32 v16, v24, v25, vcc
	v_mov_b32_e32 v23, 0x37800000
	v_lshlrev_b32_e32 v12, 21, v12
	v_lshl_add_u32 v16, v16, 23, v23
	v_or3_b32 v16, v22, v16, v12
.LBB1_2464:
	s_or_b64 exec, exec, s[6:7]
	s_nop 0
	v_mfma_f32_16x16x4f32 a[0:3], v21, v16, a[0:3]
	s_movk_i32 s4, 0x7f
	v_cmp_gt_i16_sdwa s[6:7], v17, s4 src0_sel:BYTE_0 src1_sel:DWORD
	s_mov_b64 s[4:5], 0
                                        ; implicit-def: $sgpr10
	s_and_saveexec_b64 s[8:9], s[6:7]
	s_xor_b64 s[6:7], exec, s[8:9]
	s_cbranch_execz .LBB1_2465
; %bb.16307:
	s_getpc_b64 s[14:15]
.Lpost_getpc4057:
	s_add_u32 s14, s14, (.LBB1_6561-.Lpost_getpc4057)&4294967295
	s_addc_u32 s15, s15, (.LBB1_6561-.Lpost_getpc4057)>>32
	s_setpc_b64 s[14:15]
.LBB1_2465:
	s_or_saveexec_b64 s[6:7], s[6:7]
	v_mov_b32_e32 v12, s10
	s_xor_b64 exec, exec, s[6:7]
	s_cbranch_execz .LBB1_2466
; %bb.16309:
	s_getpc_b64 s[14:15]
.Lpost_getpc4058:
	s_add_u32 s14, s14, (.LBB1_6564-.Lpost_getpc4058)&4294967295
	s_addc_u32 s15, s15, (.LBB1_6564-.Lpost_getpc4058)>>32
	s_setpc_b64 s[14:15]
.LBB1_2466:
	s_or_b64 exec, exec, s[6:7]
	s_and_saveexec_b64 s[6:7], s[4:5]
	s_cbranch_execz .LBB1_2468
.LBB1_2467:
	v_and_b32_e32 v12, 7, v17
	v_ffbh_u32_e32 v21, v12
	v_min_u32_e32 v21, 32, v21
	v_lshrrev_b16_e32 v16, 3, v17
	v_subrev_u32_e32 v22, 28, v21
	v_and_b32_e32 v16, 15, v16
	v_lshlrev_b32_e32 v22, v22, v17
	v_sub_u32_e32 v21, 29, v21
	v_and_b32_e32 v22, 7, v22
	v_cmp_eq_u16_e32 vcc, 0, v16
	v_cndmask_b32_e32 v12, v12, v22, vcc
	v_cndmask_b32_e32 v16, v16, v21, vcc
	v_lshlrev_b32_e32 v21, 24, v17
	v_mov_b32_e32 v22, 0x3b800000
	v_lshlrev_b32_e32 v12, 20, v12
	v_and_b32_e32 v21, 0x80000000, v21
	v_lshl_add_u32 v16, v16, 23, v22
	v_or3_b32 v12, v21, v16, v12
.LBB1_2468:
	s_or_b64 exec, exec, s[6:7]
	s_movk_i32 s4, 0x7f
	v_cmp_gt_i16_sdwa s[6:7], v13, s4 src0_sel:BYTE_0 src1_sel:DWORD
	s_mov_b64 s[4:5], 0
                                        ; implicit-def: $sgpr10
	s_and_saveexec_b64 s[8:9], s[6:7]
	s_xor_b64 s[6:7], exec, s[8:9]
	s_cbranch_execz .LBB1_2469
; %bb.16311:
	s_getpc_b64 s[14:15]
.Lpost_getpc4059:
	s_add_u32 s14, s14, (.LBB1_6565-.Lpost_getpc4059)&4294967295
	s_addc_u32 s15, s15, (.LBB1_6565-.Lpost_getpc4059)>>32
	s_setpc_b64 s[14:15]
.LBB1_2469:
	s_or_saveexec_b64 s[6:7], s[6:7]
	v_mov_b32_e32 v16, s10
	s_xor_b64 exec, exec, s[6:7]
	s_cbranch_execz .LBB1_2470
; %bb.16313:
	s_getpc_b64 s[14:15]
.Lpost_getpc4060:
	s_add_u32 s14, s14, (.LBB1_6568-.Lpost_getpc4060)&4294967295
	s_addc_u32 s15, s15, (.LBB1_6568-.Lpost_getpc4060)>>32
	s_setpc_b64 s[14:15]
.LBB1_2470:
	s_or_b64 exec, exec, s[6:7]
	s_and_saveexec_b64 s[6:7], s[4:5]
	s_cbranch_execz .LBB1_2472
.LBB1_2471:
	v_and_b32_e32 v16, 3, v13
	v_ffbh_u32_e32 v22, v16
	v_min_u32_e32 v22, 32, v22
	v_lshrrev_b16_e32 v21, 2, v13
	v_subrev_u32_e32 v23, 29, v22
	v_and_b32_e32 v21, 31, v21
	v_lshlrev_b32_e32 v23, v23, v13
	v_sub_u32_e32 v22, 30, v22
	v_and_b32_e32 v23, 3, v23
	v_cmp_eq_u16_e32 vcc, 0, v21
	v_cndmask_b32_e32 v16, v16, v23, vcc
	v_cndmask_b32_e32 v21, v21, v22, vcc
	v_lshlrev_b32_e32 v22, 24, v13
	v_mov_b32_e32 v23, 0x37800000
	v_lshlrev_b32_e32 v16, 21, v16
	v_and_b32_e32 v22, 0x80000000, v22
	v_lshl_add_u32 v21, v21, 23, v23
	v_or3_b32 v16, v22, v21, v16
.LBB1_2472:
	s_or_b64 exec, exec, s[6:7]
	s_nop 0
	v_mfma_f32_16x16x4f32 a[0:3], v12, v16, a[0:3]
	v_lshrrev_b32_e32 v16, 8, v17
	s_movk_i32 s4, 0x7f
	v_cmp_gt_i16_sdwa s[6:7], v16, s4 src0_sel:BYTE_0 src1_sel:DWORD
	s_mov_b64 s[4:5], 0
                                        ; implicit-def: $sgpr10
	s_and_saveexec_b64 s[8:9], s[6:7]
	s_xor_b64 s[6:7], exec, s[8:9]
	s_cbranch_execz .LBB1_2473
; %bb.16315:
	s_getpc_b64 s[14:15]
.Lpost_getpc4061:
	s_add_u32 s14, s14, (.LBB1_6569-.Lpost_getpc4061)&4294967295
	s_addc_u32 s15, s15, (.LBB1_6569-.Lpost_getpc4061)>>32
	s_setpc_b64 s[14:15]
.LBB1_2473:
	s_or_saveexec_b64 s[6:7], s[6:7]
	v_mov_b32_e32 v12, s10
	s_xor_b64 exec, exec, s[6:7]
	s_cbranch_execz .LBB1_2474
; %bb.16317:
	s_getpc_b64 s[14:15]
.Lpost_getpc4062:
	s_add_u32 s14, s14, (.LBB1_6572-.Lpost_getpc4062)&4294967295
	s_addc_u32 s15, s15, (.LBB1_6572-.Lpost_getpc4062)>>32
	s_setpc_b64 s[14:15]
.LBB1_2474:
	s_or_b64 exec, exec, s[6:7]
	s_and_saveexec_b64 s[6:7], s[4:5]
	s_cbranch_execz .LBB1_2476
.LBB1_2475:
	v_bfe_u32 v12, v17, 8, 3
	v_ffbh_u32_e32 v22, v12
	v_min_u32_e32 v22, 32, v22
	v_lshrrev_b16_e32 v21, 3, v16
	v_subrev_u32_e32 v23, 28, v22
	v_and_b32_e32 v21, 15, v21
	v_lshlrev_b32_e32 v16, v23, v16
	v_sub_u32_e32 v22, 29, v22
	v_and_b32_e32 v16, 7, v16
	v_cmp_eq_u16_e32 vcc, 0, v21
	v_cndmask_b32_e32 v12, v12, v16, vcc
	v_cndmask_b32_e32 v16, v21, v22, vcc
	v_lshlrev_b32_e32 v21, 16, v17
	v_mov_b32_e32 v22, 0x3b800000
	v_lshlrev_b32_e32 v12, 20, v12
	v_and_b32_e32 v21, 0x80000000, v21
	v_lshl_add_u32 v16, v16, 23, v22
	v_or3_b32 v12, v21, v16, v12
.LBB1_2476:
	s_or_b64 exec, exec, s[6:7]
	v_lshrrev_b32_e32 v16, 8, v13
	s_movk_i32 s4, 0x7f
	v_cmp_gt_i16_sdwa s[6:7], v16, s4 src0_sel:BYTE_0 src1_sel:DWORD
	s_mov_b64 s[4:5], 0
                                        ; implicit-def: $sgpr10
	s_and_saveexec_b64 s[8:9], s[6:7]
	s_xor_b64 s[6:7], exec, s[8:9]
	s_cbranch_execz .LBB1_2477
; %bb.16319:
	s_getpc_b64 s[14:15]
.Lpost_getpc4063:
	s_add_u32 s14, s14, (.LBB1_6573-.Lpost_getpc4063)&4294967295
	s_addc_u32 s15, s15, (.LBB1_6573-.Lpost_getpc4063)>>32
	s_setpc_b64 s[14:15]
.LBB1_2477:
	s_or_saveexec_b64 s[6:7], s[6:7]
	v_mov_b32_e32 v21, s10
	s_xor_b64 exec, exec, s[6:7]
	s_cbranch_execz .LBB1_2478
; %bb.16321:
	s_getpc_b64 s[14:15]
.Lpost_getpc4064:
	s_add_u32 s14, s14, (.LBB1_6576-.Lpost_getpc4064)&4294967295
	s_addc_u32 s15, s15, (.LBB1_6576-.Lpost_getpc4064)>>32
	s_setpc_b64 s[14:15]
.LBB1_2478:
	s_or_b64 exec, exec, s[6:7]
	s_and_saveexec_b64 s[6:7], s[4:5]
	s_cbranch_execz .LBB1_2480
.LBB1_2479:
	v_bfe_u32 v21, v13, 8, 2
	v_ffbh_u32_e32 v23, v21
	v_min_u32_e32 v23, 32, v23
	v_lshrrev_b16_e32 v22, 2, v16
	v_subrev_u32_e32 v24, 29, v23
	v_and_b32_e32 v22, 31, v22
	v_lshlrev_b32_e32 v16, v24, v16
	v_sub_u32_e32 v23, 30, v23
	v_and_b32_e32 v16, 3, v16
	v_cmp_eq_u16_e32 vcc, 0, v22
	v_cndmask_b32_e32 v16, v21, v16, vcc
	v_cndmask_b32_e32 v21, v22, v23, vcc
	v_lshlrev_b32_e32 v22, 16, v13
	v_mov_b32_e32 v23, 0x37800000
	v_lshlrev_b32_e32 v16, 21, v16
	v_and_b32_e32 v22, 0x80000000, v22
	v_lshl_add_u32 v21, v21, 23, v23
	v_or3_b32 v21, v22, v21, v16
.LBB1_2480:
	s_or_b64 exec, exec, s[6:7]
	s_nop 0
	v_mfma_f32_16x16x4f32 a[0:3], v12, v21, a[0:3]
	s_movk_i32 s4, 0xff
	v_and_b32_sdwa v16, v17, s4 dst_sel:DWORD dst_unused:UNUSED_PAD src0_sel:WORD_1 src1_sel:DWORD
	s_movk_i32 s4, 0x7f
	v_cmp_lt_i16_e32 vcc, s4, v16
	s_mov_b64 s[4:5], 0
                                        ; implicit-def: $sgpr10
	s_and_saveexec_b64 s[6:7], vcc
	s_xor_b64 s[6:7], exec, s[6:7]
	s_cbranch_execz .LBB1_2481
; %bb.16323:
	s_getpc_b64 s[14:15]
.Lpost_getpc4065:
	s_add_u32 s14, s14, (.LBB1_6577-.Lpost_getpc4065)&4294967295
	s_addc_u32 s15, s15, (.LBB1_6577-.Lpost_getpc4065)>>32
	s_setpc_b64 s[14:15]
.LBB1_2481:
	s_or_saveexec_b64 s[6:7], s[6:7]
	v_mov_b32_e32 v12, s10
	s_xor_b64 exec, exec, s[6:7]
	s_cbranch_execz .LBB1_2482
; %bb.16325:
	s_getpc_b64 s[14:15]
.Lpost_getpc4066:
	s_add_u32 s14, s14, (.LBB1_6580-.Lpost_getpc4066)&4294967295
	s_addc_u32 s15, s15, (.LBB1_6580-.Lpost_getpc4066)>>32
	s_setpc_b64 s[14:15]
.LBB1_2482:
	s_or_b64 exec, exec, s[6:7]
	s_and_saveexec_b64 s[6:7], s[4:5]
	s_cbranch_execz .LBB1_2484
.LBB1_2483:
	v_bfe_u32 v12, v17, 16, 3
	v_ffbh_u32_e32 v22, v12
	v_min_u32_e32 v22, 32, v22
	v_lshrrev_b32_e32 v16, 19, v17
	v_subrev_u32_e32 v23, 28, v22
	v_and_b32_e32 v16, 15, v16
	v_lshlrev_b32_sdwa v23, v23, v17 dst_sel:DWORD dst_unused:UNUSED_PAD src0_sel:DWORD src1_sel:WORD_1
	v_bfe_u32 v21, v17, 19, 4
	v_sub_u32_e32 v22, 29, v22
	v_and_b32_e32 v23, 7, v23
	v_cmp_eq_u16_e32 vcc, 0, v16
	v_cndmask_b32_e32 v12, v12, v23, vcc
	v_cndmask_b32_e32 v16, v21, v22, vcc
	v_lshlrev_b32_e32 v21, 8, v17
	v_mov_b32_e32 v22, 0x3b800000
	v_lshlrev_b32_e32 v12, 20, v12
	v_and_b32_e32 v21, 0x80000000, v21
	v_lshl_add_u32 v16, v16, 23, v22
	v_or3_b32 v12, v21, v16, v12
.LBB1_2484:
	s_or_b64 exec, exec, s[6:7]
	s_movk_i32 s4, 0xff
	v_and_b32_sdwa v16, v13, s4 dst_sel:DWORD dst_unused:UNUSED_PAD src0_sel:WORD_1 src1_sel:DWORD
	s_movk_i32 s4, 0x7f
	v_cmp_lt_i16_e32 vcc, s4, v16
	s_mov_b64 s[4:5], 0
                                        ; implicit-def: $sgpr10
	s_and_saveexec_b64 s[6:7], vcc
	s_xor_b64 s[6:7], exec, s[6:7]
	s_cbranch_execz .LBB1_2485
; %bb.16327:
	s_getpc_b64 s[14:15]
.Lpost_getpc4067:
	s_add_u32 s14, s14, (.LBB1_6581-.Lpost_getpc4067)&4294967295
	s_addc_u32 s15, s15, (.LBB1_6581-.Lpost_getpc4067)>>32
	s_setpc_b64 s[14:15]
.LBB1_2485:
	s_or_saveexec_b64 s[6:7], s[6:7]
	v_mov_b32_e32 v21, s10
	s_xor_b64 exec, exec, s[6:7]
	s_cbranch_execz .LBB1_2486
; %bb.16329:
	s_getpc_b64 s[14:15]
.Lpost_getpc4068:
	s_add_u32 s14, s14, (.LBB1_6584-.Lpost_getpc4068)&4294967295
	s_addc_u32 s15, s15, (.LBB1_6584-.Lpost_getpc4068)>>32
	s_setpc_b64 s[14:15]
.LBB1_2486:
	s_or_b64 exec, exec, s[6:7]
	s_and_saveexec_b64 s[6:7], s[4:5]
	s_cbranch_execz .LBB1_2488
.LBB1_2487:
	v_bfe_u32 v16, v13, 16, 2
	v_ffbh_u32_e32 v23, v16
	v_min_u32_e32 v23, 32, v23
	v_lshrrev_b32_e32 v21, 18, v13
	v_subrev_u32_e32 v24, 29, v23
	v_and_b32_e32 v21, 31, v21
	v_lshlrev_b32_sdwa v24, v24, v13 dst_sel:DWORD dst_unused:UNUSED_PAD src0_sel:DWORD src1_sel:WORD_1
	v_bfe_u32 v22, v13, 18, 5
	v_sub_u32_e32 v23, 30, v23
	v_and_b32_e32 v24, 3, v24
	v_cmp_eq_u16_e32 vcc, 0, v21
	v_cndmask_b32_e32 v16, v16, v24, vcc
	v_cndmask_b32_e32 v21, v22, v23, vcc
	v_lshlrev_b32_e32 v22, 8, v13
	v_mov_b32_e32 v23, 0x37800000
	v_lshlrev_b32_e32 v16, 21, v16
	v_and_b32_e32 v22, 0x80000000, v22
	v_lshl_add_u32 v21, v21, 23, v23
	v_or3_b32 v21, v22, v21, v16
.LBB1_2488:
	s_or_b64 exec, exec, s[6:7]
	s_nop 0
	v_mfma_f32_16x16x4f32 a[0:3], v12, v21, a[0:3]
	s_movk_i32 s4, 0x7f
	v_cmp_gt_i16_sdwa s[6:7], v17, s4 src0_sel:BYTE_3 src1_sel:DWORD
	s_mov_b64 s[4:5], 0
                                        ; implicit-def: $sgpr10
	s_and_saveexec_b64 s[8:9], s[6:7]
	s_xor_b64 s[6:7], exec, s[8:9]
	s_cbranch_execz .LBB1_2489
; %bb.16331:
	s_getpc_b64 s[14:15]
.Lpost_getpc4069:
	s_add_u32 s14, s14, (.LBB1_6585-.Lpost_getpc4069)&4294967295
	s_addc_u32 s15, s15, (.LBB1_6585-.Lpost_getpc4069)>>32
	s_setpc_b64 s[14:15]
.LBB1_2489:
	s_or_saveexec_b64 s[6:7], s[6:7]
	v_mov_b32_e32 v12, s10
	s_xor_b64 exec, exec, s[6:7]
	s_cbranch_execz .LBB1_2490
; %bb.16333:
	s_getpc_b64 s[14:15]
.Lpost_getpc4070:
	s_add_u32 s14, s14, (.LBB1_6588-.Lpost_getpc4070)&4294967295
	s_addc_u32 s15, s15, (.LBB1_6588-.Lpost_getpc4070)>>32
	s_setpc_b64 s[14:15]
.LBB1_2490:
	s_or_b64 exec, exec, s[6:7]
	s_and_saveexec_b64 s[6:7], s[4:5]
	s_cbranch_execz .LBB1_2492
.LBB1_2491:
	v_bfe_u32 v12, v17, 24, 3
	v_ffbh_u32_e32 v23, v12
	v_min_u32_e32 v23, 32, v23
	v_lshrrev_b32_e32 v21, 27, v17
	v_subrev_u32_e32 v24, 28, v23
	v_and_b32_e32 v16, 0x80000000, v17
	v_and_b32_e32 v21, 15, v21
	v_bfe_u32 v22, v17, 27, 4
	v_lshlrev_b32_sdwa v17, v24, v17 dst_sel:DWORD dst_unused:UNUSED_PAD src0_sel:DWORD src1_sel:BYTE_3
	v_sub_u32_e32 v23, 29, v23
	v_and_b32_e32 v17, 7, v17
	v_cmp_eq_u16_e32 vcc, 0, v21
	v_cndmask_b32_e32 v12, v12, v17, vcc
	v_cndmask_b32_e32 v17, v22, v23, vcc
	v_mov_b32_e32 v21, 0x3b800000
	v_lshlrev_b32_e32 v12, 20, v12
	v_lshl_add_u32 v17, v17, 23, v21
	v_or3_b32 v12, v16, v17, v12
.LBB1_2492:
	s_or_b64 exec, exec, s[6:7]
	s_movk_i32 s4, 0x7f
	v_cmp_gt_i16_sdwa s[6:7], v13, s4 src0_sel:BYTE_3 src1_sel:DWORD
	s_mov_b64 s[4:5], 0
                                        ; implicit-def: $sgpr10
	s_and_saveexec_b64 s[8:9], s[6:7]
	s_xor_b64 s[6:7], exec, s[8:9]
	s_cbranch_execz .LBB1_2493
; %bb.16335:
	s_getpc_b64 s[14:15]
.Lpost_getpc4071:
	s_add_u32 s14, s14, (.LBB1_6589-.Lpost_getpc4071)&4294967295
	s_addc_u32 s15, s15, (.LBB1_6589-.Lpost_getpc4071)>>32
	s_setpc_b64 s[14:15]
.LBB1_2493:
	s_or_saveexec_b64 s[6:7], s[6:7]
	v_mov_b32_e32 v16, s10
	s_xor_b64 exec, exec, s[6:7]
	s_cbranch_execz .LBB1_2494
; %bb.16337:
	s_getpc_b64 s[14:15]
.Lpost_getpc4072:
	s_add_u32 s14, s14, (.LBB1_6592-.Lpost_getpc4072)&4294967295
	s_addc_u32 s15, s15, (.LBB1_6592-.Lpost_getpc4072)>>32
	s_setpc_b64 s[14:15]
.LBB1_2494:
	s_or_b64 exec, exec, s[6:7]
	s_and_saveexec_b64 s[6:7], s[4:5]
	s_cbranch_execz .LBB1_2496
.LBB1_2495:
	v_bfe_u32 v16, v13, 24, 2
	v_ffbh_u32_e32 v23, v16
	v_min_u32_e32 v23, 32, v23
	v_lshrrev_b32_e32 v21, 26, v13
	v_subrev_u32_e32 v24, 29, v23
	v_and_b32_e32 v17, 0x80000000, v13
	v_and_b32_e32 v21, 31, v21
	v_bfe_u32 v22, v13, 26, 5
	v_lshlrev_b32_sdwa v13, v24, v13 dst_sel:DWORD dst_unused:UNUSED_PAD src0_sel:DWORD src1_sel:BYTE_3
	v_sub_u32_e32 v23, 30, v23
	v_and_b32_e32 v13, 3, v13
	v_cmp_eq_u16_e32 vcc, 0, v21
	v_cndmask_b32_e32 v13, v16, v13, vcc
	v_cndmask_b32_e32 v16, v22, v23, vcc
	v_mov_b32_e32 v21, 0x37800000
	v_lshlrev_b32_e32 v13, 21, v13
	v_lshl_add_u32 v16, v16, 23, v21
	v_or3_b32 v16, v17, v16, v13
.LBB1_2496:
	s_or_b64 exec, exec, s[6:7]
	s_nop 0
	v_mfma_f32_16x16x4f32 a[0:3], v12, v16, a[0:3]
	s_movk_i32 s4, 0x7f
	v_cmp_gt_i16_sdwa s[6:7], v18, s4 src0_sel:BYTE_0 src1_sel:DWORD
	s_mov_b64 s[4:5], 0
                                        ; implicit-def: $sgpr10
	s_and_saveexec_b64 s[8:9], s[6:7]
	s_xor_b64 s[6:7], exec, s[8:9]
	s_cbranch_execz .LBB1_2497
; %bb.16339:
	s_getpc_b64 s[14:15]
.Lpost_getpc4073:
	s_add_u32 s14, s14, (.LBB1_6593-.Lpost_getpc4073)&4294967295
	s_addc_u32 s15, s15, (.LBB1_6593-.Lpost_getpc4073)>>32
	s_setpc_b64 s[14:15]
.LBB1_2497:
	s_or_saveexec_b64 s[6:7], s[6:7]
	v_mov_b32_e32 v13, s10
	s_xor_b64 exec, exec, s[6:7]
	s_cbranch_execz .LBB1_2498
; %bb.16341:
	s_getpc_b64 s[14:15]
.Lpost_getpc4074:
	s_add_u32 s14, s14, (.LBB1_6596-.Lpost_getpc4074)&4294967295
	s_addc_u32 s15, s15, (.LBB1_6596-.Lpost_getpc4074)>>32
	s_setpc_b64 s[14:15]
.LBB1_2498:
	s_or_b64 exec, exec, s[6:7]
	s_and_saveexec_b64 s[6:7], s[4:5]
	s_cbranch_execz .LBB1_2500
.LBB1_2499:
	v_and_b32_e32 v12, 7, v18
	v_ffbh_u32_e32 v16, v12
	v_min_u32_e32 v16, 32, v16
	v_lshrrev_b16_e32 v13, 3, v18
	v_subrev_u32_e32 v17, 28, v16
	v_and_b32_e32 v13, 15, v13
	v_lshlrev_b32_e32 v17, v17, v18
	v_sub_u32_e32 v16, 29, v16
	v_and_b32_e32 v17, 7, v17
	v_cmp_eq_u16_e32 vcc, 0, v13
	v_cndmask_b32_e32 v12, v12, v17, vcc
	v_cndmask_b32_e32 v13, v13, v16, vcc
	v_lshlrev_b32_e32 v16, 24, v18
	v_mov_b32_e32 v17, 0x3b800000
	v_lshlrev_b32_e32 v12, 20, v12
	v_and_b32_e32 v16, 0x80000000, v16
	v_lshl_add_u32 v13, v13, 23, v17
	v_or3_b32 v13, v16, v13, v12
.LBB1_2500:
	s_or_b64 exec, exec, s[6:7]
	s_movk_i32 s4, 0xff
	v_mov_b32_e32 v12, 8
	v_or_b32_sdwa v16, v14, v20 dst_sel:DWORD dst_unused:UNUSED_PAD src0_sel:BYTE_0 src1_sel:DWORD
	v_lshlrev_b16_sdwa v12, v12, v14 dst_sel:DWORD dst_unused:UNUSED_PAD src0_sel:DWORD src1_sel:BYTE_3
	v_and_b32_sdwa v14, v14, s4 dst_sel:DWORD dst_unused:UNUSED_PAD src0_sel:WORD_1 src1_sel:DWORD
	s_movk_i32 s4, 0x7f
	v_or_b32_sdwa v12, v14, v12 dst_sel:WORD_1 dst_unused:UNUSED_PAD src0_sel:DWORD src1_sel:DWORD
	v_cmp_gt_i16_sdwa s[6:7], v16, s4 src0_sel:BYTE_0 src1_sel:DWORD
	s_mov_b64 s[4:5], 0
                                        ; implicit-def: $sgpr10
	s_and_saveexec_b64 s[8:9], s[6:7]
	s_xor_b64 s[6:7], exec, s[8:9]
	s_cbranch_execz .LBB1_2501
; %bb.16343:
	s_getpc_b64 s[14:15]
.Lpost_getpc4075:
	s_add_u32 s14, s14, (.LBB1_6597-.Lpost_getpc4075)&4294967295
	s_addc_u32 s15, s15, (.LBB1_6597-.Lpost_getpc4075)>>32
	s_setpc_b64 s[14:15]
.LBB1_2501:
	s_or_saveexec_b64 s[6:7], s[6:7]
	v_mov_b32_e32 v14, s10
	s_xor_b64 exec, exec, s[6:7]
	s_cbranch_execz .LBB1_2502
; %bb.16345:
	s_getpc_b64 s[14:15]
.Lpost_getpc4076:
	s_add_u32 s14, s14, (.LBB1_6600-.Lpost_getpc4076)&4294967295
	s_addc_u32 s15, s15, (.LBB1_6600-.Lpost_getpc4076)>>32
	s_setpc_b64 s[14:15]
.LBB1_2502:
	s_or_b64 exec, exec, s[6:7]
	v_or_b32_sdwa v12, v16, v12 dst_sel:DWORD dst_unused:UNUSED_PAD src0_sel:WORD_0 src1_sel:DWORD
	s_and_saveexec_b64 s[6:7], s[4:5]
	s_cbranch_execz .LBB1_2504
.LBB1_2503:
	v_and_b32_e32 v14, 3, v12
	v_ffbh_u32_e32 v17, v14
	v_min_u32_e32 v17, 32, v17
	v_lshrrev_b16_e32 v16, 2, v16
	v_subrev_u32_e32 v20, 29, v17
	v_and_b32_e32 v16, 31, v16
	v_lshlrev_b32_e32 v20, v20, v12
	v_sub_u32_e32 v17, 30, v17
	v_and_b32_e32 v20, 3, v20
	v_cmp_eq_u16_e32 vcc, 0, v16
	v_cndmask_b32_e32 v14, v14, v20, vcc
	v_cndmask_b32_e32 v16, v16, v17, vcc
	v_lshlrev_b32_e32 v17, 24, v12
	v_mov_b32_e32 v20, 0x37800000
	v_lshlrev_b32_e32 v14, 21, v14
	v_and_b32_e32 v17, 0x80000000, v17
	v_lshl_add_u32 v16, v16, 23, v20
	v_or3_b32 v14, v17, v16, v14
.LBB1_2504:
	s_or_b64 exec, exec, s[6:7]
	s_nop 0
	v_mfma_f32_16x16x4f32 a[0:3], v13, v14, a[0:3]
	v_lshrrev_b32_e32 v14, 8, v18
	s_movk_i32 s4, 0x7f
	v_cmp_gt_i16_sdwa s[6:7], v14, s4 src0_sel:BYTE_0 src1_sel:DWORD
	s_mov_b64 s[4:5], 0
                                        ; implicit-def: $sgpr10
	s_and_saveexec_b64 s[8:9], s[6:7]
	s_xor_b64 s[6:7], exec, s[8:9]
	s_cbranch_execz .LBB1_2505
; %bb.16347:
	s_getpc_b64 s[14:15]
.Lpost_getpc4077:
	s_add_u32 s14, s14, (.LBB1_6601-.Lpost_getpc4077)&4294967295
	s_addc_u32 s15, s15, (.LBB1_6601-.Lpost_getpc4077)>>32
	s_setpc_b64 s[14:15]
.LBB1_2505:
	s_or_saveexec_b64 s[6:7], s[6:7]
	v_mov_b32_e32 v13, s10
	s_xor_b64 exec, exec, s[6:7]
	s_cbranch_execz .LBB1_2506
; %bb.16349:
	s_getpc_b64 s[14:15]
.Lpost_getpc4078:
	s_add_u32 s14, s14, (.LBB1_6604-.Lpost_getpc4078)&4294967295
	s_addc_u32 s15, s15, (.LBB1_6604-.Lpost_getpc4078)>>32
	s_setpc_b64 s[14:15]
.LBB1_2506:
	s_or_b64 exec, exec, s[6:7]
	s_and_saveexec_b64 s[6:7], s[4:5]
	s_cbranch_execz .LBB1_2508
.LBB1_2507:
	v_bfe_u32 v13, v18, 8, 3
	v_ffbh_u32_e32 v17, v13
	v_min_u32_e32 v17, 32, v17
	v_lshrrev_b16_e32 v16, 3, v14
	v_subrev_u32_e32 v20, 28, v17
	v_and_b32_e32 v16, 15, v16
	v_lshlrev_b32_e32 v14, v20, v14
	v_sub_u32_e32 v17, 29, v17
	v_and_b32_e32 v14, 7, v14
	v_cmp_eq_u16_e32 vcc, 0, v16
	v_cndmask_b32_e32 v13, v13, v14, vcc
	v_cndmask_b32_e32 v14, v16, v17, vcc
	v_lshlrev_b32_e32 v16, 16, v18
	v_mov_b32_e32 v17, 0x3b800000
	v_lshlrev_b32_e32 v13, 20, v13
	v_and_b32_e32 v16, 0x80000000, v16
	v_lshl_add_u32 v14, v14, 23, v17
	v_or3_b32 v13, v16, v14, v13
.LBB1_2508:
	s_or_b64 exec, exec, s[6:7]
	v_lshrrev_b32_e32 v14, 8, v12
	s_movk_i32 s4, 0x7f
	v_cmp_gt_i16_sdwa s[6:7], v14, s4 src0_sel:BYTE_0 src1_sel:DWORD
	s_mov_b64 s[4:5], 0
                                        ; implicit-def: $sgpr10
	s_and_saveexec_b64 s[8:9], s[6:7]
	s_xor_b64 s[6:7], exec, s[8:9]
	s_cbranch_execz .LBB1_2509
; %bb.16351:
	s_getpc_b64 s[14:15]
.Lpost_getpc4079:
	s_add_u32 s14, s14, (.LBB1_6605-.Lpost_getpc4079)&4294967295
	s_addc_u32 s15, s15, (.LBB1_6605-.Lpost_getpc4079)>>32
	s_setpc_b64 s[14:15]
.LBB1_2509:
	s_or_saveexec_b64 s[6:7], s[6:7]
	v_mov_b32_e32 v16, s10
	s_xor_b64 exec, exec, s[6:7]
	s_cbranch_execz .LBB1_2510
; %bb.16353:
	s_getpc_b64 s[14:15]
.Lpost_getpc4080:
	s_add_u32 s14, s14, (.LBB1_6608-.Lpost_getpc4080)&4294967295
	s_addc_u32 s15, s15, (.LBB1_6608-.Lpost_getpc4080)>>32
	s_setpc_b64 s[14:15]
.LBB1_2510:
	s_or_b64 exec, exec, s[6:7]
	s_and_saveexec_b64 s[6:7], s[4:5]
	s_cbranch_execz .LBB1_2512
.LBB1_2511:
	v_bfe_u32 v16, v12, 8, 2
	v_ffbh_u32_e32 v20, v16
	v_min_u32_e32 v20, 32, v20
	v_lshrrev_b16_e32 v17, 2, v14
	v_subrev_u32_e32 v21, 29, v20
	v_and_b32_e32 v17, 31, v17
	v_lshlrev_b32_e32 v14, v21, v14
	v_sub_u32_e32 v20, 30, v20
	v_and_b32_e32 v14, 3, v14
	v_cmp_eq_u16_e32 vcc, 0, v17
	v_cndmask_b32_e32 v14, v16, v14, vcc
	v_cndmask_b32_e32 v16, v17, v20, vcc
	v_lshlrev_b32_e32 v17, 16, v12
	v_mov_b32_e32 v20, 0x37800000
	v_lshlrev_b32_e32 v14, 21, v14
	v_and_b32_e32 v17, 0x80000000, v17
	v_lshl_add_u32 v16, v16, 23, v20
	v_or3_b32 v16, v17, v16, v14
.LBB1_2512:
	s_or_b64 exec, exec, s[6:7]
	s_nop 0
	v_mfma_f32_16x16x4f32 a[0:3], v13, v16, a[0:3]
	s_movk_i32 s4, 0xff
	v_and_b32_sdwa v14, v18, s4 dst_sel:DWORD dst_unused:UNUSED_PAD src0_sel:WORD_1 src1_sel:DWORD
	s_movk_i32 s4, 0x7f
	v_cmp_lt_i16_e32 vcc, s4, v14
	s_mov_b64 s[4:5], 0
                                        ; implicit-def: $sgpr10
	s_and_saveexec_b64 s[6:7], vcc
	s_xor_b64 s[6:7], exec, s[6:7]
	s_cbranch_execz .LBB1_2513
; %bb.16355:
	s_getpc_b64 s[14:15]
.Lpost_getpc4081:
	s_add_u32 s14, s14, (.LBB1_6609-.Lpost_getpc4081)&4294967295
	s_addc_u32 s15, s15, (.LBB1_6609-.Lpost_getpc4081)>>32
	s_setpc_b64 s[14:15]
.LBB1_2513:
	s_or_saveexec_b64 s[6:7], s[6:7]
	v_mov_b32_e32 v13, s10
	s_xor_b64 exec, exec, s[6:7]
	s_cbranch_execz .LBB1_2514
; %bb.16357:
	s_getpc_b64 s[14:15]
.Lpost_getpc4082:
	s_add_u32 s14, s14, (.LBB1_6612-.Lpost_getpc4082)&4294967295
	s_addc_u32 s15, s15, (.LBB1_6612-.Lpost_getpc4082)>>32
	s_setpc_b64 s[14:15]
.LBB1_2514:
	s_or_b64 exec, exec, s[6:7]
	s_and_saveexec_b64 s[6:7], s[4:5]
	s_cbranch_execz .LBB1_2516
.LBB1_2515:
	v_bfe_u32 v13, v18, 16, 3
	v_ffbh_u32_e32 v17, v13
	v_min_u32_e32 v17, 32, v17
	v_lshrrev_b32_e32 v14, 19, v18
	v_subrev_u32_e32 v20, 28, v17
	v_and_b32_e32 v14, 15, v14
	v_lshlrev_b32_sdwa v20, v20, v18 dst_sel:DWORD dst_unused:UNUSED_PAD src0_sel:DWORD src1_sel:WORD_1
	v_bfe_u32 v16, v18, 19, 4
	v_sub_u32_e32 v17, 29, v17
	v_and_b32_e32 v20, 7, v20
	v_cmp_eq_u16_e32 vcc, 0, v14
	v_cndmask_b32_e32 v13, v13, v20, vcc
	v_cndmask_b32_e32 v14, v16, v17, vcc
	v_lshlrev_b32_e32 v16, 8, v18
	v_mov_b32_e32 v17, 0x3b800000
	v_lshlrev_b32_e32 v13, 20, v13
	v_and_b32_e32 v16, 0x80000000, v16
	v_lshl_add_u32 v14, v14, 23, v17
	v_or3_b32 v13, v16, v14, v13
.LBB1_2516:
	s_or_b64 exec, exec, s[6:7]
	s_movk_i32 s4, 0xff
	v_and_b32_sdwa v14, v12, s4 dst_sel:DWORD dst_unused:UNUSED_PAD src0_sel:WORD_1 src1_sel:DWORD
	s_movk_i32 s4, 0x7f
	v_cmp_lt_i16_e32 vcc, s4, v14
	s_mov_b64 s[4:5], 0
                                        ; implicit-def: $sgpr10
	s_and_saveexec_b64 s[6:7], vcc
	s_xor_b64 s[6:7], exec, s[6:7]
	s_cbranch_execz .LBB1_2517
; %bb.16359:
	s_getpc_b64 s[14:15]
.Lpost_getpc4083:
	s_add_u32 s14, s14, (.LBB1_6613-.Lpost_getpc4083)&4294967295
	s_addc_u32 s15, s15, (.LBB1_6613-.Lpost_getpc4083)>>32
	s_setpc_b64 s[14:15]
.LBB1_2517:
	s_or_saveexec_b64 s[6:7], s[6:7]
	v_mov_b32_e32 v16, s10
	s_xor_b64 exec, exec, s[6:7]
	s_cbranch_execz .LBB1_2518
; %bb.16361:
	s_getpc_b64 s[14:15]
.Lpost_getpc4084:
	s_add_u32 s14, s14, (.LBB1_6616-.Lpost_getpc4084)&4294967295
	s_addc_u32 s15, s15, (.LBB1_6616-.Lpost_getpc4084)>>32
	s_setpc_b64 s[14:15]
.LBB1_2518:
	s_or_b64 exec, exec, s[6:7]
	s_and_saveexec_b64 s[6:7], s[4:5]
	s_cbranch_execz .LBB1_2520
.LBB1_2519:
	v_bfe_u32 v14, v12, 16, 2
	v_ffbh_u32_e32 v20, v14
	v_min_u32_e32 v20, 32, v20
	v_lshrrev_b32_e32 v16, 18, v12
	v_subrev_u32_e32 v21, 29, v20
	v_and_b32_e32 v16, 31, v16
	v_lshlrev_b32_sdwa v21, v21, v12 dst_sel:DWORD dst_unused:UNUSED_PAD src0_sel:DWORD src1_sel:WORD_1
	v_bfe_u32 v17, v12, 18, 5
	v_sub_u32_e32 v20, 30, v20
	v_and_b32_e32 v21, 3, v21
	v_cmp_eq_u16_e32 vcc, 0, v16
	v_cndmask_b32_e32 v14, v14, v21, vcc
	v_cndmask_b32_e32 v16, v17, v20, vcc
	v_lshlrev_b32_e32 v17, 8, v12
	v_mov_b32_e32 v20, 0x37800000
	v_lshlrev_b32_e32 v14, 21, v14
	v_and_b32_e32 v17, 0x80000000, v17
	v_lshl_add_u32 v16, v16, 23, v20
	v_or3_b32 v16, v17, v16, v14
.LBB1_2520:
	s_or_b64 exec, exec, s[6:7]
	s_nop 0
	v_mfma_f32_16x16x4f32 a[0:3], v13, v16, a[0:3]
	s_movk_i32 s4, 0x7f
	v_cmp_gt_i16_sdwa s[6:7], v18, s4 src0_sel:BYTE_3 src1_sel:DWORD
	s_mov_b64 s[4:5], 0
                                        ; implicit-def: $sgpr10
	s_and_saveexec_b64 s[8:9], s[6:7]
	s_xor_b64 s[6:7], exec, s[8:9]
	s_cbranch_execz .LBB1_2521
; %bb.16363:
	s_getpc_b64 s[14:15]
.Lpost_getpc4085:
	s_add_u32 s14, s14, (.LBB1_6617-.Lpost_getpc4085)&4294967295
	s_addc_u32 s15, s15, (.LBB1_6617-.Lpost_getpc4085)>>32
	s_setpc_b64 s[14:15]
.LBB1_2521:
	s_or_saveexec_b64 s[6:7], s[6:7]
	v_mov_b32_e32 v13, s10
	s_xor_b64 exec, exec, s[6:7]
	s_cbranch_execz .LBB1_2522
; %bb.16365:
	s_getpc_b64 s[14:15]
.Lpost_getpc4086:
	s_add_u32 s14, s14, (.LBB1_6620-.Lpost_getpc4086)&4294967295
	s_addc_u32 s15, s15, (.LBB1_6620-.Lpost_getpc4086)>>32
	s_setpc_b64 s[14:15]
.LBB1_2522:
	s_or_b64 exec, exec, s[6:7]
	s_and_saveexec_b64 s[6:7], s[4:5]
	s_cbranch_execz .LBB1_2524
.LBB1_2523:
	v_bfe_u32 v13, v18, 24, 3
	v_ffbh_u32_e32 v20, v13
	v_min_u32_e32 v20, 32, v20
	v_lshrrev_b32_e32 v16, 27, v18
	v_subrev_u32_e32 v21, 28, v20
	v_and_b32_e32 v14, 0x80000000, v18
	v_and_b32_e32 v16, 15, v16
	v_bfe_u32 v17, v18, 27, 4
	v_lshlrev_b32_sdwa v18, v21, v18 dst_sel:DWORD dst_unused:UNUSED_PAD src0_sel:DWORD src1_sel:BYTE_3
	v_sub_u32_e32 v20, 29, v20
	v_and_b32_e32 v18, 7, v18
	v_cmp_eq_u16_e32 vcc, 0, v16
	v_cndmask_b32_e32 v13, v13, v18, vcc
	v_cndmask_b32_e32 v16, v17, v20, vcc
	v_mov_b32_e32 v17, 0x3b800000
	v_lshlrev_b32_e32 v13, 20, v13
	v_lshl_add_u32 v16, v16, 23, v17
	v_or3_b32 v13, v14, v16, v13
.LBB1_2524:
	s_or_b64 exec, exec, s[6:7]
	s_movk_i32 s4, 0x7f
	v_cmp_gt_i16_sdwa s[6:7], v12, s4 src0_sel:BYTE_3 src1_sel:DWORD
	s_mov_b64 s[4:5], 0
                                        ; implicit-def: $sgpr10
	s_and_saveexec_b64 s[8:9], s[6:7]
	s_xor_b64 s[6:7], exec, s[8:9]
	s_cbranch_execz .LBB1_2525
; %bb.16367:
	s_getpc_b64 s[14:15]
.Lpost_getpc4087:
	s_add_u32 s14, s14, (.LBB1_6621-.Lpost_getpc4087)&4294967295
	s_addc_u32 s15, s15, (.LBB1_6621-.Lpost_getpc4087)>>32
	s_setpc_b64 s[14:15]
.LBB1_2525:
	s_or_saveexec_b64 s[6:7], s[6:7]
	v_mov_b32_e32 v14, s10
	s_xor_b64 exec, exec, s[6:7]
	s_cbranch_execz .LBB1_2526
; %bb.16369:
	s_getpc_b64 s[14:15]
.Lpost_getpc4088:
	s_add_u32 s14, s14, (.LBB1_6624-.Lpost_getpc4088)&4294967295
	s_addc_u32 s15, s15, (.LBB1_6624-.Lpost_getpc4088)>>32
	s_setpc_b64 s[14:15]
.LBB1_2526:
	s_or_b64 exec, exec, s[6:7]
	s_and_saveexec_b64 s[6:7], s[4:5]
	s_cbranch_execz .LBB1_2528
.LBB1_2527:
	v_bfe_u32 v14, v12, 24, 2
	v_ffbh_u32_e32 v20, v14
	v_min_u32_e32 v20, 32, v20
	v_lshrrev_b32_e32 v17, 26, v12
	v_subrev_u32_e32 v21, 29, v20
	v_and_b32_e32 v16, 0x80000000, v12
	v_and_b32_e32 v17, 31, v17
	v_bfe_u32 v18, v12, 26, 5
	v_lshlrev_b32_sdwa v12, v21, v12 dst_sel:DWORD dst_unused:UNUSED_PAD src0_sel:DWORD src1_sel:BYTE_3
	v_sub_u32_e32 v20, 30, v20
	v_and_b32_e32 v12, 3, v12
	v_cmp_eq_u16_e32 vcc, 0, v17
	v_cndmask_b32_e32 v12, v14, v12, vcc
	v_cndmask_b32_e32 v14, v18, v20, vcc
	v_mov_b32_e32 v17, 0x37800000
	v_lshlrev_b32_e32 v12, 21, v12
	v_lshl_add_u32 v14, v14, 23, v17
	v_or3_b32 v14, v16, v14, v12
.LBB1_2528:
	s_or_b64 exec, exec, s[6:7]
	s_nop 0
	v_mfma_f32_16x16x4f32 a[0:3], v13, v14, a[0:3]
	s_movk_i32 s4, 0x7f
	v_cmp_gt_i16_sdwa s[6:7], v19, s4 src0_sel:BYTE_0 src1_sel:DWORD
	s_mov_b64 s[4:5], 0
                                        ; implicit-def: $sgpr10
	s_and_saveexec_b64 s[8:9], s[6:7]
	s_xor_b64 s[6:7], exec, s[8:9]
	s_cbranch_execz .LBB1_2529
; %bb.16371:
	s_getpc_b64 s[14:15]
.Lpost_getpc4089:
	s_add_u32 s14, s14, (.LBB1_6625-.Lpost_getpc4089)&4294967295
	s_addc_u32 s15, s15, (.LBB1_6625-.Lpost_getpc4089)>>32
	s_setpc_b64 s[14:15]
.LBB1_2529:
	s_or_saveexec_b64 s[6:7], s[6:7]
	v_mov_b32_e32 v12, s10
	s_xor_b64 exec, exec, s[6:7]
	s_cbranch_execz .LBB1_2530
; %bb.16373:
	s_getpc_b64 s[14:15]
.Lpost_getpc4090:
	s_add_u32 s14, s14, (.LBB1_6628-.Lpost_getpc4090)&4294967295
	s_addc_u32 s15, s15, (.LBB1_6628-.Lpost_getpc4090)>>32
	s_setpc_b64 s[14:15]
.LBB1_2530:
	s_or_b64 exec, exec, s[6:7]
	s_and_saveexec_b64 s[6:7], s[4:5]
	s_cbranch_execz .LBB1_2532
.LBB1_2531:
	v_mov_b32_e32 v12, 8
	v_and_b32_e32 v13, 7, v19
	v_lshrrev_b32_sdwa v12, v12, v19 dst_sel:BYTE_1 dst_unused:UNUSED_PAD src0_sel:DWORD src1_sel:DWORD
	v_ffbh_u32_e32 v14, v13
	v_or_b32_sdwa v12, v19, v12 dst_sel:DWORD dst_unused:UNUSED_PAD src0_sel:BYTE_0 src1_sel:DWORD
	v_min_u32_e32 v14, 32, v14
	v_lshrrev_b16_e32 v12, 3, v12
	v_subrev_u32_e32 v16, 28, v14
	v_and_b32_e32 v12, 15, v12
	v_lshlrev_b32_e32 v16, v16, v19
	v_sub_u32_e32 v14, 29, v14
	v_and_b32_e32 v16, 7, v16
	v_cmp_eq_u16_e32 vcc, 0, v12
	v_cndmask_b32_e32 v13, v13, v16, vcc
	v_cndmask_b32_e32 v12, v12, v14, vcc
	v_lshlrev_b32_e32 v14, 24, v19
	v_mov_b32_e32 v16, 0x3b800000
	v_lshlrev_b32_e32 v13, 20, v13
	v_and_b32_e32 v14, 0x80000000, v14
	v_lshl_add_u32 v12, v12, 23, v16
	v_or3_b32 v12, v14, v12, v13
.LBB1_2532:
	s_or_b64 exec, exec, s[6:7]
	s_movk_i32 s4, 0x7f
	v_cmp_gt_i16_sdwa s[6:7], v15, s4 src0_sel:BYTE_0 src1_sel:DWORD
	s_mov_b64 s[4:5], 0
                                        ; implicit-def: $sgpr10
	s_and_saveexec_b64 s[8:9], s[6:7]
	s_xor_b64 s[6:7], exec, s[8:9]
	s_cbranch_execz .LBB1_2533
; %bb.16375:
	s_getpc_b64 s[14:15]
.Lpost_getpc4091:
	s_add_u32 s14, s14, (.LBB1_6629-.Lpost_getpc4091)&4294967295
	s_addc_u32 s15, s15, (.LBB1_6629-.Lpost_getpc4091)>>32
	s_setpc_b64 s[14:15]
.LBB1_2533:
	s_or_saveexec_b64 s[6:7], s[6:7]
	v_mov_b32_e32 v13, s10
	s_xor_b64 exec, exec, s[6:7]
	s_cbranch_execz .LBB1_2534
; %bb.16377:
	s_getpc_b64 s[14:15]
.Lpost_getpc4092:
	s_add_u32 s14, s14, (.LBB1_6632-.Lpost_getpc4092)&4294967295
	s_addc_u32 s15, s15, (.LBB1_6632-.Lpost_getpc4092)>>32
	s_setpc_b64 s[14:15]
.LBB1_2534:
	s_or_b64 exec, exec, s[6:7]
	s_and_saveexec_b64 s[6:7], s[4:5]
	s_cbranch_execz .LBB1_2536
.LBB1_2535:
	v_and_b32_e32 v13, 3, v15
	v_ffbh_u32_e32 v16, v13
	v_min_u32_e32 v16, 32, v16
	v_lshrrev_b16_e32 v14, 2, v15
	v_subrev_u32_e32 v17, 29, v16
	v_and_b32_e32 v14, 31, v14
	v_lshlrev_b32_e32 v17, v17, v15
	v_sub_u32_e32 v16, 30, v16
	v_and_b32_e32 v17, 3, v17
	v_cmp_eq_u16_e32 vcc, 0, v14
	v_cndmask_b32_e32 v13, v13, v17, vcc
	v_cndmask_b32_e32 v14, v14, v16, vcc
	v_lshlrev_b32_e32 v16, 24, v15
	v_mov_b32_e32 v17, 0x37800000
	v_lshlrev_b32_e32 v13, 21, v13
	v_and_b32_e32 v16, 0x80000000, v16
	v_lshl_add_u32 v14, v14, 23, v17
	v_or3_b32 v13, v16, v14, v13
.LBB1_2536:
	s_or_b64 exec, exec, s[6:7]
	s_nop 0
	v_mfma_f32_16x16x4f32 a[0:3], v12, v13, a[0:3]
	v_lshrrev_b32_e32 v13, 8, v19
	s_movk_i32 s4, 0x7f
	v_cmp_gt_i16_sdwa s[6:7], v13, s4 src0_sel:BYTE_0 src1_sel:DWORD
	s_mov_b64 s[4:5], 0
                                        ; implicit-def: $sgpr10
	s_and_saveexec_b64 s[8:9], s[6:7]
	s_xor_b64 s[6:7], exec, s[8:9]
	s_cbranch_execz .LBB1_2537
; %bb.16379:
	s_getpc_b64 s[14:15]
.Lpost_getpc4093:
	s_add_u32 s14, s14, (.LBB1_6633-.Lpost_getpc4093)&4294967295
	s_addc_u32 s15, s15, (.LBB1_6633-.Lpost_getpc4093)>>32
	s_setpc_b64 s[14:15]
.LBB1_2537:
	s_or_saveexec_b64 s[6:7], s[6:7]
	v_mov_b32_e32 v12, s10
	s_xor_b64 exec, exec, s[6:7]
	s_cbranch_execz .LBB1_2538
; %bb.16381:
	s_getpc_b64 s[14:15]
.Lpost_getpc4094:
	s_add_u32 s14, s14, (.LBB1_6636-.Lpost_getpc4094)&4294967295
	s_addc_u32 s15, s15, (.LBB1_6636-.Lpost_getpc4094)>>32
	s_setpc_b64 s[14:15]
.LBB1_2538:
	s_or_b64 exec, exec, s[6:7]
	s_and_saveexec_b64 s[6:7], s[4:5]
	s_cbranch_execz .LBB1_2540
.LBB1_2539:
	v_bfe_u32 v12, v19, 8, 3
	v_ffbh_u32_e32 v16, v12
	v_min_u32_e32 v16, 32, v16
	v_lshrrev_b16_e32 v14, 3, v13
	v_subrev_u32_e32 v17, 28, v16
	v_and_b32_e32 v14, 15, v14
	v_lshlrev_b32_e32 v13, v17, v13
	v_sub_u32_e32 v16, 29, v16
	v_and_b32_e32 v13, 7, v13
	v_cmp_eq_u16_e32 vcc, 0, v14
	v_cndmask_b32_e32 v12, v12, v13, vcc
	v_cndmask_b32_e32 v13, v14, v16, vcc
	v_lshlrev_b32_e32 v14, 16, v19
	v_mov_b32_e32 v16, 0x3b800000
	v_lshlrev_b32_e32 v12, 20, v12
	v_and_b32_e32 v14, 0x80000000, v14
	v_lshl_add_u32 v13, v13, 23, v16
	v_or3_b32 v12, v14, v13, v12
.LBB1_2540:
	s_or_b64 exec, exec, s[6:7]
	v_lshrrev_b32_e32 v13, 8, v15
	s_movk_i32 s4, 0x7f
	v_cmp_gt_i16_sdwa s[6:7], v13, s4 src0_sel:BYTE_0 src1_sel:DWORD
	s_mov_b64 s[4:5], 0
                                        ; implicit-def: $sgpr10
	s_and_saveexec_b64 s[8:9], s[6:7]
	s_xor_b64 s[6:7], exec, s[8:9]
	s_cbranch_execz .LBB1_2541
; %bb.16383:
	s_getpc_b64 s[14:15]
.Lpost_getpc4095:
	s_add_u32 s14, s14, (.LBB1_6637-.Lpost_getpc4095)&4294967295
	s_addc_u32 s15, s15, (.LBB1_6637-.Lpost_getpc4095)>>32
	s_setpc_b64 s[14:15]
.LBB1_2541:
	s_or_saveexec_b64 s[6:7], s[6:7]
	v_mov_b32_e32 v14, s10
	s_xor_b64 exec, exec, s[6:7]
	s_cbranch_execz .LBB1_2542
; %bb.16385:
	s_getpc_b64 s[14:15]
.Lpost_getpc4096:
	s_add_u32 s14, s14, (.LBB1_6640-.Lpost_getpc4096)&4294967295
	s_addc_u32 s15, s15, (.LBB1_6640-.Lpost_getpc4096)>>32
	s_setpc_b64 s[14:15]
.LBB1_2542:
	s_or_b64 exec, exec, s[6:7]
	s_and_saveexec_b64 s[6:7], s[4:5]
	s_cbranch_execz .LBB1_2544
.LBB1_2543:
	v_bfe_u32 v14, v15, 8, 2
	v_ffbh_u32_e32 v17, v14
	v_min_u32_e32 v17, 32, v17
	v_lshrrev_b16_e32 v16, 2, v13
	v_subrev_u32_e32 v18, 29, v17
	v_and_b32_e32 v16, 31, v16
	v_lshlrev_b32_e32 v13, v18, v13
	v_sub_u32_e32 v17, 30, v17
	v_and_b32_e32 v13, 3, v13
	v_cmp_eq_u16_e32 vcc, 0, v16
	v_cndmask_b32_e32 v13, v14, v13, vcc
	v_cndmask_b32_e32 v14, v16, v17, vcc
	v_lshlrev_b32_e32 v16, 16, v15
	v_mov_b32_e32 v17, 0x37800000
	v_lshlrev_b32_e32 v13, 21, v13
	v_and_b32_e32 v16, 0x80000000, v16
	v_lshl_add_u32 v14, v14, 23, v17
	v_or3_b32 v14, v16, v14, v13
.LBB1_2544:
	s_or_b64 exec, exec, s[6:7]
	s_nop 0
	v_mfma_f32_16x16x4f32 a[0:3], v12, v14, a[0:3]
	s_movk_i32 s4, 0xff
	v_and_b32_sdwa v13, v19, s4 dst_sel:DWORD dst_unused:UNUSED_PAD src0_sel:WORD_1 src1_sel:DWORD
	s_movk_i32 s4, 0x7f
	v_cmp_lt_i16_e32 vcc, s4, v13
	s_mov_b64 s[4:5], 0
                                        ; implicit-def: $sgpr10
	s_and_saveexec_b64 s[6:7], vcc
	s_xor_b64 s[6:7], exec, s[6:7]
	s_cbranch_execz .LBB1_2545
; %bb.16387:
	s_getpc_b64 s[14:15]
.Lpost_getpc4097:
	s_add_u32 s14, s14, (.LBB1_6641-.Lpost_getpc4097)&4294967295
	s_addc_u32 s15, s15, (.LBB1_6641-.Lpost_getpc4097)>>32
	s_setpc_b64 s[14:15]
.LBB1_2545:
	s_or_saveexec_b64 s[6:7], s[6:7]
	v_mov_b32_e32 v12, s10
	s_xor_b64 exec, exec, s[6:7]
	s_cbranch_execz .LBB1_2546
; %bb.16389:
	s_getpc_b64 s[14:15]
.Lpost_getpc4098:
	s_add_u32 s14, s14, (.LBB1_6644-.Lpost_getpc4098)&4294967295
	s_addc_u32 s15, s15, (.LBB1_6644-.Lpost_getpc4098)>>32
	s_setpc_b64 s[14:15]
.LBB1_2546:
	s_or_b64 exec, exec, s[6:7]
	s_and_saveexec_b64 s[6:7], s[4:5]
	s_cbranch_execz .LBB1_2548
.LBB1_2547:
	v_bfe_u32 v12, v19, 16, 3
	v_ffbh_u32_e32 v16, v12
	v_min_u32_e32 v16, 32, v16
	v_lshrrev_b32_e32 v13, 19, v19
	v_subrev_u32_e32 v17, 28, v16
	v_and_b32_e32 v13, 15, v13
	v_lshlrev_b32_sdwa v17, v17, v19 dst_sel:DWORD dst_unused:UNUSED_PAD src0_sel:DWORD src1_sel:WORD_1
	v_bfe_u32 v14, v19, 19, 4
	v_sub_u32_e32 v16, 29, v16
	v_and_b32_e32 v17, 7, v17
	v_cmp_eq_u16_e32 vcc, 0, v13
	v_cndmask_b32_e32 v12, v12, v17, vcc
	v_cndmask_b32_e32 v13, v14, v16, vcc
	v_lshlrev_b32_e32 v14, 8, v19
	v_mov_b32_e32 v16, 0x3b800000
	v_lshlrev_b32_e32 v12, 20, v12
	v_and_b32_e32 v14, 0x80000000, v14
	v_lshl_add_u32 v13, v13, 23, v16
	v_or3_b32 v12, v14, v13, v12
.LBB1_2548:
	s_or_b64 exec, exec, s[6:7]
	s_movk_i32 s4, 0xff
	v_and_b32_sdwa v13, v15, s4 dst_sel:DWORD dst_unused:UNUSED_PAD src0_sel:WORD_1 src1_sel:DWORD
	s_movk_i32 s4, 0x7f
	v_cmp_lt_i16_e32 vcc, s4, v13
	s_mov_b64 s[4:5], 0
                                        ; implicit-def: $sgpr10
	s_and_saveexec_b64 s[6:7], vcc
	s_xor_b64 s[6:7], exec, s[6:7]
	s_cbranch_execz .LBB1_2549
; %bb.16391:
	s_getpc_b64 s[14:15]
.Lpost_getpc4099:
	s_add_u32 s14, s14, (.LBB1_6645-.Lpost_getpc4099)&4294967295
	s_addc_u32 s15, s15, (.LBB1_6645-.Lpost_getpc4099)>>32
	s_setpc_b64 s[14:15]
.LBB1_2549:
	s_or_saveexec_b64 s[6:7], s[6:7]
	v_mov_b32_e32 v14, s10
	s_xor_b64 exec, exec, s[6:7]
	s_cbranch_execz .LBB1_2550
; %bb.16393:
	s_getpc_b64 s[14:15]
.Lpost_getpc4100:
	s_add_u32 s14, s14, (.LBB1_6648-.Lpost_getpc4100)&4294967295
	s_addc_u32 s15, s15, (.LBB1_6648-.Lpost_getpc4100)>>32
	s_setpc_b64 s[14:15]
.LBB1_2550:
	s_or_b64 exec, exec, s[6:7]
	s_and_saveexec_b64 s[6:7], s[4:5]
	s_cbranch_execz .LBB1_2552
.LBB1_2551:
	v_bfe_u32 v13, v15, 16, 2
	v_ffbh_u32_e32 v17, v13
	v_min_u32_e32 v17, 32, v17
	v_lshrrev_b32_e32 v14, 18, v15
	v_subrev_u32_e32 v18, 29, v17
	v_and_b32_e32 v14, 31, v14
	v_lshlrev_b32_sdwa v18, v18, v15 dst_sel:DWORD dst_unused:UNUSED_PAD src0_sel:DWORD src1_sel:WORD_1
	v_bfe_u32 v16, v15, 18, 5
	v_sub_u32_e32 v17, 30, v17
	v_and_b32_e32 v18, 3, v18
	v_cmp_eq_u16_e32 vcc, 0, v14
	v_cndmask_b32_e32 v13, v13, v18, vcc
	v_cndmask_b32_e32 v14, v16, v17, vcc
	v_lshlrev_b32_e32 v16, 8, v15
	v_mov_b32_e32 v17, 0x37800000
	v_lshlrev_b32_e32 v13, 21, v13
	v_and_b32_e32 v16, 0x80000000, v16
	v_lshl_add_u32 v14, v14, 23, v17
	v_or3_b32 v14, v16, v14, v13
.LBB1_2552:
	s_or_b64 exec, exec, s[6:7]
	s_nop 0
	v_mfma_f32_16x16x4f32 a[0:3], v12, v14, a[0:3]
	s_movk_i32 s4, 0x7f
	v_cmp_gt_i16_sdwa s[6:7], v19, s4 src0_sel:BYTE_3 src1_sel:DWORD
	s_mov_b64 s[4:5], 0
                                        ; implicit-def: $sgpr10
	s_and_saveexec_b64 s[8:9], s[6:7]
	s_xor_b64 s[6:7], exec, s[8:9]
	s_cbranch_execz .LBB1_2553
; %bb.16395:
	s_getpc_b64 s[14:15]
.Lpost_getpc4101:
	s_add_u32 s14, s14, (.LBB1_6649-.Lpost_getpc4101)&4294967295
	s_addc_u32 s15, s15, (.LBB1_6649-.Lpost_getpc4101)>>32
	s_setpc_b64 s[14:15]
.LBB1_2553:
	s_or_saveexec_b64 s[6:7], s[6:7]
	v_mov_b32_e32 v12, s10
	s_xor_b64 exec, exec, s[6:7]
	s_cbranch_execz .LBB1_2554
; %bb.16397:
	s_getpc_b64 s[14:15]
.Lpost_getpc4102:
	s_add_u32 s14, s14, (.LBB1_6652-.Lpost_getpc4102)&4294967295
	s_addc_u32 s15, s15, (.LBB1_6652-.Lpost_getpc4102)>>32
	s_setpc_b64 s[14:15]
.LBB1_2554:
	s_or_b64 exec, exec, s[6:7]
	s_and_saveexec_b64 s[6:7], s[4:5]
	s_cbranch_execz .LBB1_2556
.LBB1_2555:
	v_bfe_u32 v12, v19, 24, 3
	v_ffbh_u32_e32 v17, v12
	v_min_u32_e32 v17, 32, v17
	v_lshrrev_b32_e32 v14, 27, v19
	v_subrev_u32_e32 v18, 28, v17
	v_and_b32_e32 v14, 15, v14
	v_lshlrev_b32_sdwa v18, v18, v19 dst_sel:DWORD dst_unused:UNUSED_PAD src0_sel:DWORD src1_sel:BYTE_3
	v_bfe_u32 v16, v19, 27, 4
	v_sub_u32_e32 v17, 29, v17
	v_and_b32_e32 v18, 7, v18
	v_cmp_eq_u16_e32 vcc, 0, v14
	v_cndmask_b32_e32 v12, v12, v18, vcc
	v_cndmask_b32_e32 v14, v16, v17, vcc
	v_mov_b32_e32 v16, 0x3b800000
	v_and_b32_e32 v13, 0x80000000, v19
	v_lshlrev_b32_e32 v12, 20, v12
	v_lshl_add_u32 v14, v14, 23, v16
	v_or3_b32 v12, v13, v14, v12
.LBB1_2556:
	s_or_b64 exec, exec, s[6:7]
	s_movk_i32 s4, 0x7f
	v_cmp_gt_i16_sdwa s[6:7], v15, s4 src0_sel:BYTE_3 src1_sel:DWORD
	s_mov_b64 s[4:5], 0
                                        ; implicit-def: $sgpr10
	s_and_saveexec_b64 s[8:9], s[6:7]
	s_xor_b64 s[6:7], exec, s[8:9]
	s_cbranch_execz .LBB1_2557
; %bb.16399:
	s_getpc_b64 s[14:15]
.Lpost_getpc4103:
	s_add_u32 s14, s14, (.LBB1_6653-.Lpost_getpc4103)&4294967295
	s_addc_u32 s15, s15, (.LBB1_6653-.Lpost_getpc4103)>>32
	s_setpc_b64 s[14:15]
.LBB1_2557:
	s_or_saveexec_b64 s[6:7], s[6:7]
	v_mov_b32_e32 v13, s10
	s_xor_b64 exec, exec, s[6:7]
	s_cbranch_execz .LBB1_2558
; %bb.16401:
	s_getpc_b64 s[14:15]
.Lpost_getpc4104:
	s_add_u32 s14, s14, (.LBB1_6656-.Lpost_getpc4104)&4294967295
	s_addc_u32 s15, s15, (.LBB1_6656-.Lpost_getpc4104)>>32
	s_setpc_b64 s[14:15]
.LBB1_2558:
	s_or_b64 exec, exec, s[6:7]
	s_and_saveexec_b64 s[6:7], s[4:5]
	s_cbranch_execz .LBB1_2560
.LBB1_2559:
	v_bfe_u32 v13, v15, 24, 2
	v_ffbh_u32_e32 v18, v13
	v_min_u32_e32 v18, 32, v18
	v_lshrrev_b32_e32 v16, 26, v15
	v_subrev_u32_e32 v19, 29, v18
	v_and_b32_e32 v14, 0x80000000, v15
	v_and_b32_e32 v16, 31, v16
	v_bfe_u32 v17, v15, 26, 5
	v_lshlrev_b32_sdwa v15, v19, v15 dst_sel:DWORD dst_unused:UNUSED_PAD src0_sel:DWORD src1_sel:BYTE_3
	v_sub_u32_e32 v18, 30, v18
	v_and_b32_e32 v15, 3, v15
	v_cmp_eq_u16_e32 vcc, 0, v16
	v_cndmask_b32_e32 v13, v13, v15, vcc
	v_cndmask_b32_e32 v15, v17, v18, vcc
	v_mov_b32_e32 v16, 0x37800000
	v_lshlrev_b32_e32 v13, 21, v13
	v_lshl_add_u32 v15, v15, 23, v16
	v_or3_b32 v13, v14, v15, v13
.LBB1_2560:
	s_or_b64 exec, exec, s[6:7]
	s_nop 0
	v_mfma_f32_16x16x4f32 a[0:3], v12, v13, a[0:3]
	v_mov_b32_e32 v16, 8
	s_movk_i32 s4, 0x7f
                                        ; implicit-def: $sgpr10
	s_nop 7
	s_nop 0
	flat_store_dwordx4 v[10:11], a[0:3] offset:304
	flat_load_dword v14, v[0:1] offset:512
	flat_load_dwordx2 v[12:13], v[2:3]
	s_waitcnt vmcnt(0) lgkmcnt(0)
	v_ashrrev_i32_e32 v15, 31, v14
	v_add_co_u32_e32 v12, vcc, v12, v14
	v_addc_co_u32_e32 v13, vcc, v13, v15, vcc
	flat_load_dwordx4 v[12:15], v[12:13] offset:2560
	s_waitcnt vmcnt(0) lgkmcnt(0)
	flat_store_dwordx4 v[4:5], v[12:15]
	flat_load_dword v14, v[0:1] offset:544
	s_nop 0
	flat_load_dwordx2 v[12:13], v[6:7]
	s_waitcnt vmcnt(0) lgkmcnt(0)
	v_ashrrev_i32_e32 v15, 31, v14
	v_add_co_u32_e32 v12, vcc, v12, v14
	v_addc_co_u32_e32 v13, vcc, v13, v15, vcc
	flat_load_dwordx4 v[12:15], v[12:13]
	s_waitcnt vmcnt(0) lgkmcnt(0)
	v_lshrrev_b32_sdwa v20, v16, v14 dst_sel:BYTE_1 dst_unused:UNUSED_PAD src0_sel:DWORD src1_sel:DWORD
	flat_store_dwordx4 v[8:9], v[12:15]
	flat_load_dwordx4 v[16:19], v[4:5]
	s_waitcnt vmcnt(0) lgkmcnt(0)
	v_cmp_gt_i16_sdwa s[6:7], v16, s4 src0_sel:BYTE_0 src1_sel:DWORD
	s_mov_b64 s[4:5], 0
	s_and_saveexec_b64 s[8:9], s[6:7]
	s_xor_b64 s[6:7], exec, s[8:9]
	s_cbranch_execz .LBB1_2561
; %bb.16403:
	s_getpc_b64 s[14:15]
.Lpost_getpc4105:
	s_add_u32 s14, s14, (.LBB1_6657-.Lpost_getpc4105)&4294967295
	s_addc_u32 s15, s15, (.LBB1_6657-.Lpost_getpc4105)>>32
	s_setpc_b64 s[14:15]
.LBB1_2561:
	s_or_saveexec_b64 s[6:7], s[6:7]
	v_mov_b32_e32 v21, s10
	s_xor_b64 exec, exec, s[6:7]
	s_cbranch_execz .LBB1_2562
; %bb.16405:
	s_getpc_b64 s[14:15]
.Lpost_getpc4106:
	s_add_u32 s14, s14, (.LBB1_6660-.Lpost_getpc4106)&4294967295
	s_addc_u32 s15, s15, (.LBB1_6660-.Lpost_getpc4106)>>32
	s_setpc_b64 s[14:15]
.LBB1_2562:
	s_or_b64 exec, exec, s[6:7]
	s_and_saveexec_b64 s[6:7], s[4:5]
	s_cbranch_execz .LBB1_2564
.LBB1_2563:
	v_and_b32_e32 v21, 7, v16
	v_ffbh_u32_e32 v23, v21
	v_min_u32_e32 v23, 32, v23
	v_lshrrev_b16_e32 v22, 3, v16
	v_subrev_u32_e32 v24, 28, v23
	v_and_b32_e32 v22, 15, v22
	v_lshlrev_b32_e32 v24, v24, v16
	v_sub_u32_e32 v23, 29, v23
	v_and_b32_e32 v24, 7, v24
	v_cmp_eq_u16_e32 vcc, 0, v22
	v_cndmask_b32_e32 v21, v21, v24, vcc
	v_cndmask_b32_e32 v22, v22, v23, vcc
	v_lshlrev_b32_e32 v23, 24, v16
	v_mov_b32_e32 v24, 0x3b800000
	v_lshlrev_b32_e32 v21, 20, v21
	v_and_b32_e32 v23, 0x80000000, v23
	v_lshl_add_u32 v22, v22, 23, v24
	v_or3_b32 v21, v23, v22, v21
.LBB1_2564:
	s_or_b64 exec, exec, s[6:7]
	s_movk_i32 s4, 0x7f
	v_cmp_gt_i16_sdwa s[6:7], v12, s4 src0_sel:BYTE_0 src1_sel:DWORD
	s_mov_b64 s[4:5], 0
                                        ; implicit-def: $sgpr10
	s_and_saveexec_b64 s[8:9], s[6:7]
	s_xor_b64 s[6:7], exec, s[8:9]
	s_cbranch_execz .LBB1_2565
; %bb.16407:
	s_getpc_b64 s[14:15]
.Lpost_getpc4107:
	s_add_u32 s14, s14, (.LBB1_6661-.Lpost_getpc4107)&4294967295
	s_addc_u32 s15, s15, (.LBB1_6661-.Lpost_getpc4107)>>32
	s_setpc_b64 s[14:15]
.LBB1_2565:
	s_or_saveexec_b64 s[6:7], s[6:7]
	v_mov_b32_e32 v22, s10
	s_xor_b64 exec, exec, s[6:7]
	s_cbranch_execz .LBB1_2566
; %bb.16409:
	s_getpc_b64 s[14:15]
.Lpost_getpc4108:
	s_add_u32 s14, s14, (.LBB1_6664-.Lpost_getpc4108)&4294967295
	s_addc_u32 s15, s15, (.LBB1_6664-.Lpost_getpc4108)>>32
	s_setpc_b64 s[14:15]
.LBB1_2566:
	s_or_b64 exec, exec, s[6:7]
	s_and_saveexec_b64 s[6:7], s[4:5]
	s_cbranch_execz .LBB1_2568
.LBB1_2567:
	v_and_b32_e32 v22, 3, v12
	v_ffbh_u32_e32 v24, v22
	v_min_u32_e32 v24, 32, v24
	v_lshrrev_b16_e32 v23, 2, v12
	v_subrev_u32_e32 v25, 29, v24
	v_and_b32_e32 v23, 31, v23
	v_lshlrev_b32_e32 v25, v25, v12
	v_sub_u32_e32 v24, 30, v24
	v_and_b32_e32 v25, 3, v25
	v_cmp_eq_u16_e32 vcc, 0, v23
	v_cndmask_b32_e32 v22, v22, v25, vcc
	v_cndmask_b32_e32 v23, v23, v24, vcc
	v_lshlrev_b32_e32 v24, 24, v12
	v_mov_b32_e32 v25, 0x37800000
	v_lshlrev_b32_e32 v22, 21, v22
	v_and_b32_e32 v24, 0x80000000, v24
	v_lshl_add_u32 v23, v23, 23, v25
	v_or3_b32 v22, v24, v23, v22
.LBB1_2568:
	s_or_b64 exec, exec, s[6:7]
	flat_load_dwordx4 a[0:3], v[10:11] offset:320
	s_movk_i32 s4, 0x7f
                                        ; implicit-def: $sgpr10
	s_waitcnt vmcnt(0) lgkmcnt(0)
	v_mfma_f32_16x16x4f32 a[0:3], v21, v22, a[0:3]
	v_lshrrev_b32_e32 v22, 8, v16
	v_cmp_gt_i16_sdwa s[6:7], v22, s4 src0_sel:BYTE_0 src1_sel:DWORD
	s_mov_b64 s[4:5], 0
	s_and_saveexec_b64 s[8:9], s[6:7]
	s_xor_b64 s[6:7], exec, s[8:9]
	s_cbranch_execz .LBB1_2569
; %bb.16411:
	s_getpc_b64 s[14:15]
.Lpost_getpc4109:
	s_add_u32 s14, s14, (.LBB1_6665-.Lpost_getpc4109)&4294967295
	s_addc_u32 s15, s15, (.LBB1_6665-.Lpost_getpc4109)>>32
	s_setpc_b64 s[14:15]
.LBB1_2569:
	s_or_saveexec_b64 s[6:7], s[6:7]
	v_mov_b32_e32 v21, s10
	s_xor_b64 exec, exec, s[6:7]
	s_cbranch_execz .LBB1_2570
; %bb.16413:
	s_getpc_b64 s[14:15]
.Lpost_getpc4110:
	s_add_u32 s14, s14, (.LBB1_6668-.Lpost_getpc4110)&4294967295
	s_addc_u32 s15, s15, (.LBB1_6668-.Lpost_getpc4110)>>32
	s_setpc_b64 s[14:15]
.LBB1_2570:
	s_or_b64 exec, exec, s[6:7]
	s_and_saveexec_b64 s[6:7], s[4:5]
	s_cbranch_execz .LBB1_2572
.LBB1_2571:
	v_bfe_u32 v21, v16, 8, 3
	v_ffbh_u32_e32 v24, v21
	v_min_u32_e32 v24, 32, v24
	v_lshrrev_b16_e32 v23, 3, v22
	v_subrev_u32_e32 v25, 28, v24
	v_and_b32_e32 v23, 15, v23
	v_lshlrev_b32_e32 v22, v25, v22
	v_sub_u32_e32 v24, 29, v24
	v_and_b32_e32 v22, 7, v22
	v_cmp_eq_u16_e32 vcc, 0, v23
	v_cndmask_b32_e32 v21, v21, v22, vcc
	v_cndmask_b32_e32 v22, v23, v24, vcc
	v_lshlrev_b32_e32 v23, 16, v16
	v_mov_b32_e32 v24, 0x3b800000
	v_lshlrev_b32_e32 v21, 20, v21
	v_and_b32_e32 v23, 0x80000000, v23
	v_lshl_add_u32 v22, v22, 23, v24
	v_or3_b32 v21, v23, v22, v21
.LBB1_2572:
	s_or_b64 exec, exec, s[6:7]
	v_lshrrev_b32_e32 v22, 8, v12
	s_movk_i32 s4, 0x7f
	v_cmp_gt_i16_sdwa s[6:7], v22, s4 src0_sel:BYTE_0 src1_sel:DWORD
	s_mov_b64 s[4:5], 0
                                        ; implicit-def: $sgpr10
	s_and_saveexec_b64 s[8:9], s[6:7]
	s_xor_b64 s[6:7], exec, s[8:9]
	s_cbranch_execz .LBB1_2573
; %bb.16415:
	s_getpc_b64 s[14:15]
.Lpost_getpc4111:
	s_add_u32 s14, s14, (.LBB1_6669-.Lpost_getpc4111)&4294967295
	s_addc_u32 s15, s15, (.LBB1_6669-.Lpost_getpc4111)>>32
	s_setpc_b64 s[14:15]
.LBB1_2573:
	s_or_saveexec_b64 s[6:7], s[6:7]
	v_mov_b32_e32 v23, s10
	s_xor_b64 exec, exec, s[6:7]
	s_cbranch_execz .LBB1_2574
; %bb.16417:
	s_getpc_b64 s[14:15]
.Lpost_getpc4112:
	s_add_u32 s14, s14, (.LBB1_6672-.Lpost_getpc4112)&4294967295
	s_addc_u32 s15, s15, (.LBB1_6672-.Lpost_getpc4112)>>32
	s_setpc_b64 s[14:15]
.LBB1_2574:
	s_or_b64 exec, exec, s[6:7]
	s_and_saveexec_b64 s[6:7], s[4:5]
	s_cbranch_execz .LBB1_2576
.LBB1_2575:
	v_bfe_u32 v23, v12, 8, 2
	v_ffbh_u32_e32 v25, v23
	v_min_u32_e32 v25, 32, v25
	v_lshrrev_b16_e32 v24, 2, v22
	v_subrev_u32_e32 v26, 29, v25
	v_and_b32_e32 v24, 31, v24
	v_lshlrev_b32_e32 v22, v26, v22
	v_sub_u32_e32 v25, 30, v25
	v_and_b32_e32 v22, 3, v22
	v_cmp_eq_u16_e32 vcc, 0, v24
	v_cndmask_b32_e32 v22, v23, v22, vcc
	v_cndmask_b32_e32 v23, v24, v25, vcc
	v_lshlrev_b32_e32 v24, 16, v12
	v_mov_b32_e32 v25, 0x37800000
	v_lshlrev_b32_e32 v22, 21, v22
	v_and_b32_e32 v24, 0x80000000, v24
	v_lshl_add_u32 v23, v23, 23, v25
	v_or3_b32 v23, v24, v23, v22
.LBB1_2576:
	s_or_b64 exec, exec, s[6:7]
	s_nop 0
	v_mfma_f32_16x16x4f32 a[0:3], v21, v23, a[0:3]
	s_movk_i32 s4, 0xff
	v_and_b32_sdwa v22, v16, s4 dst_sel:DWORD dst_unused:UNUSED_PAD src0_sel:WORD_1 src1_sel:DWORD
	s_movk_i32 s4, 0x7f
	v_cmp_lt_i16_e32 vcc, s4, v22
	s_mov_b64 s[4:5], 0
                                        ; implicit-def: $sgpr10
	s_and_saveexec_b64 s[6:7], vcc
	s_xor_b64 s[6:7], exec, s[6:7]
	s_cbranch_execz .LBB1_2577
; %bb.16419:
	s_getpc_b64 s[14:15]
.Lpost_getpc4113:
	s_add_u32 s14, s14, (.LBB1_6673-.Lpost_getpc4113)&4294967295
	s_addc_u32 s15, s15, (.LBB1_6673-.Lpost_getpc4113)>>32
	s_setpc_b64 s[14:15]
.LBB1_2577:
	s_or_saveexec_b64 s[6:7], s[6:7]
	v_mov_b32_e32 v21, s10
	s_xor_b64 exec, exec, s[6:7]
	s_cbranch_execz .LBB1_2578
; %bb.16421:
	s_getpc_b64 s[14:15]
.Lpost_getpc4114:
	s_add_u32 s14, s14, (.LBB1_6676-.Lpost_getpc4114)&4294967295
	s_addc_u32 s15, s15, (.LBB1_6676-.Lpost_getpc4114)>>32
	s_setpc_b64 s[14:15]
.LBB1_2578:
	s_or_b64 exec, exec, s[6:7]
	s_and_saveexec_b64 s[6:7], s[4:5]
	s_cbranch_execz .LBB1_2580
.LBB1_2579:
	v_bfe_u32 v21, v16, 16, 3
	v_ffbh_u32_e32 v24, v21
	v_min_u32_e32 v24, 32, v24
	v_lshrrev_b32_e32 v22, 19, v16
	v_subrev_u32_e32 v25, 28, v24
	v_and_b32_e32 v22, 15, v22
	v_lshlrev_b32_sdwa v25, v25, v16 dst_sel:DWORD dst_unused:UNUSED_PAD src0_sel:DWORD src1_sel:WORD_1
	v_bfe_u32 v23, v16, 19, 4
	v_sub_u32_e32 v24, 29, v24
	v_and_b32_e32 v25, 7, v25
	v_cmp_eq_u16_e32 vcc, 0, v22
	v_cndmask_b32_e32 v21, v21, v25, vcc
	v_cndmask_b32_e32 v22, v23, v24, vcc
	v_lshlrev_b32_e32 v23, 8, v16
	v_mov_b32_e32 v24, 0x3b800000
	v_lshlrev_b32_e32 v21, 20, v21
	v_and_b32_e32 v23, 0x80000000, v23
	v_lshl_add_u32 v22, v22, 23, v24
	v_or3_b32 v21, v23, v22, v21
.LBB1_2580:
	s_or_b64 exec, exec, s[6:7]
	s_movk_i32 s4, 0xff
	v_and_b32_sdwa v22, v12, s4 dst_sel:DWORD dst_unused:UNUSED_PAD src0_sel:WORD_1 src1_sel:DWORD
	s_movk_i32 s4, 0x7f
	v_cmp_lt_i16_e32 vcc, s4, v22
	s_mov_b64 s[4:5], 0
                                        ; implicit-def: $sgpr10
	s_and_saveexec_b64 s[6:7], vcc
	s_xor_b64 s[6:7], exec, s[6:7]
	s_cbranch_execz .LBB1_2581
; %bb.16423:
	s_getpc_b64 s[14:15]
.Lpost_getpc4115:
	s_add_u32 s14, s14, (.LBB1_6677-.Lpost_getpc4115)&4294967295
	s_addc_u32 s15, s15, (.LBB1_6677-.Lpost_getpc4115)>>32
	s_setpc_b64 s[14:15]
.LBB1_2581:
	s_or_saveexec_b64 s[6:7], s[6:7]
	v_mov_b32_e32 v23, s10
	s_xor_b64 exec, exec, s[6:7]
	s_cbranch_execz .LBB1_2582
; %bb.16425:
	s_getpc_b64 s[14:15]
.Lpost_getpc4116:
	s_add_u32 s14, s14, (.LBB1_6680-.Lpost_getpc4116)&4294967295
	s_addc_u32 s15, s15, (.LBB1_6680-.Lpost_getpc4116)>>32
	s_setpc_b64 s[14:15]
.LBB1_2582:
	s_or_b64 exec, exec, s[6:7]
	s_and_saveexec_b64 s[6:7], s[4:5]
	s_cbranch_execz .LBB1_2584
.LBB1_2583:
	v_bfe_u32 v22, v12, 16, 2
	v_ffbh_u32_e32 v25, v22
	v_min_u32_e32 v25, 32, v25
	v_lshrrev_b32_e32 v23, 18, v12
	v_subrev_u32_e32 v26, 29, v25
	v_and_b32_e32 v23, 31, v23
	v_lshlrev_b32_sdwa v26, v26, v12 dst_sel:DWORD dst_unused:UNUSED_PAD src0_sel:DWORD src1_sel:WORD_1
	v_bfe_u32 v24, v12, 18, 5
	v_sub_u32_e32 v25, 30, v25
	v_and_b32_e32 v26, 3, v26
	v_cmp_eq_u16_e32 vcc, 0, v23
	v_cndmask_b32_e32 v22, v22, v26, vcc
	v_cndmask_b32_e32 v23, v24, v25, vcc
	v_lshlrev_b32_e32 v24, 8, v12
	v_mov_b32_e32 v25, 0x37800000
	v_lshlrev_b32_e32 v22, 21, v22
	v_and_b32_e32 v24, 0x80000000, v24
	v_lshl_add_u32 v23, v23, 23, v25
	v_or3_b32 v23, v24, v23, v22
.LBB1_2584:
	s_or_b64 exec, exec, s[6:7]
	s_nop 0
	v_mfma_f32_16x16x4f32 a[0:3], v21, v23, a[0:3]
	s_movk_i32 s4, 0x7f
	v_cmp_gt_i16_sdwa s[6:7], v16, s4 src0_sel:BYTE_3 src1_sel:DWORD
	s_mov_b64 s[4:5], 0
                                        ; implicit-def: $sgpr10
	s_and_saveexec_b64 s[8:9], s[6:7]
	s_xor_b64 s[6:7], exec, s[8:9]
	s_cbranch_execz .LBB1_2585
; %bb.16427:
	s_getpc_b64 s[14:15]
.Lpost_getpc4117:
	s_add_u32 s14, s14, (.LBB1_6681-.Lpost_getpc4117)&4294967295
	s_addc_u32 s15, s15, (.LBB1_6681-.Lpost_getpc4117)>>32
	s_setpc_b64 s[14:15]
.LBB1_2585:
	s_or_saveexec_b64 s[6:7], s[6:7]
	v_mov_b32_e32 v21, s10
	s_xor_b64 exec, exec, s[6:7]
	s_cbranch_execz .LBB1_2586
; %bb.16429:
	s_getpc_b64 s[14:15]
.Lpost_getpc4118:
	s_add_u32 s14, s14, (.LBB1_6684-.Lpost_getpc4118)&4294967295
	s_addc_u32 s15, s15, (.LBB1_6684-.Lpost_getpc4118)>>32
	s_setpc_b64 s[14:15]
.LBB1_2586:
	s_or_b64 exec, exec, s[6:7]
	s_and_saveexec_b64 s[6:7], s[4:5]
	s_cbranch_execz .LBB1_2588
.LBB1_2587:
	v_bfe_u32 v21, v16, 24, 3
	v_ffbh_u32_e32 v25, v21
	v_min_u32_e32 v25, 32, v25
	v_lshrrev_b32_e32 v23, 27, v16
	v_subrev_u32_e32 v26, 28, v25
	v_and_b32_e32 v22, 0x80000000, v16
	v_and_b32_e32 v23, 15, v23
	v_bfe_u32 v24, v16, 27, 4
	v_lshlrev_b32_sdwa v16, v26, v16 dst_sel:DWORD dst_unused:UNUSED_PAD src0_sel:DWORD src1_sel:BYTE_3
	v_sub_u32_e32 v25, 29, v25
	v_and_b32_e32 v16, 7, v16
	v_cmp_eq_u16_e32 vcc, 0, v23
	v_cndmask_b32_e32 v16, v21, v16, vcc
	v_cndmask_b32_e32 v21, v24, v25, vcc
	v_mov_b32_e32 v23, 0x3b800000
	v_lshlrev_b32_e32 v16, 20, v16
	v_lshl_add_u32 v21, v21, 23, v23
	v_or3_b32 v21, v22, v21, v16
.LBB1_2588:
	s_or_b64 exec, exec, s[6:7]
	s_movk_i32 s4, 0x7f
	v_cmp_gt_i16_sdwa s[6:7], v12, s4 src0_sel:BYTE_3 src1_sel:DWORD
	s_mov_b64 s[4:5], 0
                                        ; implicit-def: $sgpr10
	s_and_saveexec_b64 s[8:9], s[6:7]
	s_xor_b64 s[6:7], exec, s[8:9]
	s_cbranch_execz .LBB1_2589
; %bb.16431:
	s_getpc_b64 s[14:15]
.Lpost_getpc4119:
	s_add_u32 s14, s14, (.LBB1_6685-.Lpost_getpc4119)&4294967295
	s_addc_u32 s15, s15, (.LBB1_6685-.Lpost_getpc4119)>>32
	s_setpc_b64 s[14:15]
.LBB1_2589:
	s_or_saveexec_b64 s[6:7], s[6:7]
	v_mov_b32_e32 v16, s10
	s_xor_b64 exec, exec, s[6:7]
	s_cbranch_execz .LBB1_2590
; %bb.16433:
	s_getpc_b64 s[14:15]
.Lpost_getpc4120:
	s_add_u32 s14, s14, (.LBB1_6688-.Lpost_getpc4120)&4294967295
	s_addc_u32 s15, s15, (.LBB1_6688-.Lpost_getpc4120)>>32
	s_setpc_b64 s[14:15]
.LBB1_2590:
	s_or_b64 exec, exec, s[6:7]
	s_and_saveexec_b64 s[6:7], s[4:5]
	s_cbranch_execz .LBB1_2592
.LBB1_2591:
	v_bfe_u32 v16, v12, 24, 2
	v_ffbh_u32_e32 v25, v16
	v_min_u32_e32 v25, 32, v25
	v_lshrrev_b32_e32 v23, 26, v12
	v_subrev_u32_e32 v26, 29, v25
	v_and_b32_e32 v22, 0x80000000, v12
	v_and_b32_e32 v23, 31, v23
	v_bfe_u32 v24, v12, 26, 5
	v_lshlrev_b32_sdwa v12, v26, v12 dst_sel:DWORD dst_unused:UNUSED_PAD src0_sel:DWORD src1_sel:BYTE_3
	v_sub_u32_e32 v25, 30, v25
	v_and_b32_e32 v12, 3, v12
	v_cmp_eq_u16_e32 vcc, 0, v23
	v_cndmask_b32_e32 v12, v16, v12, vcc
	v_cndmask_b32_e32 v16, v24, v25, vcc
	v_mov_b32_e32 v23, 0x37800000
	v_lshlrev_b32_e32 v12, 21, v12
	v_lshl_add_u32 v16, v16, 23, v23
	v_or3_b32 v16, v22, v16, v12
.LBB1_2592:
	s_or_b64 exec, exec, s[6:7]
	s_nop 0
	v_mfma_f32_16x16x4f32 a[0:3], v21, v16, a[0:3]
	s_movk_i32 s4, 0x7f
	v_cmp_gt_i16_sdwa s[6:7], v17, s4 src0_sel:BYTE_0 src1_sel:DWORD
	s_mov_b64 s[4:5], 0
                                        ; implicit-def: $sgpr10
	s_and_saveexec_b64 s[8:9], s[6:7]
	s_xor_b64 s[6:7], exec, s[8:9]
	s_cbranch_execz .LBB1_2593
; %bb.16435:
	s_getpc_b64 s[14:15]
.Lpost_getpc4121:
	s_add_u32 s14, s14, (.LBB1_6689-.Lpost_getpc4121)&4294967295
	s_addc_u32 s15, s15, (.LBB1_6689-.Lpost_getpc4121)>>32
	s_setpc_b64 s[14:15]
.LBB1_2593:
	s_or_saveexec_b64 s[6:7], s[6:7]
	v_mov_b32_e32 v12, s10
	s_xor_b64 exec, exec, s[6:7]
	s_cbranch_execz .LBB1_2594
; %bb.16437:
	s_getpc_b64 s[14:15]
.Lpost_getpc4122:
	s_add_u32 s14, s14, (.LBB1_6692-.Lpost_getpc4122)&4294967295
	s_addc_u32 s15, s15, (.LBB1_6692-.Lpost_getpc4122)>>32
	s_setpc_b64 s[14:15]
.LBB1_2594:
	s_or_b64 exec, exec, s[6:7]
	s_and_saveexec_b64 s[6:7], s[4:5]
	s_cbranch_execz .LBB1_2596
.LBB1_2595:
	v_and_b32_e32 v12, 7, v17
	v_ffbh_u32_e32 v21, v12
	v_min_u32_e32 v21, 32, v21
	v_lshrrev_b16_e32 v16, 3, v17
	v_subrev_u32_e32 v22, 28, v21
	v_and_b32_e32 v16, 15, v16
	v_lshlrev_b32_e32 v22, v22, v17
	v_sub_u32_e32 v21, 29, v21
	v_and_b32_e32 v22, 7, v22
	v_cmp_eq_u16_e32 vcc, 0, v16
	v_cndmask_b32_e32 v12, v12, v22, vcc
	v_cndmask_b32_e32 v16, v16, v21, vcc
	v_lshlrev_b32_e32 v21, 24, v17
	v_mov_b32_e32 v22, 0x3b800000
	v_lshlrev_b32_e32 v12, 20, v12
	v_and_b32_e32 v21, 0x80000000, v21
	v_lshl_add_u32 v16, v16, 23, v22
	v_or3_b32 v12, v21, v16, v12
.LBB1_2596:
	s_or_b64 exec, exec, s[6:7]
	s_movk_i32 s4, 0x7f
	v_cmp_gt_i16_sdwa s[6:7], v13, s4 src0_sel:BYTE_0 src1_sel:DWORD
	s_mov_b64 s[4:5], 0
                                        ; implicit-def: $sgpr10
	s_and_saveexec_b64 s[8:9], s[6:7]
	s_xor_b64 s[6:7], exec, s[8:9]
	s_cbranch_execz .LBB1_2597
; %bb.16439:
	s_getpc_b64 s[14:15]
.Lpost_getpc4123:
	s_add_u32 s14, s14, (.LBB1_6693-.Lpost_getpc4123)&4294967295
	s_addc_u32 s15, s15, (.LBB1_6693-.Lpost_getpc4123)>>32
	s_setpc_b64 s[14:15]
.LBB1_2597:
	s_or_saveexec_b64 s[6:7], s[6:7]
	v_mov_b32_e32 v16, s10
	s_xor_b64 exec, exec, s[6:7]
	s_cbranch_execz .LBB1_2598
; %bb.16441:
	s_getpc_b64 s[14:15]
.Lpost_getpc4124:
	s_add_u32 s14, s14, (.LBB1_6696-.Lpost_getpc4124)&4294967295
	s_addc_u32 s15, s15, (.LBB1_6696-.Lpost_getpc4124)>>32
	s_setpc_b64 s[14:15]
.LBB1_2598:
	s_or_b64 exec, exec, s[6:7]
	s_and_saveexec_b64 s[6:7], s[4:5]
	s_cbranch_execz .LBB1_2600
.LBB1_2599:
	v_and_b32_e32 v16, 3, v13
	v_ffbh_u32_e32 v22, v16
	v_min_u32_e32 v22, 32, v22
	v_lshrrev_b16_e32 v21, 2, v13
	v_subrev_u32_e32 v23, 29, v22
	v_and_b32_e32 v21, 31, v21
	v_lshlrev_b32_e32 v23, v23, v13
	v_sub_u32_e32 v22, 30, v22
	v_and_b32_e32 v23, 3, v23
	v_cmp_eq_u16_e32 vcc, 0, v21
	v_cndmask_b32_e32 v16, v16, v23, vcc
	v_cndmask_b32_e32 v21, v21, v22, vcc
	v_lshlrev_b32_e32 v22, 24, v13
	v_mov_b32_e32 v23, 0x37800000
	v_lshlrev_b32_e32 v16, 21, v16
	v_and_b32_e32 v22, 0x80000000, v22
	v_lshl_add_u32 v21, v21, 23, v23
	v_or3_b32 v16, v22, v21, v16
.LBB1_2600:
	s_or_b64 exec, exec, s[6:7]
	s_nop 0
	v_mfma_f32_16x16x4f32 a[0:3], v12, v16, a[0:3]
	v_lshrrev_b32_e32 v16, 8, v17
	s_movk_i32 s4, 0x7f
	v_cmp_gt_i16_sdwa s[6:7], v16, s4 src0_sel:BYTE_0 src1_sel:DWORD
	s_mov_b64 s[4:5], 0
                                        ; implicit-def: $sgpr10
	s_and_saveexec_b64 s[8:9], s[6:7]
	s_xor_b64 s[6:7], exec, s[8:9]
	s_cbranch_execz .LBB1_2601
; %bb.16443:
	s_getpc_b64 s[14:15]
.Lpost_getpc4125:
	s_add_u32 s14, s14, (.LBB1_6697-.Lpost_getpc4125)&4294967295
	s_addc_u32 s15, s15, (.LBB1_6697-.Lpost_getpc4125)>>32
	s_setpc_b64 s[14:15]
.LBB1_2601:
	s_or_saveexec_b64 s[6:7], s[6:7]
	v_mov_b32_e32 v12, s10
	s_xor_b64 exec, exec, s[6:7]
	s_cbranch_execz .LBB1_2602
; %bb.16445:
	s_getpc_b64 s[14:15]
.Lpost_getpc4126:
	s_add_u32 s14, s14, (.LBB1_6700-.Lpost_getpc4126)&4294967295
	s_addc_u32 s15, s15, (.LBB1_6700-.Lpost_getpc4126)>>32
	s_setpc_b64 s[14:15]
.LBB1_2602:
	s_or_b64 exec, exec, s[6:7]
	s_and_saveexec_b64 s[6:7], s[4:5]
	s_cbranch_execz .LBB1_2604
.LBB1_2603:
	v_bfe_u32 v12, v17, 8, 3
	v_ffbh_u32_e32 v22, v12
	v_min_u32_e32 v22, 32, v22
	v_lshrrev_b16_e32 v21, 3, v16
	v_subrev_u32_e32 v23, 28, v22
	v_and_b32_e32 v21, 15, v21
	v_lshlrev_b32_e32 v16, v23, v16
	v_sub_u32_e32 v22, 29, v22
	v_and_b32_e32 v16, 7, v16
	v_cmp_eq_u16_e32 vcc, 0, v21
	v_cndmask_b32_e32 v12, v12, v16, vcc
	v_cndmask_b32_e32 v16, v21, v22, vcc
	v_lshlrev_b32_e32 v21, 16, v17
	v_mov_b32_e32 v22, 0x3b800000
	v_lshlrev_b32_e32 v12, 20, v12
	v_and_b32_e32 v21, 0x80000000, v21
	v_lshl_add_u32 v16, v16, 23, v22
	v_or3_b32 v12, v21, v16, v12
.LBB1_2604:
	s_or_b64 exec, exec, s[6:7]
	v_lshrrev_b32_e32 v16, 8, v13
	s_movk_i32 s4, 0x7f
	v_cmp_gt_i16_sdwa s[6:7], v16, s4 src0_sel:BYTE_0 src1_sel:DWORD
	s_mov_b64 s[4:5], 0
                                        ; implicit-def: $sgpr10
	s_and_saveexec_b64 s[8:9], s[6:7]
	s_xor_b64 s[6:7], exec, s[8:9]
	s_cbranch_execz .LBB1_2605
; %bb.16447:
	s_getpc_b64 s[14:15]
.Lpost_getpc4127:
	s_add_u32 s14, s14, (.LBB1_6701-.Lpost_getpc4127)&4294967295
	s_addc_u32 s15, s15, (.LBB1_6701-.Lpost_getpc4127)>>32
	s_setpc_b64 s[14:15]
.LBB1_2605:
	s_or_saveexec_b64 s[6:7], s[6:7]
	v_mov_b32_e32 v21, s10
	s_xor_b64 exec, exec, s[6:7]
	s_cbranch_execz .LBB1_2606
; %bb.16449:
	s_getpc_b64 s[14:15]
.Lpost_getpc4128:
	s_add_u32 s14, s14, (.LBB1_6704-.Lpost_getpc4128)&4294967295
	s_addc_u32 s15, s15, (.LBB1_6704-.Lpost_getpc4128)>>32
	s_setpc_b64 s[14:15]
.LBB1_2606:
	s_or_b64 exec, exec, s[6:7]
	s_and_saveexec_b64 s[6:7], s[4:5]
	s_cbranch_execz .LBB1_2608
.LBB1_2607:
	v_bfe_u32 v21, v13, 8, 2
	v_ffbh_u32_e32 v23, v21
	v_min_u32_e32 v23, 32, v23
	v_lshrrev_b16_e32 v22, 2, v16
	v_subrev_u32_e32 v24, 29, v23
	v_and_b32_e32 v22, 31, v22
	v_lshlrev_b32_e32 v16, v24, v16
	v_sub_u32_e32 v23, 30, v23
	v_and_b32_e32 v16, 3, v16
	v_cmp_eq_u16_e32 vcc, 0, v22
	v_cndmask_b32_e32 v16, v21, v16, vcc
	v_cndmask_b32_e32 v21, v22, v23, vcc
	v_lshlrev_b32_e32 v22, 16, v13
	v_mov_b32_e32 v23, 0x37800000
	v_lshlrev_b32_e32 v16, 21, v16
	v_and_b32_e32 v22, 0x80000000, v22
	v_lshl_add_u32 v21, v21, 23, v23
	v_or3_b32 v21, v22, v21, v16
.LBB1_2608:
	s_or_b64 exec, exec, s[6:7]
	s_nop 0
	v_mfma_f32_16x16x4f32 a[0:3], v12, v21, a[0:3]
	s_movk_i32 s4, 0xff
	v_and_b32_sdwa v16, v17, s4 dst_sel:DWORD dst_unused:UNUSED_PAD src0_sel:WORD_1 src1_sel:DWORD
	s_movk_i32 s4, 0x7f
	v_cmp_lt_i16_e32 vcc, s4, v16
	s_mov_b64 s[4:5], 0
                                        ; implicit-def: $sgpr10
	s_and_saveexec_b64 s[6:7], vcc
	s_xor_b64 s[6:7], exec, s[6:7]
	s_cbranch_execz .LBB1_2609
; %bb.16451:
	s_getpc_b64 s[14:15]
.Lpost_getpc4129:
	s_add_u32 s14, s14, (.LBB1_6705-.Lpost_getpc4129)&4294967295
	s_addc_u32 s15, s15, (.LBB1_6705-.Lpost_getpc4129)>>32
	s_setpc_b64 s[14:15]
.LBB1_2609:
	s_or_saveexec_b64 s[6:7], s[6:7]
	v_mov_b32_e32 v12, s10
	s_xor_b64 exec, exec, s[6:7]
	s_cbranch_execz .LBB1_2610
; %bb.16453:
	s_getpc_b64 s[14:15]
.Lpost_getpc4130:
	s_add_u32 s14, s14, (.LBB1_6708-.Lpost_getpc4130)&4294967295
	s_addc_u32 s15, s15, (.LBB1_6708-.Lpost_getpc4130)>>32
	s_setpc_b64 s[14:15]
.LBB1_2610:
	s_or_b64 exec, exec, s[6:7]
	s_and_saveexec_b64 s[6:7], s[4:5]
	s_cbranch_execz .LBB1_2612
.LBB1_2611:
	v_bfe_u32 v12, v17, 16, 3
	v_ffbh_u32_e32 v22, v12
	v_min_u32_e32 v22, 32, v22
	v_lshrrev_b32_e32 v16, 19, v17
	v_subrev_u32_e32 v23, 28, v22
	v_and_b32_e32 v16, 15, v16
	v_lshlrev_b32_sdwa v23, v23, v17 dst_sel:DWORD dst_unused:UNUSED_PAD src0_sel:DWORD src1_sel:WORD_1
	v_bfe_u32 v21, v17, 19, 4
	v_sub_u32_e32 v22, 29, v22
	v_and_b32_e32 v23, 7, v23
	v_cmp_eq_u16_e32 vcc, 0, v16
	v_cndmask_b32_e32 v12, v12, v23, vcc
	v_cndmask_b32_e32 v16, v21, v22, vcc
	v_lshlrev_b32_e32 v21, 8, v17
	v_mov_b32_e32 v22, 0x3b800000
	v_lshlrev_b32_e32 v12, 20, v12
	v_and_b32_e32 v21, 0x80000000, v21
	v_lshl_add_u32 v16, v16, 23, v22
	v_or3_b32 v12, v21, v16, v12
.LBB1_2612:
	s_or_b64 exec, exec, s[6:7]
	s_movk_i32 s4, 0xff
	v_and_b32_sdwa v16, v13, s4 dst_sel:DWORD dst_unused:UNUSED_PAD src0_sel:WORD_1 src1_sel:DWORD
	s_movk_i32 s4, 0x7f
	v_cmp_lt_i16_e32 vcc, s4, v16
	s_mov_b64 s[4:5], 0
                                        ; implicit-def: $sgpr10
	s_and_saveexec_b64 s[6:7], vcc
	s_xor_b64 s[6:7], exec, s[6:7]
	s_cbranch_execz .LBB1_2613
; %bb.16455:
	s_getpc_b64 s[14:15]
.Lpost_getpc4131:
	s_add_u32 s14, s14, (.LBB1_6709-.Lpost_getpc4131)&4294967295
	s_addc_u32 s15, s15, (.LBB1_6709-.Lpost_getpc4131)>>32
	s_setpc_b64 s[14:15]
.LBB1_2613:
	s_or_saveexec_b64 s[6:7], s[6:7]
	v_mov_b32_e32 v21, s10
	s_xor_b64 exec, exec, s[6:7]
	s_cbranch_execz .LBB1_2614
; %bb.16457:
	s_getpc_b64 s[14:15]
.Lpost_getpc4132:
	s_add_u32 s14, s14, (.LBB1_6712-.Lpost_getpc4132)&4294967295
	s_addc_u32 s15, s15, (.LBB1_6712-.Lpost_getpc4132)>>32
	s_setpc_b64 s[14:15]
.LBB1_2614:
	s_or_b64 exec, exec, s[6:7]
	s_and_saveexec_b64 s[6:7], s[4:5]
	s_cbranch_execz .LBB1_2616
.LBB1_2615:
	v_bfe_u32 v16, v13, 16, 2
	v_ffbh_u32_e32 v23, v16
	v_min_u32_e32 v23, 32, v23
	v_lshrrev_b32_e32 v21, 18, v13
	v_subrev_u32_e32 v24, 29, v23
	v_and_b32_e32 v21, 31, v21
	v_lshlrev_b32_sdwa v24, v24, v13 dst_sel:DWORD dst_unused:UNUSED_PAD src0_sel:DWORD src1_sel:WORD_1
	v_bfe_u32 v22, v13, 18, 5
	v_sub_u32_e32 v23, 30, v23
	v_and_b32_e32 v24, 3, v24
	v_cmp_eq_u16_e32 vcc, 0, v21
	v_cndmask_b32_e32 v16, v16, v24, vcc
	v_cndmask_b32_e32 v21, v22, v23, vcc
	v_lshlrev_b32_e32 v22, 8, v13
	v_mov_b32_e32 v23, 0x37800000
	v_lshlrev_b32_e32 v16, 21, v16
	v_and_b32_e32 v22, 0x80000000, v22
	v_lshl_add_u32 v21, v21, 23, v23
	v_or3_b32 v21, v22, v21, v16
.LBB1_2616:
	s_or_b64 exec, exec, s[6:7]
	s_nop 0
	v_mfma_f32_16x16x4f32 a[0:3], v12, v21, a[0:3]
	s_movk_i32 s4, 0x7f
	v_cmp_gt_i16_sdwa s[6:7], v17, s4 src0_sel:BYTE_3 src1_sel:DWORD
	s_mov_b64 s[4:5], 0
                                        ; implicit-def: $sgpr10
	s_and_saveexec_b64 s[8:9], s[6:7]
	s_xor_b64 s[6:7], exec, s[8:9]
	s_cbranch_execz .LBB1_2617
; %bb.16459:
	s_getpc_b64 s[14:15]
.Lpost_getpc4133:
	s_add_u32 s14, s14, (.LBB1_6713-.Lpost_getpc4133)&4294967295
	s_addc_u32 s15, s15, (.LBB1_6713-.Lpost_getpc4133)>>32
	s_setpc_b64 s[14:15]
.LBB1_2617:
	s_or_saveexec_b64 s[6:7], s[6:7]
	v_mov_b32_e32 v12, s10
	s_xor_b64 exec, exec, s[6:7]
	s_cbranch_execz .LBB1_2618
; %bb.16461:
	s_getpc_b64 s[14:15]
.Lpost_getpc4134:
	s_add_u32 s14, s14, (.LBB1_6716-.Lpost_getpc4134)&4294967295
	s_addc_u32 s15, s15, (.LBB1_6716-.Lpost_getpc4134)>>32
	s_setpc_b64 s[14:15]
.LBB1_2618:
	s_or_b64 exec, exec, s[6:7]
	s_and_saveexec_b64 s[6:7], s[4:5]
	s_cbranch_execz .LBB1_2620
.LBB1_2619:
	v_bfe_u32 v12, v17, 24, 3
	v_ffbh_u32_e32 v23, v12
	v_min_u32_e32 v23, 32, v23
	v_lshrrev_b32_e32 v21, 27, v17
	v_subrev_u32_e32 v24, 28, v23
	v_and_b32_e32 v16, 0x80000000, v17
	v_and_b32_e32 v21, 15, v21
	v_bfe_u32 v22, v17, 27, 4
	v_lshlrev_b32_sdwa v17, v24, v17 dst_sel:DWORD dst_unused:UNUSED_PAD src0_sel:DWORD src1_sel:BYTE_3
	v_sub_u32_e32 v23, 29, v23
	v_and_b32_e32 v17, 7, v17
	v_cmp_eq_u16_e32 vcc, 0, v21
	v_cndmask_b32_e32 v12, v12, v17, vcc
	v_cndmask_b32_e32 v17, v22, v23, vcc
	v_mov_b32_e32 v21, 0x3b800000
	v_lshlrev_b32_e32 v12, 20, v12
	v_lshl_add_u32 v17, v17, 23, v21
	v_or3_b32 v12, v16, v17, v12
.LBB1_2620:
	s_or_b64 exec, exec, s[6:7]
	s_movk_i32 s4, 0x7f
	v_cmp_gt_i16_sdwa s[6:7], v13, s4 src0_sel:BYTE_3 src1_sel:DWORD
	s_mov_b64 s[4:5], 0
                                        ; implicit-def: $sgpr10
	s_and_saveexec_b64 s[8:9], s[6:7]
	s_xor_b64 s[6:7], exec, s[8:9]
	s_cbranch_execz .LBB1_2621
; %bb.16463:
	s_getpc_b64 s[14:15]
.Lpost_getpc4135:
	s_add_u32 s14, s14, (.LBB1_6717-.Lpost_getpc4135)&4294967295
	s_addc_u32 s15, s15, (.LBB1_6717-.Lpost_getpc4135)>>32
	s_setpc_b64 s[14:15]
.LBB1_2621:
	s_or_saveexec_b64 s[6:7], s[6:7]
	v_mov_b32_e32 v16, s10
	s_xor_b64 exec, exec, s[6:7]
	s_cbranch_execz .LBB1_2622
; %bb.16465:
	s_getpc_b64 s[14:15]
.Lpost_getpc4136:
	s_add_u32 s14, s14, (.LBB1_6720-.Lpost_getpc4136)&4294967295
	s_addc_u32 s15, s15, (.LBB1_6720-.Lpost_getpc4136)>>32
	s_setpc_b64 s[14:15]
.LBB1_2622:
	s_or_b64 exec, exec, s[6:7]
	s_and_saveexec_b64 s[6:7], s[4:5]
	s_cbranch_execz .LBB1_2624
.LBB1_2623:
	v_bfe_u32 v16, v13, 24, 2
	v_ffbh_u32_e32 v23, v16
	v_min_u32_e32 v23, 32, v23
	v_lshrrev_b32_e32 v21, 26, v13
	v_subrev_u32_e32 v24, 29, v23
	v_and_b32_e32 v17, 0x80000000, v13
	v_and_b32_e32 v21, 31, v21
	v_bfe_u32 v22, v13, 26, 5
	v_lshlrev_b32_sdwa v13, v24, v13 dst_sel:DWORD dst_unused:UNUSED_PAD src0_sel:DWORD src1_sel:BYTE_3
	v_sub_u32_e32 v23, 30, v23
	v_and_b32_e32 v13, 3, v13
	v_cmp_eq_u16_e32 vcc, 0, v21
	v_cndmask_b32_e32 v13, v16, v13, vcc
	v_cndmask_b32_e32 v16, v22, v23, vcc
	v_mov_b32_e32 v21, 0x37800000
	v_lshlrev_b32_e32 v13, 21, v13
	v_lshl_add_u32 v16, v16, 23, v21
	v_or3_b32 v16, v17, v16, v13
.LBB1_2624:
	s_or_b64 exec, exec, s[6:7]
	s_nop 0
	v_mfma_f32_16x16x4f32 a[0:3], v12, v16, a[0:3]
	s_movk_i32 s4, 0x7f
	v_cmp_gt_i16_sdwa s[6:7], v18, s4 src0_sel:BYTE_0 src1_sel:DWORD
	s_mov_b64 s[4:5], 0
                                        ; implicit-def: $sgpr10
	s_and_saveexec_b64 s[8:9], s[6:7]
	s_xor_b64 s[6:7], exec, s[8:9]
	s_cbranch_execz .LBB1_2625
; %bb.16467:
	s_getpc_b64 s[14:15]
.Lpost_getpc4137:
	s_add_u32 s14, s14, (.LBB1_6721-.Lpost_getpc4137)&4294967295
	s_addc_u32 s15, s15, (.LBB1_6721-.Lpost_getpc4137)>>32
	s_setpc_b64 s[14:15]
.LBB1_2625:
	s_or_saveexec_b64 s[6:7], s[6:7]
	v_mov_b32_e32 v13, s10
	s_xor_b64 exec, exec, s[6:7]
	s_cbranch_execz .LBB1_2626
; %bb.16469:
	s_getpc_b64 s[14:15]
.Lpost_getpc4138:
	s_add_u32 s14, s14, (.LBB1_6724-.Lpost_getpc4138)&4294967295
	s_addc_u32 s15, s15, (.LBB1_6724-.Lpost_getpc4138)>>32
	s_setpc_b64 s[14:15]
.LBB1_2626:
	s_or_b64 exec, exec, s[6:7]
	s_and_saveexec_b64 s[6:7], s[4:5]
	s_cbranch_execz .LBB1_2628
.LBB1_2627:
	v_and_b32_e32 v12, 7, v18
	v_ffbh_u32_e32 v16, v12
	v_min_u32_e32 v16, 32, v16
	v_lshrrev_b16_e32 v13, 3, v18
	v_subrev_u32_e32 v17, 28, v16
	v_and_b32_e32 v13, 15, v13
	v_lshlrev_b32_e32 v17, v17, v18
	v_sub_u32_e32 v16, 29, v16
	v_and_b32_e32 v17, 7, v17
	v_cmp_eq_u16_e32 vcc, 0, v13
	v_cndmask_b32_e32 v12, v12, v17, vcc
	v_cndmask_b32_e32 v13, v13, v16, vcc
	v_lshlrev_b32_e32 v16, 24, v18
	v_mov_b32_e32 v17, 0x3b800000
	v_lshlrev_b32_e32 v12, 20, v12
	v_and_b32_e32 v16, 0x80000000, v16
	v_lshl_add_u32 v13, v13, 23, v17
	v_or3_b32 v13, v16, v13, v12
.LBB1_2628:
	s_or_b64 exec, exec, s[6:7]
	s_movk_i32 s4, 0xff
	v_mov_b32_e32 v12, 8
	v_or_b32_sdwa v16, v14, v20 dst_sel:DWORD dst_unused:UNUSED_PAD src0_sel:BYTE_0 src1_sel:DWORD
	v_lshlrev_b16_sdwa v12, v12, v14 dst_sel:DWORD dst_unused:UNUSED_PAD src0_sel:DWORD src1_sel:BYTE_3
	v_and_b32_sdwa v14, v14, s4 dst_sel:DWORD dst_unused:UNUSED_PAD src0_sel:WORD_1 src1_sel:DWORD
	s_movk_i32 s4, 0x7f
	v_or_b32_sdwa v12, v14, v12 dst_sel:WORD_1 dst_unused:UNUSED_PAD src0_sel:DWORD src1_sel:DWORD
	v_cmp_gt_i16_sdwa s[6:7], v16, s4 src0_sel:BYTE_0 src1_sel:DWORD
	s_mov_b64 s[4:5], 0
                                        ; implicit-def: $sgpr10
	s_and_saveexec_b64 s[8:9], s[6:7]
	s_xor_b64 s[6:7], exec, s[8:9]
	s_cbranch_execz .LBB1_2629
; %bb.16471:
	s_getpc_b64 s[14:15]
.Lpost_getpc4139:
	s_add_u32 s14, s14, (.LBB1_6725-.Lpost_getpc4139)&4294967295
	s_addc_u32 s15, s15, (.LBB1_6725-.Lpost_getpc4139)>>32
	s_setpc_b64 s[14:15]
.LBB1_2629:
	s_or_saveexec_b64 s[6:7], s[6:7]
	v_mov_b32_e32 v14, s10
	s_xor_b64 exec, exec, s[6:7]
	s_cbranch_execz .LBB1_2630
; %bb.16473:
	s_getpc_b64 s[14:15]
.Lpost_getpc4140:
	s_add_u32 s14, s14, (.LBB1_6728-.Lpost_getpc4140)&4294967295
	s_addc_u32 s15, s15, (.LBB1_6728-.Lpost_getpc4140)>>32
	s_setpc_b64 s[14:15]
.LBB1_2630:
	s_or_b64 exec, exec, s[6:7]
	v_or_b32_sdwa v12, v16, v12 dst_sel:DWORD dst_unused:UNUSED_PAD src0_sel:WORD_0 src1_sel:DWORD
	s_and_saveexec_b64 s[6:7], s[4:5]
	s_cbranch_execz .LBB1_2632
.LBB1_2631:
	v_and_b32_e32 v14, 3, v12
	v_ffbh_u32_e32 v17, v14
	v_min_u32_e32 v17, 32, v17
	v_lshrrev_b16_e32 v16, 2, v16
	v_subrev_u32_e32 v20, 29, v17
	v_and_b32_e32 v16, 31, v16
	v_lshlrev_b32_e32 v20, v20, v12
	v_sub_u32_e32 v17, 30, v17
	v_and_b32_e32 v20, 3, v20
	v_cmp_eq_u16_e32 vcc, 0, v16
	v_cndmask_b32_e32 v14, v14, v20, vcc
	v_cndmask_b32_e32 v16, v16, v17, vcc
	v_lshlrev_b32_e32 v17, 24, v12
	v_mov_b32_e32 v20, 0x37800000
	v_lshlrev_b32_e32 v14, 21, v14
	v_and_b32_e32 v17, 0x80000000, v17
	v_lshl_add_u32 v16, v16, 23, v20
	v_or3_b32 v14, v17, v16, v14
.LBB1_2632:
	s_or_b64 exec, exec, s[6:7]
	s_nop 0
	v_mfma_f32_16x16x4f32 a[0:3], v13, v14, a[0:3]
	v_lshrrev_b32_e32 v14, 8, v18
	s_movk_i32 s4, 0x7f
	v_cmp_gt_i16_sdwa s[6:7], v14, s4 src0_sel:BYTE_0 src1_sel:DWORD
	s_mov_b64 s[4:5], 0
                                        ; implicit-def: $sgpr10
	s_and_saveexec_b64 s[8:9], s[6:7]
	s_xor_b64 s[6:7], exec, s[8:9]
	s_cbranch_execz .LBB1_2633
; %bb.16475:
	s_getpc_b64 s[14:15]
.Lpost_getpc4141:
	s_add_u32 s14, s14, (.LBB1_6729-.Lpost_getpc4141)&4294967295
	s_addc_u32 s15, s15, (.LBB1_6729-.Lpost_getpc4141)>>32
	s_setpc_b64 s[14:15]
.LBB1_2633:
	s_or_saveexec_b64 s[6:7], s[6:7]
	v_mov_b32_e32 v13, s10
	s_xor_b64 exec, exec, s[6:7]
	s_cbranch_execz .LBB1_2634
; %bb.16477:
	s_getpc_b64 s[14:15]
.Lpost_getpc4142:
	s_add_u32 s14, s14, (.LBB1_6732-.Lpost_getpc4142)&4294967295
	s_addc_u32 s15, s15, (.LBB1_6732-.Lpost_getpc4142)>>32
	s_setpc_b64 s[14:15]
.LBB1_2634:
	s_or_b64 exec, exec, s[6:7]
	s_and_saveexec_b64 s[6:7], s[4:5]
	s_cbranch_execz .LBB1_2636
.LBB1_2635:
	v_bfe_u32 v13, v18, 8, 3
	v_ffbh_u32_e32 v17, v13
	v_min_u32_e32 v17, 32, v17
	v_lshrrev_b16_e32 v16, 3, v14
	v_subrev_u32_e32 v20, 28, v17
	v_and_b32_e32 v16, 15, v16
	v_lshlrev_b32_e32 v14, v20, v14
	v_sub_u32_e32 v17, 29, v17
	v_and_b32_e32 v14, 7, v14
	v_cmp_eq_u16_e32 vcc, 0, v16
	v_cndmask_b32_e32 v13, v13, v14, vcc
	v_cndmask_b32_e32 v14, v16, v17, vcc
	v_lshlrev_b32_e32 v16, 16, v18
	v_mov_b32_e32 v17, 0x3b800000
	v_lshlrev_b32_e32 v13, 20, v13
	v_and_b32_e32 v16, 0x80000000, v16
	v_lshl_add_u32 v14, v14, 23, v17
	v_or3_b32 v13, v16, v14, v13
.LBB1_2636:
	s_or_b64 exec, exec, s[6:7]
	v_lshrrev_b32_e32 v14, 8, v12
	s_movk_i32 s4, 0x7f
	v_cmp_gt_i16_sdwa s[6:7], v14, s4 src0_sel:BYTE_0 src1_sel:DWORD
	s_mov_b64 s[4:5], 0
                                        ; implicit-def: $sgpr10
	s_and_saveexec_b64 s[8:9], s[6:7]
	s_xor_b64 s[6:7], exec, s[8:9]
	s_cbranch_execz .LBB1_2637
; %bb.16479:
	s_getpc_b64 s[14:15]
.Lpost_getpc4143:
	s_add_u32 s14, s14, (.LBB1_6733-.Lpost_getpc4143)&4294967295
	s_addc_u32 s15, s15, (.LBB1_6733-.Lpost_getpc4143)>>32
	s_setpc_b64 s[14:15]
.LBB1_2637:
	s_or_saveexec_b64 s[6:7], s[6:7]
	v_mov_b32_e32 v16, s10
	s_xor_b64 exec, exec, s[6:7]
	s_cbranch_execz .LBB1_2638
; %bb.16481:
	s_getpc_b64 s[14:15]
.Lpost_getpc4144:
	s_add_u32 s14, s14, (.LBB1_6736-.Lpost_getpc4144)&4294967295
	s_addc_u32 s15, s15, (.LBB1_6736-.Lpost_getpc4144)>>32
	s_setpc_b64 s[14:15]
.LBB1_2638:
	s_or_b64 exec, exec, s[6:7]
	s_and_saveexec_b64 s[6:7], s[4:5]
	s_cbranch_execz .LBB1_2640
.LBB1_2639:
	v_bfe_u32 v16, v12, 8, 2
	v_ffbh_u32_e32 v20, v16
	v_min_u32_e32 v20, 32, v20
	v_lshrrev_b16_e32 v17, 2, v14
	v_subrev_u32_e32 v21, 29, v20
	v_and_b32_e32 v17, 31, v17
	v_lshlrev_b32_e32 v14, v21, v14
	v_sub_u32_e32 v20, 30, v20
	v_and_b32_e32 v14, 3, v14
	v_cmp_eq_u16_e32 vcc, 0, v17
	v_cndmask_b32_e32 v14, v16, v14, vcc
	v_cndmask_b32_e32 v16, v17, v20, vcc
	v_lshlrev_b32_e32 v17, 16, v12
	v_mov_b32_e32 v20, 0x37800000
	v_lshlrev_b32_e32 v14, 21, v14
	v_and_b32_e32 v17, 0x80000000, v17
	v_lshl_add_u32 v16, v16, 23, v20
	v_or3_b32 v16, v17, v16, v14
.LBB1_2640:
	s_or_b64 exec, exec, s[6:7]
	s_nop 0
	v_mfma_f32_16x16x4f32 a[0:3], v13, v16, a[0:3]
	s_movk_i32 s4, 0xff
	v_and_b32_sdwa v14, v18, s4 dst_sel:DWORD dst_unused:UNUSED_PAD src0_sel:WORD_1 src1_sel:DWORD
	s_movk_i32 s4, 0x7f
	v_cmp_lt_i16_e32 vcc, s4, v14
	s_mov_b64 s[4:5], 0
                                        ; implicit-def: $sgpr10
	s_and_saveexec_b64 s[6:7], vcc
	s_xor_b64 s[6:7], exec, s[6:7]
	s_cbranch_execz .LBB1_2641
; %bb.16483:
	s_getpc_b64 s[14:15]
.Lpost_getpc4145:
	s_add_u32 s14, s14, (.LBB1_6737-.Lpost_getpc4145)&4294967295
	s_addc_u32 s15, s15, (.LBB1_6737-.Lpost_getpc4145)>>32
	s_setpc_b64 s[14:15]
.LBB1_2641:
	s_or_saveexec_b64 s[6:7], s[6:7]
	v_mov_b32_e32 v13, s10
	s_xor_b64 exec, exec, s[6:7]
	s_cbranch_execz .LBB1_2642
; %bb.16485:
	s_getpc_b64 s[14:15]
.Lpost_getpc4146:
	s_add_u32 s14, s14, (.LBB1_6740-.Lpost_getpc4146)&4294967295
	s_addc_u32 s15, s15, (.LBB1_6740-.Lpost_getpc4146)>>32
	s_setpc_b64 s[14:15]
.LBB1_2642:
	s_or_b64 exec, exec, s[6:7]
	s_and_saveexec_b64 s[6:7], s[4:5]
	s_cbranch_execz .LBB1_2644
.LBB1_2643:
	v_bfe_u32 v13, v18, 16, 3
	v_ffbh_u32_e32 v17, v13
	v_min_u32_e32 v17, 32, v17
	v_lshrrev_b32_e32 v14, 19, v18
	v_subrev_u32_e32 v20, 28, v17
	v_and_b32_e32 v14, 15, v14
	v_lshlrev_b32_sdwa v20, v20, v18 dst_sel:DWORD dst_unused:UNUSED_PAD src0_sel:DWORD src1_sel:WORD_1
	v_bfe_u32 v16, v18, 19, 4
	v_sub_u32_e32 v17, 29, v17
	v_and_b32_e32 v20, 7, v20
	v_cmp_eq_u16_e32 vcc, 0, v14
	v_cndmask_b32_e32 v13, v13, v20, vcc
	v_cndmask_b32_e32 v14, v16, v17, vcc
	v_lshlrev_b32_e32 v16, 8, v18
	v_mov_b32_e32 v17, 0x3b800000
	v_lshlrev_b32_e32 v13, 20, v13
	v_and_b32_e32 v16, 0x80000000, v16
	v_lshl_add_u32 v14, v14, 23, v17
	v_or3_b32 v13, v16, v14, v13
.LBB1_2644:
	s_or_b64 exec, exec, s[6:7]
	s_movk_i32 s4, 0xff
	v_and_b32_sdwa v14, v12, s4 dst_sel:DWORD dst_unused:UNUSED_PAD src0_sel:WORD_1 src1_sel:DWORD
	s_movk_i32 s4, 0x7f
	v_cmp_lt_i16_e32 vcc, s4, v14
	s_mov_b64 s[4:5], 0
                                        ; implicit-def: $sgpr10
	s_and_saveexec_b64 s[6:7], vcc
	s_xor_b64 s[6:7], exec, s[6:7]
	s_cbranch_execz .LBB1_2645
; %bb.16487:
	s_getpc_b64 s[14:15]
.Lpost_getpc4147:
	s_add_u32 s14, s14, (.LBB1_6741-.Lpost_getpc4147)&4294967295
	s_addc_u32 s15, s15, (.LBB1_6741-.Lpost_getpc4147)>>32
	s_setpc_b64 s[14:15]
.LBB1_2645:
	s_or_saveexec_b64 s[6:7], s[6:7]
	v_mov_b32_e32 v16, s10
	s_xor_b64 exec, exec, s[6:7]
	s_cbranch_execz .LBB1_2646
; %bb.16489:
	s_getpc_b64 s[14:15]
.Lpost_getpc4148:
	s_add_u32 s14, s14, (.LBB1_6744-.Lpost_getpc4148)&4294967295
	s_addc_u32 s15, s15, (.LBB1_6744-.Lpost_getpc4148)>>32
	s_setpc_b64 s[14:15]
.LBB1_2646:
	s_or_b64 exec, exec, s[6:7]
	s_and_saveexec_b64 s[6:7], s[4:5]
	s_cbranch_execz .LBB1_2648
.LBB1_2647:
	v_bfe_u32 v14, v12, 16, 2
	v_ffbh_u32_e32 v20, v14
	v_min_u32_e32 v20, 32, v20
	v_lshrrev_b32_e32 v16, 18, v12
	v_subrev_u32_e32 v21, 29, v20
	v_and_b32_e32 v16, 31, v16
	v_lshlrev_b32_sdwa v21, v21, v12 dst_sel:DWORD dst_unused:UNUSED_PAD src0_sel:DWORD src1_sel:WORD_1
	v_bfe_u32 v17, v12, 18, 5
	v_sub_u32_e32 v20, 30, v20
	v_and_b32_e32 v21, 3, v21
	v_cmp_eq_u16_e32 vcc, 0, v16
	v_cndmask_b32_e32 v14, v14, v21, vcc
	v_cndmask_b32_e32 v16, v17, v20, vcc
	v_lshlrev_b32_e32 v17, 8, v12
	v_mov_b32_e32 v20, 0x37800000
	v_lshlrev_b32_e32 v14, 21, v14
	v_and_b32_e32 v17, 0x80000000, v17
	v_lshl_add_u32 v16, v16, 23, v20
	v_or3_b32 v16, v17, v16, v14
.LBB1_2648:
	s_or_b64 exec, exec, s[6:7]
	s_nop 0
	v_mfma_f32_16x16x4f32 a[0:3], v13, v16, a[0:3]
	s_movk_i32 s4, 0x7f
	v_cmp_gt_i16_sdwa s[6:7], v18, s4 src0_sel:BYTE_3 src1_sel:DWORD
	s_mov_b64 s[4:5], 0
                                        ; implicit-def: $sgpr10
	s_and_saveexec_b64 s[8:9], s[6:7]
	s_xor_b64 s[6:7], exec, s[8:9]
	s_cbranch_execz .LBB1_2649
; %bb.16491:
	s_getpc_b64 s[14:15]
.Lpost_getpc4149:
	s_add_u32 s14, s14, (.LBB1_6745-.Lpost_getpc4149)&4294967295
	s_addc_u32 s15, s15, (.LBB1_6745-.Lpost_getpc4149)>>32
	s_setpc_b64 s[14:15]
.LBB1_2649:
	s_or_saveexec_b64 s[6:7], s[6:7]
	v_mov_b32_e32 v13, s10
	s_xor_b64 exec, exec, s[6:7]
	s_cbranch_execz .LBB1_2650
; %bb.16493:
	s_getpc_b64 s[14:15]
.Lpost_getpc4150:
	s_add_u32 s14, s14, (.LBB1_6748-.Lpost_getpc4150)&4294967295
	s_addc_u32 s15, s15, (.LBB1_6748-.Lpost_getpc4150)>>32
	s_setpc_b64 s[14:15]
.LBB1_2650:
	s_or_b64 exec, exec, s[6:7]
	s_and_saveexec_b64 s[6:7], s[4:5]
	s_cbranch_execz .LBB1_2652
.LBB1_2651:
	v_bfe_u32 v13, v18, 24, 3
	v_ffbh_u32_e32 v20, v13
	v_min_u32_e32 v20, 32, v20
	v_lshrrev_b32_e32 v16, 27, v18
	v_subrev_u32_e32 v21, 28, v20
	v_and_b32_e32 v14, 0x80000000, v18
	v_and_b32_e32 v16, 15, v16
	v_bfe_u32 v17, v18, 27, 4
	v_lshlrev_b32_sdwa v18, v21, v18 dst_sel:DWORD dst_unused:UNUSED_PAD src0_sel:DWORD src1_sel:BYTE_3
	v_sub_u32_e32 v20, 29, v20
	v_and_b32_e32 v18, 7, v18
	v_cmp_eq_u16_e32 vcc, 0, v16
	v_cndmask_b32_e32 v13, v13, v18, vcc
	v_cndmask_b32_e32 v16, v17, v20, vcc
	v_mov_b32_e32 v17, 0x3b800000
	v_lshlrev_b32_e32 v13, 20, v13
	v_lshl_add_u32 v16, v16, 23, v17
	v_or3_b32 v13, v14, v16, v13
.LBB1_2652:
	s_or_b64 exec, exec, s[6:7]
	s_movk_i32 s4, 0x7f
	v_cmp_gt_i16_sdwa s[6:7], v12, s4 src0_sel:BYTE_3 src1_sel:DWORD
	s_mov_b64 s[4:5], 0
                                        ; implicit-def: $sgpr10
	s_and_saveexec_b64 s[8:9], s[6:7]
	s_xor_b64 s[6:7], exec, s[8:9]
	s_cbranch_execz .LBB1_2653
; %bb.16495:
	s_getpc_b64 s[14:15]
.Lpost_getpc4151:
	s_add_u32 s14, s14, (.LBB1_6749-.Lpost_getpc4151)&4294967295
	s_addc_u32 s15, s15, (.LBB1_6749-.Lpost_getpc4151)>>32
	s_setpc_b64 s[14:15]
.LBB1_2653:
	s_or_saveexec_b64 s[6:7], s[6:7]
	v_mov_b32_e32 v14, s10
	s_xor_b64 exec, exec, s[6:7]
	s_cbranch_execz .LBB1_2654
; %bb.16497:
	s_getpc_b64 s[14:15]
.Lpost_getpc4152:
	s_add_u32 s14, s14, (.LBB1_6752-.Lpost_getpc4152)&4294967295
	s_addc_u32 s15, s15, (.LBB1_6752-.Lpost_getpc4152)>>32
	s_setpc_b64 s[14:15]
.LBB1_2654:
	s_or_b64 exec, exec, s[6:7]
	s_and_saveexec_b64 s[6:7], s[4:5]
	s_cbranch_execz .LBB1_2656
.LBB1_2655:
	v_bfe_u32 v14, v12, 24, 2
	v_ffbh_u32_e32 v20, v14
	v_min_u32_e32 v20, 32, v20
	v_lshrrev_b32_e32 v17, 26, v12
	v_subrev_u32_e32 v21, 29, v20
	v_and_b32_e32 v16, 0x80000000, v12
	v_and_b32_e32 v17, 31, v17
	v_bfe_u32 v18, v12, 26, 5
	v_lshlrev_b32_sdwa v12, v21, v12 dst_sel:DWORD dst_unused:UNUSED_PAD src0_sel:DWORD src1_sel:BYTE_3
	v_sub_u32_e32 v20, 30, v20
	v_and_b32_e32 v12, 3, v12
	v_cmp_eq_u16_e32 vcc, 0, v17
	v_cndmask_b32_e32 v12, v14, v12, vcc
	v_cndmask_b32_e32 v14, v18, v20, vcc
	v_mov_b32_e32 v17, 0x37800000
	v_lshlrev_b32_e32 v12, 21, v12
	v_lshl_add_u32 v14, v14, 23, v17
	v_or3_b32 v14, v16, v14, v12
.LBB1_2656:
	s_or_b64 exec, exec, s[6:7]
	s_nop 0
	v_mfma_f32_16x16x4f32 a[0:3], v13, v14, a[0:3]
	s_movk_i32 s4, 0x7f
	v_cmp_gt_i16_sdwa s[6:7], v19, s4 src0_sel:BYTE_0 src1_sel:DWORD
	s_mov_b64 s[4:5], 0
                                        ; implicit-def: $sgpr10
	s_and_saveexec_b64 s[8:9], s[6:7]
	s_xor_b64 s[6:7], exec, s[8:9]
	s_cbranch_execz .LBB1_2657
; %bb.16499:
	s_getpc_b64 s[14:15]
.Lpost_getpc4153:
	s_add_u32 s14, s14, (.LBB1_6753-.Lpost_getpc4153)&4294967295
	s_addc_u32 s15, s15, (.LBB1_6753-.Lpost_getpc4153)>>32
	s_setpc_b64 s[14:15]
.LBB1_2657:
	s_or_saveexec_b64 s[6:7], s[6:7]
	v_mov_b32_e32 v12, s10
	s_xor_b64 exec, exec, s[6:7]
	s_cbranch_execz .LBB1_2658
; %bb.16501:
	s_getpc_b64 s[14:15]
.Lpost_getpc4154:
	s_add_u32 s14, s14, (.LBB1_6756-.Lpost_getpc4154)&4294967295
	s_addc_u32 s15, s15, (.LBB1_6756-.Lpost_getpc4154)>>32
	s_setpc_b64 s[14:15]
.LBB1_2658:
	s_or_b64 exec, exec, s[6:7]
	s_and_saveexec_b64 s[6:7], s[4:5]
	s_cbranch_execz .LBB1_2660
.LBB1_2659:
	v_mov_b32_e32 v12, 8
	v_and_b32_e32 v13, 7, v19
	v_lshrrev_b32_sdwa v12, v12, v19 dst_sel:BYTE_1 dst_unused:UNUSED_PAD src0_sel:DWORD src1_sel:DWORD
	v_ffbh_u32_e32 v14, v13
	v_or_b32_sdwa v12, v19, v12 dst_sel:DWORD dst_unused:UNUSED_PAD src0_sel:BYTE_0 src1_sel:DWORD
	v_min_u32_e32 v14, 32, v14
	v_lshrrev_b16_e32 v12, 3, v12
	v_subrev_u32_e32 v16, 28, v14
	v_and_b32_e32 v12, 15, v12
	v_lshlrev_b32_e32 v16, v16, v19
	v_sub_u32_e32 v14, 29, v14
	v_and_b32_e32 v16, 7, v16
	v_cmp_eq_u16_e32 vcc, 0, v12
	v_cndmask_b32_e32 v13, v13, v16, vcc
	v_cndmask_b32_e32 v12, v12, v14, vcc
	v_lshlrev_b32_e32 v14, 24, v19
	v_mov_b32_e32 v16, 0x3b800000
	v_lshlrev_b32_e32 v13, 20, v13
	v_and_b32_e32 v14, 0x80000000, v14
	v_lshl_add_u32 v12, v12, 23, v16
	v_or3_b32 v12, v14, v12, v13
.LBB1_2660:
	s_or_b64 exec, exec, s[6:7]
	s_movk_i32 s4, 0x7f
	v_cmp_gt_i16_sdwa s[6:7], v15, s4 src0_sel:BYTE_0 src1_sel:DWORD
	s_mov_b64 s[4:5], 0
                                        ; implicit-def: $sgpr10
	s_and_saveexec_b64 s[8:9], s[6:7]
	s_xor_b64 s[6:7], exec, s[8:9]
	s_cbranch_execz .LBB1_2661
; %bb.16503:
	s_getpc_b64 s[14:15]
.Lpost_getpc4155:
	s_add_u32 s14, s14, (.LBB1_6757-.Lpost_getpc4155)&4294967295
	s_addc_u32 s15, s15, (.LBB1_6757-.Lpost_getpc4155)>>32
	s_setpc_b64 s[14:15]
.LBB1_2661:
	s_or_saveexec_b64 s[6:7], s[6:7]
	v_mov_b32_e32 v13, s10
	s_xor_b64 exec, exec, s[6:7]
	s_cbranch_execz .LBB1_2662
; %bb.16505:
	s_getpc_b64 s[14:15]
.Lpost_getpc4156:
	s_add_u32 s14, s14, (.LBB1_6760-.Lpost_getpc4156)&4294967295
	s_addc_u32 s15, s15, (.LBB1_6760-.Lpost_getpc4156)>>32
	s_setpc_b64 s[14:15]
.LBB1_2662:
	s_or_b64 exec, exec, s[6:7]
	s_and_saveexec_b64 s[6:7], s[4:5]
	s_cbranch_execz .LBB1_2664
.LBB1_2663:
	v_and_b32_e32 v13, 3, v15
	v_ffbh_u32_e32 v16, v13
	v_min_u32_e32 v16, 32, v16
	v_lshrrev_b16_e32 v14, 2, v15
	v_subrev_u32_e32 v17, 29, v16
	v_and_b32_e32 v14, 31, v14
	v_lshlrev_b32_e32 v17, v17, v15
	v_sub_u32_e32 v16, 30, v16
	v_and_b32_e32 v17, 3, v17
	v_cmp_eq_u16_e32 vcc, 0, v14
	v_cndmask_b32_e32 v13, v13, v17, vcc
	v_cndmask_b32_e32 v14, v14, v16, vcc
	v_lshlrev_b32_e32 v16, 24, v15
	v_mov_b32_e32 v17, 0x37800000
	v_lshlrev_b32_e32 v13, 21, v13
	v_and_b32_e32 v16, 0x80000000, v16
	v_lshl_add_u32 v14, v14, 23, v17
	v_or3_b32 v13, v16, v14, v13
.LBB1_2664:
	s_or_b64 exec, exec, s[6:7]
	s_nop 0
	v_mfma_f32_16x16x4f32 a[0:3], v12, v13, a[0:3]
	v_lshrrev_b32_e32 v13, 8, v19
	s_movk_i32 s4, 0x7f
	v_cmp_gt_i16_sdwa s[6:7], v13, s4 src0_sel:BYTE_0 src1_sel:DWORD
	s_mov_b64 s[4:5], 0
                                        ; implicit-def: $sgpr10
	s_and_saveexec_b64 s[8:9], s[6:7]
	s_xor_b64 s[6:7], exec, s[8:9]
	s_cbranch_execz .LBB1_2665
; %bb.16507:
	s_getpc_b64 s[14:15]
.Lpost_getpc4157:
	s_add_u32 s14, s14, (.LBB1_6761-.Lpost_getpc4157)&4294967295
	s_addc_u32 s15, s15, (.LBB1_6761-.Lpost_getpc4157)>>32
	s_setpc_b64 s[14:15]
.LBB1_2665:
	s_or_saveexec_b64 s[6:7], s[6:7]
	v_mov_b32_e32 v12, s10
	s_xor_b64 exec, exec, s[6:7]
	s_cbranch_execz .LBB1_2666
; %bb.16509:
	s_getpc_b64 s[14:15]
.Lpost_getpc4158:
	s_add_u32 s14, s14, (.LBB1_6764-.Lpost_getpc4158)&4294967295
	s_addc_u32 s15, s15, (.LBB1_6764-.Lpost_getpc4158)>>32
	s_setpc_b64 s[14:15]
.LBB1_2666:
	s_or_b64 exec, exec, s[6:7]
	s_and_saveexec_b64 s[6:7], s[4:5]
	s_cbranch_execz .LBB1_2668
.LBB1_2667:
	v_bfe_u32 v12, v19, 8, 3
	v_ffbh_u32_e32 v16, v12
	v_min_u32_e32 v16, 32, v16
	v_lshrrev_b16_e32 v14, 3, v13
	v_subrev_u32_e32 v17, 28, v16
	v_and_b32_e32 v14, 15, v14
	v_lshlrev_b32_e32 v13, v17, v13
	v_sub_u32_e32 v16, 29, v16
	v_and_b32_e32 v13, 7, v13
	v_cmp_eq_u16_e32 vcc, 0, v14
	v_cndmask_b32_e32 v12, v12, v13, vcc
	v_cndmask_b32_e32 v13, v14, v16, vcc
	v_lshlrev_b32_e32 v14, 16, v19
	v_mov_b32_e32 v16, 0x3b800000
	v_lshlrev_b32_e32 v12, 20, v12
	v_and_b32_e32 v14, 0x80000000, v14
	v_lshl_add_u32 v13, v13, 23, v16
	v_or3_b32 v12, v14, v13, v12
.LBB1_2668:
	s_or_b64 exec, exec, s[6:7]
	v_lshrrev_b32_e32 v13, 8, v15
	s_movk_i32 s4, 0x7f
	v_cmp_gt_i16_sdwa s[6:7], v13, s4 src0_sel:BYTE_0 src1_sel:DWORD
	s_mov_b64 s[4:5], 0
                                        ; implicit-def: $sgpr10
	s_and_saveexec_b64 s[8:9], s[6:7]
	s_xor_b64 s[6:7], exec, s[8:9]
	s_cbranch_execz .LBB1_2669
; %bb.16511:
	s_getpc_b64 s[14:15]
.Lpost_getpc4159:
	s_add_u32 s14, s14, (.LBB1_6765-.Lpost_getpc4159)&4294967295
	s_addc_u32 s15, s15, (.LBB1_6765-.Lpost_getpc4159)>>32
	s_setpc_b64 s[14:15]
.LBB1_2669:
	s_or_saveexec_b64 s[6:7], s[6:7]
	v_mov_b32_e32 v14, s10
	s_xor_b64 exec, exec, s[6:7]
	s_cbranch_execz .LBB1_2670
; %bb.16513:
	s_getpc_b64 s[14:15]
.Lpost_getpc4160:
	s_add_u32 s14, s14, (.LBB1_6768-.Lpost_getpc4160)&4294967295
	s_addc_u32 s15, s15, (.LBB1_6768-.Lpost_getpc4160)>>32
	s_setpc_b64 s[14:15]
.LBB1_2670:
	s_or_b64 exec, exec, s[6:7]
	s_and_saveexec_b64 s[6:7], s[4:5]
	s_cbranch_execz .LBB1_2672
.LBB1_2671:
	v_bfe_u32 v14, v15, 8, 2
	v_ffbh_u32_e32 v17, v14
	v_min_u32_e32 v17, 32, v17
	v_lshrrev_b16_e32 v16, 2, v13
	v_subrev_u32_e32 v18, 29, v17
	v_and_b32_e32 v16, 31, v16
	v_lshlrev_b32_e32 v13, v18, v13
	v_sub_u32_e32 v17, 30, v17
	v_and_b32_e32 v13, 3, v13
	v_cmp_eq_u16_e32 vcc, 0, v16
	v_cndmask_b32_e32 v13, v14, v13, vcc
	v_cndmask_b32_e32 v14, v16, v17, vcc
	v_lshlrev_b32_e32 v16, 16, v15
	v_mov_b32_e32 v17, 0x37800000
	v_lshlrev_b32_e32 v13, 21, v13
	v_and_b32_e32 v16, 0x80000000, v16
	v_lshl_add_u32 v14, v14, 23, v17
	v_or3_b32 v14, v16, v14, v13
.LBB1_2672:
	s_or_b64 exec, exec, s[6:7]
	s_nop 0
	v_mfma_f32_16x16x4f32 a[0:3], v12, v14, a[0:3]
	s_movk_i32 s4, 0xff
	v_and_b32_sdwa v13, v19, s4 dst_sel:DWORD dst_unused:UNUSED_PAD src0_sel:WORD_1 src1_sel:DWORD
	s_movk_i32 s4, 0x7f
	v_cmp_lt_i16_e32 vcc, s4, v13
	s_mov_b64 s[4:5], 0
                                        ; implicit-def: $sgpr10
	s_and_saveexec_b64 s[6:7], vcc
	s_xor_b64 s[6:7], exec, s[6:7]
	s_cbranch_execz .LBB1_2673
; %bb.16515:
	s_getpc_b64 s[14:15]
.Lpost_getpc4161:
	s_add_u32 s14, s14, (.LBB1_6769-.Lpost_getpc4161)&4294967295
	s_addc_u32 s15, s15, (.LBB1_6769-.Lpost_getpc4161)>>32
	s_setpc_b64 s[14:15]
.LBB1_2673:
	s_or_saveexec_b64 s[6:7], s[6:7]
	v_mov_b32_e32 v12, s10
	s_xor_b64 exec, exec, s[6:7]
	s_cbranch_execz .LBB1_2674
; %bb.16517:
	s_getpc_b64 s[14:15]
.Lpost_getpc4162:
	s_add_u32 s14, s14, (.LBB1_6772-.Lpost_getpc4162)&4294967295
	s_addc_u32 s15, s15, (.LBB1_6772-.Lpost_getpc4162)>>32
	s_setpc_b64 s[14:15]
.LBB1_2674:
	s_or_b64 exec, exec, s[6:7]
	s_and_saveexec_b64 s[6:7], s[4:5]
	s_cbranch_execz .LBB1_2676
.LBB1_2675:
	v_bfe_u32 v12, v19, 16, 3
	v_ffbh_u32_e32 v16, v12
	v_min_u32_e32 v16, 32, v16
	v_lshrrev_b32_e32 v13, 19, v19
	v_subrev_u32_e32 v17, 28, v16
	v_and_b32_e32 v13, 15, v13
	v_lshlrev_b32_sdwa v17, v17, v19 dst_sel:DWORD dst_unused:UNUSED_PAD src0_sel:DWORD src1_sel:WORD_1
	v_bfe_u32 v14, v19, 19, 4
	v_sub_u32_e32 v16, 29, v16
	v_and_b32_e32 v17, 7, v17
	v_cmp_eq_u16_e32 vcc, 0, v13
	v_cndmask_b32_e32 v12, v12, v17, vcc
	v_cndmask_b32_e32 v13, v14, v16, vcc
	v_lshlrev_b32_e32 v14, 8, v19
	v_mov_b32_e32 v16, 0x3b800000
	v_lshlrev_b32_e32 v12, 20, v12
	v_and_b32_e32 v14, 0x80000000, v14
	v_lshl_add_u32 v13, v13, 23, v16
	v_or3_b32 v12, v14, v13, v12
.LBB1_2676:
	s_or_b64 exec, exec, s[6:7]
	s_movk_i32 s4, 0xff
	v_and_b32_sdwa v13, v15, s4 dst_sel:DWORD dst_unused:UNUSED_PAD src0_sel:WORD_1 src1_sel:DWORD
	s_movk_i32 s4, 0x7f
	v_cmp_lt_i16_e32 vcc, s4, v13
	s_mov_b64 s[4:5], 0
                                        ; implicit-def: $sgpr10
	s_and_saveexec_b64 s[6:7], vcc
	s_xor_b64 s[6:7], exec, s[6:7]
	s_cbranch_execz .LBB1_2677
; %bb.16519:
	s_getpc_b64 s[14:15]
.Lpost_getpc4163:
	s_add_u32 s14, s14, (.LBB1_6773-.Lpost_getpc4163)&4294967295
	s_addc_u32 s15, s15, (.LBB1_6773-.Lpost_getpc4163)>>32
	s_setpc_b64 s[14:15]
.LBB1_2677:
	s_or_saveexec_b64 s[6:7], s[6:7]
	v_mov_b32_e32 v14, s10
	s_xor_b64 exec, exec, s[6:7]
	s_cbranch_execz .LBB1_2678
; %bb.16521:
	s_getpc_b64 s[14:15]
.Lpost_getpc4164:
	s_add_u32 s14, s14, (.LBB1_6776-.Lpost_getpc4164)&4294967295
	s_addc_u32 s15, s15, (.LBB1_6776-.Lpost_getpc4164)>>32
	s_setpc_b64 s[14:15]
.LBB1_2678:
	s_or_b64 exec, exec, s[6:7]
	s_and_saveexec_b64 s[6:7], s[4:5]
	s_cbranch_execz .LBB1_2680
.LBB1_2679:
	v_bfe_u32 v13, v15, 16, 2
	v_ffbh_u32_e32 v17, v13
	v_min_u32_e32 v17, 32, v17
	v_lshrrev_b32_e32 v14, 18, v15
	v_subrev_u32_e32 v18, 29, v17
	v_and_b32_e32 v14, 31, v14
	v_lshlrev_b32_sdwa v18, v18, v15 dst_sel:DWORD dst_unused:UNUSED_PAD src0_sel:DWORD src1_sel:WORD_1
	v_bfe_u32 v16, v15, 18, 5
	v_sub_u32_e32 v17, 30, v17
	v_and_b32_e32 v18, 3, v18
	v_cmp_eq_u16_e32 vcc, 0, v14
	v_cndmask_b32_e32 v13, v13, v18, vcc
	v_cndmask_b32_e32 v14, v16, v17, vcc
	v_lshlrev_b32_e32 v16, 8, v15
	v_mov_b32_e32 v17, 0x37800000
	v_lshlrev_b32_e32 v13, 21, v13
	v_and_b32_e32 v16, 0x80000000, v16
	v_lshl_add_u32 v14, v14, 23, v17
	v_or3_b32 v14, v16, v14, v13
.LBB1_2680:
	s_or_b64 exec, exec, s[6:7]
	s_nop 0
	v_mfma_f32_16x16x4f32 a[0:3], v12, v14, a[0:3]
	s_movk_i32 s4, 0x7f
	v_cmp_gt_i16_sdwa s[6:7], v19, s4 src0_sel:BYTE_3 src1_sel:DWORD
	s_mov_b64 s[4:5], 0
                                        ; implicit-def: $sgpr10
	s_and_saveexec_b64 s[8:9], s[6:7]
	s_xor_b64 s[6:7], exec, s[8:9]
	s_cbranch_execz .LBB1_2681
; %bb.16523:
	s_getpc_b64 s[14:15]
.Lpost_getpc4165:
	s_add_u32 s14, s14, (.LBB1_6777-.Lpost_getpc4165)&4294967295
	s_addc_u32 s15, s15, (.LBB1_6777-.Lpost_getpc4165)>>32
	s_setpc_b64 s[14:15]
.LBB1_2681:
	s_or_saveexec_b64 s[6:7], s[6:7]
	v_mov_b32_e32 v12, s10
	s_xor_b64 exec, exec, s[6:7]
	s_cbranch_execz .LBB1_2682
; %bb.16525:
	s_getpc_b64 s[14:15]
.Lpost_getpc4166:
	s_add_u32 s14, s14, (.LBB1_6780-.Lpost_getpc4166)&4294967295
	s_addc_u32 s15, s15, (.LBB1_6780-.Lpost_getpc4166)>>32
	s_setpc_b64 s[14:15]
.LBB1_2682:
	s_or_b64 exec, exec, s[6:7]
	s_and_saveexec_b64 s[6:7], s[4:5]
	s_cbranch_execz .LBB1_2684
.LBB1_2683:
	v_bfe_u32 v12, v19, 24, 3
	v_ffbh_u32_e32 v17, v12
	v_min_u32_e32 v17, 32, v17
	v_lshrrev_b32_e32 v14, 27, v19
	v_subrev_u32_e32 v18, 28, v17
	v_and_b32_e32 v14, 15, v14
	v_lshlrev_b32_sdwa v18, v18, v19 dst_sel:DWORD dst_unused:UNUSED_PAD src0_sel:DWORD src1_sel:BYTE_3
	v_bfe_u32 v16, v19, 27, 4
	v_sub_u32_e32 v17, 29, v17
	v_and_b32_e32 v18, 7, v18
	v_cmp_eq_u16_e32 vcc, 0, v14
	v_cndmask_b32_e32 v12, v12, v18, vcc
	v_cndmask_b32_e32 v14, v16, v17, vcc
	v_mov_b32_e32 v16, 0x3b800000
	v_and_b32_e32 v13, 0x80000000, v19
	v_lshlrev_b32_e32 v12, 20, v12
	v_lshl_add_u32 v14, v14, 23, v16
	v_or3_b32 v12, v13, v14, v12
.LBB1_2684:
	s_or_b64 exec, exec, s[6:7]
	s_movk_i32 s4, 0x7f
	v_cmp_gt_i16_sdwa s[6:7], v15, s4 src0_sel:BYTE_3 src1_sel:DWORD
	s_mov_b64 s[4:5], 0
                                        ; implicit-def: $sgpr10
	s_and_saveexec_b64 s[8:9], s[6:7]
	s_xor_b64 s[6:7], exec, s[8:9]
	s_cbranch_execz .LBB1_2685
; %bb.16527:
	s_getpc_b64 s[14:15]
.Lpost_getpc4167:
	s_add_u32 s14, s14, (.LBB1_6781-.Lpost_getpc4167)&4294967295
	s_addc_u32 s15, s15, (.LBB1_6781-.Lpost_getpc4167)>>32
	s_setpc_b64 s[14:15]
.LBB1_2685:
	s_or_saveexec_b64 s[6:7], s[6:7]
	v_mov_b32_e32 v13, s10
	s_xor_b64 exec, exec, s[6:7]
	s_cbranch_execz .LBB1_2686
; %bb.16529:
	s_getpc_b64 s[14:15]
.Lpost_getpc4168:
	s_add_u32 s14, s14, (.LBB1_6784-.Lpost_getpc4168)&4294967295
	s_addc_u32 s15, s15, (.LBB1_6784-.Lpost_getpc4168)>>32
	s_setpc_b64 s[14:15]
.LBB1_2686:
	s_or_b64 exec, exec, s[6:7]
	s_and_saveexec_b64 s[6:7], s[4:5]
	s_cbranch_execz .LBB1_2688
.LBB1_2687:
	v_bfe_u32 v13, v15, 24, 2
	v_ffbh_u32_e32 v18, v13
	v_min_u32_e32 v18, 32, v18
	v_lshrrev_b32_e32 v16, 26, v15
	v_subrev_u32_e32 v19, 29, v18
	v_and_b32_e32 v14, 0x80000000, v15
	v_and_b32_e32 v16, 31, v16
	v_bfe_u32 v17, v15, 26, 5
	v_lshlrev_b32_sdwa v15, v19, v15 dst_sel:DWORD dst_unused:UNUSED_PAD src0_sel:DWORD src1_sel:BYTE_3
	v_sub_u32_e32 v18, 30, v18
	v_and_b32_e32 v15, 3, v15
	v_cmp_eq_u16_e32 vcc, 0, v16
	v_cndmask_b32_e32 v13, v13, v15, vcc
	v_cndmask_b32_e32 v15, v17, v18, vcc
	v_mov_b32_e32 v16, 0x37800000
	v_lshlrev_b32_e32 v13, 21, v13
	v_lshl_add_u32 v15, v15, 23, v16
	v_or3_b32 v13, v14, v15, v13
.LBB1_2688:
	s_or_b64 exec, exec, s[6:7]
	s_nop 0
	v_mfma_f32_16x16x4f32 a[0:3], v12, v13, a[0:3]
	v_mov_b32_e32 v16, 8
	s_movk_i32 s4, 0x7f
                                        ; implicit-def: $sgpr10
	s_nop 7
	s_nop 0
	flat_store_dwordx4 v[10:11], a[0:3] offset:320
	flat_load_dword v14, v[0:1] offset:544
	flat_load_dwordx2 v[12:13], v[6:7]
	s_waitcnt vmcnt(0) lgkmcnt(0)
	v_ashrrev_i32_e32 v15, 31, v14
	v_add_co_u32_e32 v12, vcc, v12, v14
	v_addc_co_u32_e32 v13, vcc, v13, v15, vcc
	flat_load_dwordx4 v[12:15], v[12:13] offset:512
	s_waitcnt vmcnt(0) lgkmcnt(0)
	v_lshrrev_b32_sdwa v20, v16, v14 dst_sel:BYTE_1 dst_unused:UNUSED_PAD src0_sel:DWORD src1_sel:DWORD
	flat_store_dwordx4 v[8:9], v[12:15]
	flat_load_dwordx4 v[16:19], v[4:5]
	s_waitcnt vmcnt(0) lgkmcnt(0)
	v_cmp_gt_i16_sdwa s[6:7], v16, s4 src0_sel:BYTE_0 src1_sel:DWORD
	s_mov_b64 s[4:5], 0
	s_and_saveexec_b64 s[8:9], s[6:7]
	s_xor_b64 s[6:7], exec, s[8:9]
	s_cbranch_execz .LBB1_2689
; %bb.16531:
	s_getpc_b64 s[14:15]
.Lpost_getpc4169:
	s_add_u32 s14, s14, (.LBB1_6785-.Lpost_getpc4169)&4294967295
	s_addc_u32 s15, s15, (.LBB1_6785-.Lpost_getpc4169)>>32
	s_setpc_b64 s[14:15]
.LBB1_2689:
	s_or_saveexec_b64 s[6:7], s[6:7]
	v_mov_b32_e32 v21, s10
	s_xor_b64 exec, exec, s[6:7]
	s_cbranch_execz .LBB1_2690
; %bb.16533:
	s_getpc_b64 s[14:15]
.Lpost_getpc4170:
	s_add_u32 s14, s14, (.LBB1_6788-.Lpost_getpc4170)&4294967295
	s_addc_u32 s15, s15, (.LBB1_6788-.Lpost_getpc4170)>>32
	s_setpc_b64 s[14:15]
.LBB1_2690:
	s_or_b64 exec, exec, s[6:7]
	s_and_saveexec_b64 s[6:7], s[4:5]
	s_cbranch_execz .LBB1_2692
.LBB1_2691:
	v_and_b32_e32 v21, 7, v16
	v_ffbh_u32_e32 v23, v21
	v_min_u32_e32 v23, 32, v23
	v_lshrrev_b16_e32 v22, 3, v16
	v_subrev_u32_e32 v24, 28, v23
	v_and_b32_e32 v22, 15, v22
	v_lshlrev_b32_e32 v24, v24, v16
	v_sub_u32_e32 v23, 29, v23
	v_and_b32_e32 v24, 7, v24
	v_cmp_eq_u16_e32 vcc, 0, v22
	v_cndmask_b32_e32 v21, v21, v24, vcc
	v_cndmask_b32_e32 v22, v22, v23, vcc
	v_lshlrev_b32_e32 v23, 24, v16
	v_mov_b32_e32 v24, 0x3b800000
	v_lshlrev_b32_e32 v21, 20, v21
	v_and_b32_e32 v23, 0x80000000, v23
	v_lshl_add_u32 v22, v22, 23, v24
	v_or3_b32 v21, v23, v22, v21
.LBB1_2692:
	s_or_b64 exec, exec, s[6:7]
	s_movk_i32 s4, 0x7f
	v_cmp_gt_i16_sdwa s[6:7], v12, s4 src0_sel:BYTE_0 src1_sel:DWORD
	s_mov_b64 s[4:5], 0
                                        ; implicit-def: $sgpr10
	s_and_saveexec_b64 s[8:9], s[6:7]
	s_xor_b64 s[6:7], exec, s[8:9]
	s_cbranch_execz .LBB1_2693
; %bb.16535:
	s_getpc_b64 s[14:15]
.Lpost_getpc4171:
	s_add_u32 s14, s14, (.LBB1_6789-.Lpost_getpc4171)&4294967295
	s_addc_u32 s15, s15, (.LBB1_6789-.Lpost_getpc4171)>>32
	s_setpc_b64 s[14:15]
.LBB1_2693:
	s_or_saveexec_b64 s[6:7], s[6:7]
	v_mov_b32_e32 v22, s10
	s_xor_b64 exec, exec, s[6:7]
	s_cbranch_execz .LBB1_2694
; %bb.16537:
	s_getpc_b64 s[14:15]
.Lpost_getpc4172:
	s_add_u32 s14, s14, (.LBB1_6792-.Lpost_getpc4172)&4294967295
	s_addc_u32 s15, s15, (.LBB1_6792-.Lpost_getpc4172)>>32
	s_setpc_b64 s[14:15]
.LBB1_2694:
	s_or_b64 exec, exec, s[6:7]
	s_and_saveexec_b64 s[6:7], s[4:5]
	s_cbranch_execz .LBB1_2696
.LBB1_2695:
	v_and_b32_e32 v22, 3, v12
	v_ffbh_u32_e32 v24, v22
	v_min_u32_e32 v24, 32, v24
	v_lshrrev_b16_e32 v23, 2, v12
	v_subrev_u32_e32 v25, 29, v24
	v_and_b32_e32 v23, 31, v23
	v_lshlrev_b32_e32 v25, v25, v12
	v_sub_u32_e32 v24, 30, v24
	v_and_b32_e32 v25, 3, v25
	v_cmp_eq_u16_e32 vcc, 0, v23
	v_cndmask_b32_e32 v22, v22, v25, vcc
	v_cndmask_b32_e32 v23, v23, v24, vcc
	v_lshlrev_b32_e32 v24, 24, v12
	v_mov_b32_e32 v25, 0x37800000
	v_lshlrev_b32_e32 v22, 21, v22
	v_and_b32_e32 v24, 0x80000000, v24
	v_lshl_add_u32 v23, v23, 23, v25
	v_or3_b32 v22, v24, v23, v22
.LBB1_2696:
	s_or_b64 exec, exec, s[6:7]
	flat_load_dwordx4 a[0:3], v[10:11] offset:336
	s_movk_i32 s4, 0x7f
                                        ; implicit-def: $sgpr10
	s_waitcnt vmcnt(0) lgkmcnt(0)
	v_mfma_f32_16x16x4f32 a[0:3], v21, v22, a[0:3]
	v_lshrrev_b32_e32 v22, 8, v16
	v_cmp_gt_i16_sdwa s[6:7], v22, s4 src0_sel:BYTE_0 src1_sel:DWORD
	s_mov_b64 s[4:5], 0
	s_and_saveexec_b64 s[8:9], s[6:7]
	s_xor_b64 s[6:7], exec, s[8:9]
	s_cbranch_execz .LBB1_2697
; %bb.16539:
	s_getpc_b64 s[14:15]
.Lpost_getpc4173:
	s_add_u32 s14, s14, (.LBB1_6793-.Lpost_getpc4173)&4294967295
	s_addc_u32 s15, s15, (.LBB1_6793-.Lpost_getpc4173)>>32
	s_setpc_b64 s[14:15]
.LBB1_2697:
	s_or_saveexec_b64 s[6:7], s[6:7]
	v_mov_b32_e32 v21, s10
	s_xor_b64 exec, exec, s[6:7]
	s_cbranch_execz .LBB1_2698
; %bb.16541:
	s_getpc_b64 s[14:15]
.Lpost_getpc4174:
	s_add_u32 s14, s14, (.LBB1_6796-.Lpost_getpc4174)&4294967295
	s_addc_u32 s15, s15, (.LBB1_6796-.Lpost_getpc4174)>>32
	s_setpc_b64 s[14:15]
.LBB1_2698:
	s_or_b64 exec, exec, s[6:7]
	s_and_saveexec_b64 s[6:7], s[4:5]
	s_cbranch_execz .LBB1_2700
.LBB1_2699:
	v_bfe_u32 v21, v16, 8, 3
	v_ffbh_u32_e32 v24, v21
	v_min_u32_e32 v24, 32, v24
	v_lshrrev_b16_e32 v23, 3, v22
	v_subrev_u32_e32 v25, 28, v24
	v_and_b32_e32 v23, 15, v23
	v_lshlrev_b32_e32 v22, v25, v22
	v_sub_u32_e32 v24, 29, v24
	v_and_b32_e32 v22, 7, v22
	v_cmp_eq_u16_e32 vcc, 0, v23
	v_cndmask_b32_e32 v21, v21, v22, vcc
	v_cndmask_b32_e32 v22, v23, v24, vcc
	v_lshlrev_b32_e32 v23, 16, v16
	v_mov_b32_e32 v24, 0x3b800000
	v_lshlrev_b32_e32 v21, 20, v21
	v_and_b32_e32 v23, 0x80000000, v23
	v_lshl_add_u32 v22, v22, 23, v24
	v_or3_b32 v21, v23, v22, v21
.LBB1_2700:
	s_or_b64 exec, exec, s[6:7]
	v_lshrrev_b32_e32 v22, 8, v12
	s_movk_i32 s4, 0x7f
	v_cmp_gt_i16_sdwa s[6:7], v22, s4 src0_sel:BYTE_0 src1_sel:DWORD
	s_mov_b64 s[4:5], 0
                                        ; implicit-def: $sgpr10
	s_and_saveexec_b64 s[8:9], s[6:7]
	s_xor_b64 s[6:7], exec, s[8:9]
	s_cbranch_execz .LBB1_2701
; %bb.16543:
	s_getpc_b64 s[14:15]
.Lpost_getpc4175:
	s_add_u32 s14, s14, (.LBB1_6797-.Lpost_getpc4175)&4294967295
	s_addc_u32 s15, s15, (.LBB1_6797-.Lpost_getpc4175)>>32
	s_setpc_b64 s[14:15]
.LBB1_2701:
	s_or_saveexec_b64 s[6:7], s[6:7]
	v_mov_b32_e32 v23, s10
	s_xor_b64 exec, exec, s[6:7]
	s_cbranch_execz .LBB1_2702
; %bb.16545:
	s_getpc_b64 s[14:15]
.Lpost_getpc4176:
	s_add_u32 s14, s14, (.LBB1_6800-.Lpost_getpc4176)&4294967295
	s_addc_u32 s15, s15, (.LBB1_6800-.Lpost_getpc4176)>>32
	s_setpc_b64 s[14:15]
.LBB1_2702:
	s_or_b64 exec, exec, s[6:7]
	s_and_saveexec_b64 s[6:7], s[4:5]
	s_cbranch_execz .LBB1_2704
.LBB1_2703:
	v_bfe_u32 v23, v12, 8, 2
	v_ffbh_u32_e32 v25, v23
	v_min_u32_e32 v25, 32, v25
	v_lshrrev_b16_e32 v24, 2, v22
	v_subrev_u32_e32 v26, 29, v25
	v_and_b32_e32 v24, 31, v24
	v_lshlrev_b32_e32 v22, v26, v22
	v_sub_u32_e32 v25, 30, v25
	v_and_b32_e32 v22, 3, v22
	v_cmp_eq_u16_e32 vcc, 0, v24
	v_cndmask_b32_e32 v22, v23, v22, vcc
	v_cndmask_b32_e32 v23, v24, v25, vcc
	v_lshlrev_b32_e32 v24, 16, v12
	v_mov_b32_e32 v25, 0x37800000
	v_lshlrev_b32_e32 v22, 21, v22
	v_and_b32_e32 v24, 0x80000000, v24
	v_lshl_add_u32 v23, v23, 23, v25
	v_or3_b32 v23, v24, v23, v22
.LBB1_2704:
	s_or_b64 exec, exec, s[6:7]
	s_nop 0
	v_mfma_f32_16x16x4f32 a[0:3], v21, v23, a[0:3]
	s_movk_i32 s4, 0xff
	v_and_b32_sdwa v22, v16, s4 dst_sel:DWORD dst_unused:UNUSED_PAD src0_sel:WORD_1 src1_sel:DWORD
	s_movk_i32 s4, 0x7f
	v_cmp_lt_i16_e32 vcc, s4, v22
	s_mov_b64 s[4:5], 0
                                        ; implicit-def: $sgpr10
	s_and_saveexec_b64 s[6:7], vcc
	s_xor_b64 s[6:7], exec, s[6:7]
	s_cbranch_execz .LBB1_2705
; %bb.16547:
	s_getpc_b64 s[14:15]
.Lpost_getpc4177:
	s_add_u32 s14, s14, (.LBB1_6801-.Lpost_getpc4177)&4294967295
	s_addc_u32 s15, s15, (.LBB1_6801-.Lpost_getpc4177)>>32
	s_setpc_b64 s[14:15]
.LBB1_2705:
	s_or_saveexec_b64 s[6:7], s[6:7]
	v_mov_b32_e32 v21, s10
	s_xor_b64 exec, exec, s[6:7]
	s_cbranch_execz .LBB1_2706
; %bb.16549:
	s_getpc_b64 s[14:15]
.Lpost_getpc4178:
	s_add_u32 s14, s14, (.LBB1_6804-.Lpost_getpc4178)&4294967295
	s_addc_u32 s15, s15, (.LBB1_6804-.Lpost_getpc4178)>>32
	s_setpc_b64 s[14:15]
.LBB1_2706:
	s_or_b64 exec, exec, s[6:7]
	s_and_saveexec_b64 s[6:7], s[4:5]
	s_cbranch_execz .LBB1_2708
.LBB1_2707:
	v_bfe_u32 v21, v16, 16, 3
	v_ffbh_u32_e32 v24, v21
	v_min_u32_e32 v24, 32, v24
	v_lshrrev_b32_e32 v22, 19, v16
	v_subrev_u32_e32 v25, 28, v24
	v_and_b32_e32 v22, 15, v22
	v_lshlrev_b32_sdwa v25, v25, v16 dst_sel:DWORD dst_unused:UNUSED_PAD src0_sel:DWORD src1_sel:WORD_1
	v_bfe_u32 v23, v16, 19, 4
	v_sub_u32_e32 v24, 29, v24
	v_and_b32_e32 v25, 7, v25
	v_cmp_eq_u16_e32 vcc, 0, v22
	v_cndmask_b32_e32 v21, v21, v25, vcc
	v_cndmask_b32_e32 v22, v23, v24, vcc
	v_lshlrev_b32_e32 v23, 8, v16
	v_mov_b32_e32 v24, 0x3b800000
	v_lshlrev_b32_e32 v21, 20, v21
	v_and_b32_e32 v23, 0x80000000, v23
	v_lshl_add_u32 v22, v22, 23, v24
	v_or3_b32 v21, v23, v22, v21
.LBB1_2708:
	s_or_b64 exec, exec, s[6:7]
	s_movk_i32 s4, 0xff
	v_and_b32_sdwa v22, v12, s4 dst_sel:DWORD dst_unused:UNUSED_PAD src0_sel:WORD_1 src1_sel:DWORD
	s_movk_i32 s4, 0x7f
	v_cmp_lt_i16_e32 vcc, s4, v22
	s_mov_b64 s[4:5], 0
                                        ; implicit-def: $sgpr10
	s_and_saveexec_b64 s[6:7], vcc
	s_xor_b64 s[6:7], exec, s[6:7]
	s_cbranch_execz .LBB1_2709
; %bb.16551:
	s_getpc_b64 s[14:15]
.Lpost_getpc4179:
	s_add_u32 s14, s14, (.LBB1_6805-.Lpost_getpc4179)&4294967295
	s_addc_u32 s15, s15, (.LBB1_6805-.Lpost_getpc4179)>>32
	s_setpc_b64 s[14:15]
.LBB1_2709:
	s_or_saveexec_b64 s[6:7], s[6:7]
	v_mov_b32_e32 v23, s10
	s_xor_b64 exec, exec, s[6:7]
	s_cbranch_execz .LBB1_2710
; %bb.16553:
	s_getpc_b64 s[14:15]
.Lpost_getpc4180:
	s_add_u32 s14, s14, (.LBB1_6808-.Lpost_getpc4180)&4294967295
	s_addc_u32 s15, s15, (.LBB1_6808-.Lpost_getpc4180)>>32
	s_setpc_b64 s[14:15]
.LBB1_2710:
	s_or_b64 exec, exec, s[6:7]
	s_and_saveexec_b64 s[6:7], s[4:5]
	s_cbranch_execz .LBB1_2712
.LBB1_2711:
	v_bfe_u32 v22, v12, 16, 2
	v_ffbh_u32_e32 v25, v22
	v_min_u32_e32 v25, 32, v25
	v_lshrrev_b32_e32 v23, 18, v12
	v_subrev_u32_e32 v26, 29, v25
	v_and_b32_e32 v23, 31, v23
	v_lshlrev_b32_sdwa v26, v26, v12 dst_sel:DWORD dst_unused:UNUSED_PAD src0_sel:DWORD src1_sel:WORD_1
	v_bfe_u32 v24, v12, 18, 5
	v_sub_u32_e32 v25, 30, v25
	v_and_b32_e32 v26, 3, v26
	v_cmp_eq_u16_e32 vcc, 0, v23
	v_cndmask_b32_e32 v22, v22, v26, vcc
	v_cndmask_b32_e32 v23, v24, v25, vcc
	v_lshlrev_b32_e32 v24, 8, v12
	v_mov_b32_e32 v25, 0x37800000
	v_lshlrev_b32_e32 v22, 21, v22
	v_and_b32_e32 v24, 0x80000000, v24
	v_lshl_add_u32 v23, v23, 23, v25
	v_or3_b32 v23, v24, v23, v22
.LBB1_2712:
	s_or_b64 exec, exec, s[6:7]
	s_nop 0
	v_mfma_f32_16x16x4f32 a[0:3], v21, v23, a[0:3]
	s_movk_i32 s4, 0x7f
	v_cmp_gt_i16_sdwa s[6:7], v16, s4 src0_sel:BYTE_3 src1_sel:DWORD
	s_mov_b64 s[4:5], 0
                                        ; implicit-def: $sgpr10
	s_and_saveexec_b64 s[8:9], s[6:7]
	s_xor_b64 s[6:7], exec, s[8:9]
	s_cbranch_execz .LBB1_2713
; %bb.16555:
	s_getpc_b64 s[14:15]
.Lpost_getpc4181:
	s_add_u32 s14, s14, (.LBB1_6809-.Lpost_getpc4181)&4294967295
	s_addc_u32 s15, s15, (.LBB1_6809-.Lpost_getpc4181)>>32
	s_setpc_b64 s[14:15]
.LBB1_2713:
	s_or_saveexec_b64 s[6:7], s[6:7]
	v_mov_b32_e32 v21, s10
	s_xor_b64 exec, exec, s[6:7]
	s_cbranch_execz .LBB1_2714
; %bb.16557:
	s_getpc_b64 s[14:15]
.Lpost_getpc4182:
	s_add_u32 s14, s14, (.LBB1_6812-.Lpost_getpc4182)&4294967295
	s_addc_u32 s15, s15, (.LBB1_6812-.Lpost_getpc4182)>>32
	s_setpc_b64 s[14:15]
.LBB1_2714:
	s_or_b64 exec, exec, s[6:7]
	s_and_saveexec_b64 s[6:7], s[4:5]
	s_cbranch_execz .LBB1_2716
.LBB1_2715:
	v_bfe_u32 v21, v16, 24, 3
	v_ffbh_u32_e32 v25, v21
	v_min_u32_e32 v25, 32, v25
	v_lshrrev_b32_e32 v23, 27, v16
	v_subrev_u32_e32 v26, 28, v25
	v_and_b32_e32 v22, 0x80000000, v16
	v_and_b32_e32 v23, 15, v23
	v_bfe_u32 v24, v16, 27, 4
	v_lshlrev_b32_sdwa v16, v26, v16 dst_sel:DWORD dst_unused:UNUSED_PAD src0_sel:DWORD src1_sel:BYTE_3
	v_sub_u32_e32 v25, 29, v25
	v_and_b32_e32 v16, 7, v16
	v_cmp_eq_u16_e32 vcc, 0, v23
	v_cndmask_b32_e32 v16, v21, v16, vcc
	v_cndmask_b32_e32 v21, v24, v25, vcc
	v_mov_b32_e32 v23, 0x3b800000
	v_lshlrev_b32_e32 v16, 20, v16
	v_lshl_add_u32 v21, v21, 23, v23
	v_or3_b32 v21, v22, v21, v16
.LBB1_2716:
	s_or_b64 exec, exec, s[6:7]
	s_movk_i32 s4, 0x7f
	v_cmp_gt_i16_sdwa s[6:7], v12, s4 src0_sel:BYTE_3 src1_sel:DWORD
	s_mov_b64 s[4:5], 0
                                        ; implicit-def: $sgpr10
	s_and_saveexec_b64 s[8:9], s[6:7]
	s_xor_b64 s[6:7], exec, s[8:9]
	s_cbranch_execz .LBB1_2717
; %bb.16559:
	s_getpc_b64 s[14:15]
.Lpost_getpc4183:
	s_add_u32 s14, s14, (.LBB1_6813-.Lpost_getpc4183)&4294967295
	s_addc_u32 s15, s15, (.LBB1_6813-.Lpost_getpc4183)>>32
	s_setpc_b64 s[14:15]
.LBB1_2717:
	s_or_saveexec_b64 s[6:7], s[6:7]
	v_mov_b32_e32 v16, s10
	s_xor_b64 exec, exec, s[6:7]
	s_cbranch_execz .LBB1_2718
; %bb.16561:
	s_getpc_b64 s[14:15]
.Lpost_getpc4184:
	s_add_u32 s14, s14, (.LBB1_6816-.Lpost_getpc4184)&4294967295
	s_addc_u32 s15, s15, (.LBB1_6816-.Lpost_getpc4184)>>32
	s_setpc_b64 s[14:15]
.LBB1_2718:
	s_or_b64 exec, exec, s[6:7]
	s_and_saveexec_b64 s[6:7], s[4:5]
	s_cbranch_execz .LBB1_2720
.LBB1_2719:
	v_bfe_u32 v16, v12, 24, 2
	v_ffbh_u32_e32 v25, v16
	v_min_u32_e32 v25, 32, v25
	v_lshrrev_b32_e32 v23, 26, v12
	v_subrev_u32_e32 v26, 29, v25
	v_and_b32_e32 v22, 0x80000000, v12
	v_and_b32_e32 v23, 31, v23
	v_bfe_u32 v24, v12, 26, 5
	v_lshlrev_b32_sdwa v12, v26, v12 dst_sel:DWORD dst_unused:UNUSED_PAD src0_sel:DWORD src1_sel:BYTE_3
	v_sub_u32_e32 v25, 30, v25
	v_and_b32_e32 v12, 3, v12
	v_cmp_eq_u16_e32 vcc, 0, v23
	v_cndmask_b32_e32 v12, v16, v12, vcc
	v_cndmask_b32_e32 v16, v24, v25, vcc
	v_mov_b32_e32 v23, 0x37800000
	v_lshlrev_b32_e32 v12, 21, v12
	v_lshl_add_u32 v16, v16, 23, v23
	v_or3_b32 v16, v22, v16, v12
.LBB1_2720:
	s_or_b64 exec, exec, s[6:7]
	s_nop 0
	v_mfma_f32_16x16x4f32 a[0:3], v21, v16, a[0:3]
	s_movk_i32 s4, 0x7f
	v_cmp_gt_i16_sdwa s[6:7], v17, s4 src0_sel:BYTE_0 src1_sel:DWORD
	s_mov_b64 s[4:5], 0
                                        ; implicit-def: $sgpr10
	s_and_saveexec_b64 s[8:9], s[6:7]
	s_xor_b64 s[6:7], exec, s[8:9]
	s_cbranch_execz .LBB1_2721
; %bb.16563:
	s_getpc_b64 s[14:15]
.Lpost_getpc4185:
	s_add_u32 s14, s14, (.LBB1_6817-.Lpost_getpc4185)&4294967295
	s_addc_u32 s15, s15, (.LBB1_6817-.Lpost_getpc4185)>>32
	s_setpc_b64 s[14:15]
.LBB1_2721:
	s_or_saveexec_b64 s[6:7], s[6:7]
	v_mov_b32_e32 v12, s10
	s_xor_b64 exec, exec, s[6:7]
	s_cbranch_execz .LBB1_2722
; %bb.16565:
	s_getpc_b64 s[14:15]
.Lpost_getpc4186:
	s_add_u32 s14, s14, (.LBB1_6820-.Lpost_getpc4186)&4294967295
	s_addc_u32 s15, s15, (.LBB1_6820-.Lpost_getpc4186)>>32
	s_setpc_b64 s[14:15]
.LBB1_2722:
	s_or_b64 exec, exec, s[6:7]
	s_and_saveexec_b64 s[6:7], s[4:5]
	s_cbranch_execz .LBB1_2724
.LBB1_2723:
	v_and_b32_e32 v12, 7, v17
	v_ffbh_u32_e32 v21, v12
	v_min_u32_e32 v21, 32, v21
	v_lshrrev_b16_e32 v16, 3, v17
	v_subrev_u32_e32 v22, 28, v21
	v_and_b32_e32 v16, 15, v16
	v_lshlrev_b32_e32 v22, v22, v17
	v_sub_u32_e32 v21, 29, v21
	v_and_b32_e32 v22, 7, v22
	v_cmp_eq_u16_e32 vcc, 0, v16
	v_cndmask_b32_e32 v12, v12, v22, vcc
	v_cndmask_b32_e32 v16, v16, v21, vcc
	v_lshlrev_b32_e32 v21, 24, v17
	v_mov_b32_e32 v22, 0x3b800000
	v_lshlrev_b32_e32 v12, 20, v12
	v_and_b32_e32 v21, 0x80000000, v21
	v_lshl_add_u32 v16, v16, 23, v22
	v_or3_b32 v12, v21, v16, v12
.LBB1_2724:
	s_or_b64 exec, exec, s[6:7]
	s_movk_i32 s4, 0x7f
	v_cmp_gt_i16_sdwa s[6:7], v13, s4 src0_sel:BYTE_0 src1_sel:DWORD
	s_mov_b64 s[4:5], 0
                                        ; implicit-def: $sgpr10
	s_and_saveexec_b64 s[8:9], s[6:7]
	s_xor_b64 s[6:7], exec, s[8:9]
	s_cbranch_execz .LBB1_2725
; %bb.16567:
	s_getpc_b64 s[14:15]
.Lpost_getpc4187:
	s_add_u32 s14, s14, (.LBB1_6821-.Lpost_getpc4187)&4294967295
	s_addc_u32 s15, s15, (.LBB1_6821-.Lpost_getpc4187)>>32
	s_setpc_b64 s[14:15]
.LBB1_2725:
	s_or_saveexec_b64 s[6:7], s[6:7]
	v_mov_b32_e32 v16, s10
	s_xor_b64 exec, exec, s[6:7]
	s_cbranch_execz .LBB1_2726
; %bb.16569:
	s_getpc_b64 s[14:15]
.Lpost_getpc4188:
	s_add_u32 s14, s14, (.LBB1_6824-.Lpost_getpc4188)&4294967295
	s_addc_u32 s15, s15, (.LBB1_6824-.Lpost_getpc4188)>>32
	s_setpc_b64 s[14:15]
.LBB1_2726:
	s_or_b64 exec, exec, s[6:7]
	s_and_saveexec_b64 s[6:7], s[4:5]
	s_cbranch_execz .LBB1_2728
.LBB1_2727:
	v_and_b32_e32 v16, 3, v13
	v_ffbh_u32_e32 v22, v16
	v_min_u32_e32 v22, 32, v22
	v_lshrrev_b16_e32 v21, 2, v13
	v_subrev_u32_e32 v23, 29, v22
	v_and_b32_e32 v21, 31, v21
	v_lshlrev_b32_e32 v23, v23, v13
	v_sub_u32_e32 v22, 30, v22
	v_and_b32_e32 v23, 3, v23
	v_cmp_eq_u16_e32 vcc, 0, v21
	v_cndmask_b32_e32 v16, v16, v23, vcc
	v_cndmask_b32_e32 v21, v21, v22, vcc
	v_lshlrev_b32_e32 v22, 24, v13
	v_mov_b32_e32 v23, 0x37800000
	v_lshlrev_b32_e32 v16, 21, v16
	v_and_b32_e32 v22, 0x80000000, v22
	v_lshl_add_u32 v21, v21, 23, v23
	v_or3_b32 v16, v22, v21, v16
.LBB1_2728:
	s_or_b64 exec, exec, s[6:7]
	s_nop 0
	v_mfma_f32_16x16x4f32 a[0:3], v12, v16, a[0:3]
	v_lshrrev_b32_e32 v16, 8, v17
	s_movk_i32 s4, 0x7f
	v_cmp_gt_i16_sdwa s[6:7], v16, s4 src0_sel:BYTE_0 src1_sel:DWORD
	s_mov_b64 s[4:5], 0
                                        ; implicit-def: $sgpr10
	s_and_saveexec_b64 s[8:9], s[6:7]
	s_xor_b64 s[6:7], exec, s[8:9]
	s_cbranch_execz .LBB1_2729
; %bb.16571:
	s_getpc_b64 s[14:15]
.Lpost_getpc4189:
	s_add_u32 s14, s14, (.LBB1_6825-.Lpost_getpc4189)&4294967295
	s_addc_u32 s15, s15, (.LBB1_6825-.Lpost_getpc4189)>>32
	s_setpc_b64 s[14:15]
.LBB1_2729:
	s_or_saveexec_b64 s[6:7], s[6:7]
	v_mov_b32_e32 v12, s10
	s_xor_b64 exec, exec, s[6:7]
	s_cbranch_execz .LBB1_2730
; %bb.16573:
	s_getpc_b64 s[14:15]
.Lpost_getpc4190:
	s_add_u32 s14, s14, (.LBB1_6828-.Lpost_getpc4190)&4294967295
	s_addc_u32 s15, s15, (.LBB1_6828-.Lpost_getpc4190)>>32
	s_setpc_b64 s[14:15]
.LBB1_2730:
	s_or_b64 exec, exec, s[6:7]
	s_and_saveexec_b64 s[6:7], s[4:5]
	s_cbranch_execz .LBB1_2732
.LBB1_2731:
	v_bfe_u32 v12, v17, 8, 3
	v_ffbh_u32_e32 v22, v12
	v_min_u32_e32 v22, 32, v22
	v_lshrrev_b16_e32 v21, 3, v16
	v_subrev_u32_e32 v23, 28, v22
	v_and_b32_e32 v21, 15, v21
	v_lshlrev_b32_e32 v16, v23, v16
	v_sub_u32_e32 v22, 29, v22
	v_and_b32_e32 v16, 7, v16
	v_cmp_eq_u16_e32 vcc, 0, v21
	v_cndmask_b32_e32 v12, v12, v16, vcc
	v_cndmask_b32_e32 v16, v21, v22, vcc
	v_lshlrev_b32_e32 v21, 16, v17
	v_mov_b32_e32 v22, 0x3b800000
	v_lshlrev_b32_e32 v12, 20, v12
	v_and_b32_e32 v21, 0x80000000, v21
	v_lshl_add_u32 v16, v16, 23, v22
	v_or3_b32 v12, v21, v16, v12
.LBB1_2732:
	s_or_b64 exec, exec, s[6:7]
	v_lshrrev_b32_e32 v16, 8, v13
	s_movk_i32 s4, 0x7f
	v_cmp_gt_i16_sdwa s[6:7], v16, s4 src0_sel:BYTE_0 src1_sel:DWORD
	s_mov_b64 s[4:5], 0
                                        ; implicit-def: $sgpr10
	s_and_saveexec_b64 s[8:9], s[6:7]
	s_xor_b64 s[6:7], exec, s[8:9]
	s_cbranch_execz .LBB1_2733
; %bb.16575:
	s_getpc_b64 s[14:15]
.Lpost_getpc4191:
	s_add_u32 s14, s14, (.LBB1_6829-.Lpost_getpc4191)&4294967295
	s_addc_u32 s15, s15, (.LBB1_6829-.Lpost_getpc4191)>>32
	s_setpc_b64 s[14:15]
.LBB1_2733:
	s_or_saveexec_b64 s[6:7], s[6:7]
	v_mov_b32_e32 v21, s10
	s_xor_b64 exec, exec, s[6:7]
	s_cbranch_execz .LBB1_2734
; %bb.16577:
	s_getpc_b64 s[14:15]
.Lpost_getpc4192:
	s_add_u32 s14, s14, (.LBB1_6832-.Lpost_getpc4192)&4294967295
	s_addc_u32 s15, s15, (.LBB1_6832-.Lpost_getpc4192)>>32
	s_setpc_b64 s[14:15]
.LBB1_2734:
	s_or_b64 exec, exec, s[6:7]
	s_and_saveexec_b64 s[6:7], s[4:5]
	s_cbranch_execz .LBB1_2736
.LBB1_2735:
	v_bfe_u32 v21, v13, 8, 2
	v_ffbh_u32_e32 v23, v21
	v_min_u32_e32 v23, 32, v23
	v_lshrrev_b16_e32 v22, 2, v16
	v_subrev_u32_e32 v24, 29, v23
	v_and_b32_e32 v22, 31, v22
	v_lshlrev_b32_e32 v16, v24, v16
	v_sub_u32_e32 v23, 30, v23
	v_and_b32_e32 v16, 3, v16
	v_cmp_eq_u16_e32 vcc, 0, v22
	v_cndmask_b32_e32 v16, v21, v16, vcc
	v_cndmask_b32_e32 v21, v22, v23, vcc
	v_lshlrev_b32_e32 v22, 16, v13
	v_mov_b32_e32 v23, 0x37800000
	v_lshlrev_b32_e32 v16, 21, v16
	v_and_b32_e32 v22, 0x80000000, v22
	v_lshl_add_u32 v21, v21, 23, v23
	v_or3_b32 v21, v22, v21, v16
.LBB1_2736:
	s_or_b64 exec, exec, s[6:7]
	s_nop 0
	v_mfma_f32_16x16x4f32 a[0:3], v12, v21, a[0:3]
	s_movk_i32 s4, 0xff
	v_and_b32_sdwa v16, v17, s4 dst_sel:DWORD dst_unused:UNUSED_PAD src0_sel:WORD_1 src1_sel:DWORD
	s_movk_i32 s4, 0x7f
	v_cmp_lt_i16_e32 vcc, s4, v16
	s_mov_b64 s[4:5], 0
                                        ; implicit-def: $sgpr10
	s_and_saveexec_b64 s[6:7], vcc
	s_xor_b64 s[6:7], exec, s[6:7]
	s_cbranch_execz .LBB1_2737
; %bb.16579:
	s_getpc_b64 s[14:15]
.Lpost_getpc4193:
	s_add_u32 s14, s14, (.LBB1_6833-.Lpost_getpc4193)&4294967295
	s_addc_u32 s15, s15, (.LBB1_6833-.Lpost_getpc4193)>>32
	s_setpc_b64 s[14:15]
.LBB1_2737:
	s_or_saveexec_b64 s[6:7], s[6:7]
	v_mov_b32_e32 v12, s10
	s_xor_b64 exec, exec, s[6:7]
	s_cbranch_execz .LBB1_2738
; %bb.16581:
	s_getpc_b64 s[14:15]
.Lpost_getpc4194:
	s_add_u32 s14, s14, (.LBB1_6836-.Lpost_getpc4194)&4294967295
	s_addc_u32 s15, s15, (.LBB1_6836-.Lpost_getpc4194)>>32
	s_setpc_b64 s[14:15]
.LBB1_2738:
	s_or_b64 exec, exec, s[6:7]
	s_and_saveexec_b64 s[6:7], s[4:5]
	s_cbranch_execz .LBB1_2740
.LBB1_2739:
	v_bfe_u32 v12, v17, 16, 3
	v_ffbh_u32_e32 v22, v12
	v_min_u32_e32 v22, 32, v22
	v_lshrrev_b32_e32 v16, 19, v17
	v_subrev_u32_e32 v23, 28, v22
	v_and_b32_e32 v16, 15, v16
	v_lshlrev_b32_sdwa v23, v23, v17 dst_sel:DWORD dst_unused:UNUSED_PAD src0_sel:DWORD src1_sel:WORD_1
	v_bfe_u32 v21, v17, 19, 4
	v_sub_u32_e32 v22, 29, v22
	v_and_b32_e32 v23, 7, v23
	v_cmp_eq_u16_e32 vcc, 0, v16
	v_cndmask_b32_e32 v12, v12, v23, vcc
	v_cndmask_b32_e32 v16, v21, v22, vcc
	v_lshlrev_b32_e32 v21, 8, v17
	v_mov_b32_e32 v22, 0x3b800000
	v_lshlrev_b32_e32 v12, 20, v12
	v_and_b32_e32 v21, 0x80000000, v21
	v_lshl_add_u32 v16, v16, 23, v22
	v_or3_b32 v12, v21, v16, v12
.LBB1_2740:
	s_or_b64 exec, exec, s[6:7]
	s_movk_i32 s4, 0xff
	v_and_b32_sdwa v16, v13, s4 dst_sel:DWORD dst_unused:UNUSED_PAD src0_sel:WORD_1 src1_sel:DWORD
	s_movk_i32 s4, 0x7f
	v_cmp_lt_i16_e32 vcc, s4, v16
	s_mov_b64 s[4:5], 0
                                        ; implicit-def: $sgpr10
	s_and_saveexec_b64 s[6:7], vcc
	s_xor_b64 s[6:7], exec, s[6:7]
	s_cbranch_execz .LBB1_2741
; %bb.16583:
	s_getpc_b64 s[14:15]
.Lpost_getpc4195:
	s_add_u32 s14, s14, (.LBB1_6837-.Lpost_getpc4195)&4294967295
	s_addc_u32 s15, s15, (.LBB1_6837-.Lpost_getpc4195)>>32
	s_setpc_b64 s[14:15]
.LBB1_2741:
	s_or_saveexec_b64 s[6:7], s[6:7]
	v_mov_b32_e32 v21, s10
	s_xor_b64 exec, exec, s[6:7]
	s_cbranch_execz .LBB1_2742
; %bb.16585:
	s_getpc_b64 s[14:15]
.Lpost_getpc4196:
	s_add_u32 s14, s14, (.LBB1_6840-.Lpost_getpc4196)&4294967295
	s_addc_u32 s15, s15, (.LBB1_6840-.Lpost_getpc4196)>>32
	s_setpc_b64 s[14:15]
.LBB1_2742:
	s_or_b64 exec, exec, s[6:7]
	s_and_saveexec_b64 s[6:7], s[4:5]
	s_cbranch_execz .LBB1_2744
.LBB1_2743:
	v_bfe_u32 v16, v13, 16, 2
	v_ffbh_u32_e32 v23, v16
	v_min_u32_e32 v23, 32, v23
	v_lshrrev_b32_e32 v21, 18, v13
	v_subrev_u32_e32 v24, 29, v23
	v_and_b32_e32 v21, 31, v21
	v_lshlrev_b32_sdwa v24, v24, v13 dst_sel:DWORD dst_unused:UNUSED_PAD src0_sel:DWORD src1_sel:WORD_1
	v_bfe_u32 v22, v13, 18, 5
	v_sub_u32_e32 v23, 30, v23
	v_and_b32_e32 v24, 3, v24
	v_cmp_eq_u16_e32 vcc, 0, v21
	v_cndmask_b32_e32 v16, v16, v24, vcc
	v_cndmask_b32_e32 v21, v22, v23, vcc
	v_lshlrev_b32_e32 v22, 8, v13
	v_mov_b32_e32 v23, 0x37800000
	v_lshlrev_b32_e32 v16, 21, v16
	v_and_b32_e32 v22, 0x80000000, v22
	v_lshl_add_u32 v21, v21, 23, v23
	v_or3_b32 v21, v22, v21, v16
.LBB1_2744:
	s_or_b64 exec, exec, s[6:7]
	s_nop 0
	v_mfma_f32_16x16x4f32 a[0:3], v12, v21, a[0:3]
	s_movk_i32 s4, 0x7f
	v_cmp_gt_i16_sdwa s[6:7], v17, s4 src0_sel:BYTE_3 src1_sel:DWORD
	s_mov_b64 s[4:5], 0
                                        ; implicit-def: $sgpr10
	s_and_saveexec_b64 s[8:9], s[6:7]
	s_xor_b64 s[6:7], exec, s[8:9]
	s_cbranch_execz .LBB1_2745
; %bb.16587:
	s_getpc_b64 s[14:15]
.Lpost_getpc4197:
	s_add_u32 s14, s14, (.LBB1_6841-.Lpost_getpc4197)&4294967295
	s_addc_u32 s15, s15, (.LBB1_6841-.Lpost_getpc4197)>>32
	s_setpc_b64 s[14:15]
.LBB1_2745:
	s_or_saveexec_b64 s[6:7], s[6:7]
	v_mov_b32_e32 v12, s10
	s_xor_b64 exec, exec, s[6:7]
	s_cbranch_execz .LBB1_2746
; %bb.16589:
	s_getpc_b64 s[14:15]
.Lpost_getpc4198:
	s_add_u32 s14, s14, (.LBB1_6844-.Lpost_getpc4198)&4294967295
	s_addc_u32 s15, s15, (.LBB1_6844-.Lpost_getpc4198)>>32
	s_setpc_b64 s[14:15]
.LBB1_2746:
	s_or_b64 exec, exec, s[6:7]
	s_and_saveexec_b64 s[6:7], s[4:5]
	s_cbranch_execz .LBB1_2748
.LBB1_2747:
	v_bfe_u32 v12, v17, 24, 3
	v_ffbh_u32_e32 v23, v12
	v_min_u32_e32 v23, 32, v23
	v_lshrrev_b32_e32 v21, 27, v17
	v_subrev_u32_e32 v24, 28, v23
	v_and_b32_e32 v16, 0x80000000, v17
	v_and_b32_e32 v21, 15, v21
	v_bfe_u32 v22, v17, 27, 4
	v_lshlrev_b32_sdwa v17, v24, v17 dst_sel:DWORD dst_unused:UNUSED_PAD src0_sel:DWORD src1_sel:BYTE_3
	v_sub_u32_e32 v23, 29, v23
	v_and_b32_e32 v17, 7, v17
	v_cmp_eq_u16_e32 vcc, 0, v21
	v_cndmask_b32_e32 v12, v12, v17, vcc
	v_cndmask_b32_e32 v17, v22, v23, vcc
	v_mov_b32_e32 v21, 0x3b800000
	v_lshlrev_b32_e32 v12, 20, v12
	v_lshl_add_u32 v17, v17, 23, v21
	v_or3_b32 v12, v16, v17, v12
.LBB1_2748:
	s_or_b64 exec, exec, s[6:7]
	s_movk_i32 s4, 0x7f
	v_cmp_gt_i16_sdwa s[6:7], v13, s4 src0_sel:BYTE_3 src1_sel:DWORD
	s_mov_b64 s[4:5], 0
                                        ; implicit-def: $sgpr10
	s_and_saveexec_b64 s[8:9], s[6:7]
	s_xor_b64 s[6:7], exec, s[8:9]
	s_cbranch_execz .LBB1_2749
; %bb.16591:
	s_getpc_b64 s[14:15]
.Lpost_getpc4199:
	s_add_u32 s14, s14, (.LBB1_6845-.Lpost_getpc4199)&4294967295
	s_addc_u32 s15, s15, (.LBB1_6845-.Lpost_getpc4199)>>32
	s_setpc_b64 s[14:15]
.LBB1_2749:
	s_or_saveexec_b64 s[6:7], s[6:7]
	v_mov_b32_e32 v16, s10
	s_xor_b64 exec, exec, s[6:7]
	s_cbranch_execz .LBB1_2750
; %bb.16593:
	s_getpc_b64 s[14:15]
.Lpost_getpc4200:
	s_add_u32 s14, s14, (.LBB1_6848-.Lpost_getpc4200)&4294967295
	s_addc_u32 s15, s15, (.LBB1_6848-.Lpost_getpc4200)>>32
	s_setpc_b64 s[14:15]
.LBB1_2750:
	s_or_b64 exec, exec, s[6:7]
	s_and_saveexec_b64 s[6:7], s[4:5]
	s_cbranch_execz .LBB1_2752
.LBB1_2751:
	v_bfe_u32 v16, v13, 24, 2
	v_ffbh_u32_e32 v23, v16
	v_min_u32_e32 v23, 32, v23
	v_lshrrev_b32_e32 v21, 26, v13
	v_subrev_u32_e32 v24, 29, v23
	v_and_b32_e32 v17, 0x80000000, v13
	v_and_b32_e32 v21, 31, v21
	v_bfe_u32 v22, v13, 26, 5
	v_lshlrev_b32_sdwa v13, v24, v13 dst_sel:DWORD dst_unused:UNUSED_PAD src0_sel:DWORD src1_sel:BYTE_3
	v_sub_u32_e32 v23, 30, v23
	v_and_b32_e32 v13, 3, v13
	v_cmp_eq_u16_e32 vcc, 0, v21
	v_cndmask_b32_e32 v13, v16, v13, vcc
	v_cndmask_b32_e32 v16, v22, v23, vcc
	v_mov_b32_e32 v21, 0x37800000
	v_lshlrev_b32_e32 v13, 21, v13
	v_lshl_add_u32 v16, v16, 23, v21
	v_or3_b32 v16, v17, v16, v13
.LBB1_2752:
	s_or_b64 exec, exec, s[6:7]
	s_nop 0
	v_mfma_f32_16x16x4f32 a[0:3], v12, v16, a[0:3]
	s_movk_i32 s4, 0x7f
	v_cmp_gt_i16_sdwa s[6:7], v18, s4 src0_sel:BYTE_0 src1_sel:DWORD
	s_mov_b64 s[4:5], 0
                                        ; implicit-def: $sgpr10
	s_and_saveexec_b64 s[8:9], s[6:7]
	s_xor_b64 s[6:7], exec, s[8:9]
	s_cbranch_execz .LBB1_2753
; %bb.16595:
	s_getpc_b64 s[14:15]
.Lpost_getpc4201:
	s_add_u32 s14, s14, (.LBB1_6849-.Lpost_getpc4201)&4294967295
	s_addc_u32 s15, s15, (.LBB1_6849-.Lpost_getpc4201)>>32
	s_setpc_b64 s[14:15]
.LBB1_2753:
	s_or_saveexec_b64 s[6:7], s[6:7]
	v_mov_b32_e32 v13, s10
	s_xor_b64 exec, exec, s[6:7]
	s_cbranch_execz .LBB1_2754
; %bb.16597:
	s_getpc_b64 s[14:15]
.Lpost_getpc4202:
	s_add_u32 s14, s14, (.LBB1_6852-.Lpost_getpc4202)&4294967295
	s_addc_u32 s15, s15, (.LBB1_6852-.Lpost_getpc4202)>>32
	s_setpc_b64 s[14:15]
.LBB1_2754:
	s_or_b64 exec, exec, s[6:7]
	s_and_saveexec_b64 s[6:7], s[4:5]
	s_cbranch_execz .LBB1_2756
.LBB1_2755:
	v_and_b32_e32 v12, 7, v18
	v_ffbh_u32_e32 v16, v12
	v_min_u32_e32 v16, 32, v16
	v_lshrrev_b16_e32 v13, 3, v18
	v_subrev_u32_e32 v17, 28, v16
	v_and_b32_e32 v13, 15, v13
	v_lshlrev_b32_e32 v17, v17, v18
	v_sub_u32_e32 v16, 29, v16
	v_and_b32_e32 v17, 7, v17
	v_cmp_eq_u16_e32 vcc, 0, v13
	v_cndmask_b32_e32 v12, v12, v17, vcc
	v_cndmask_b32_e32 v13, v13, v16, vcc
	v_lshlrev_b32_e32 v16, 24, v18
	v_mov_b32_e32 v17, 0x3b800000
	v_lshlrev_b32_e32 v12, 20, v12
	v_and_b32_e32 v16, 0x80000000, v16
	v_lshl_add_u32 v13, v13, 23, v17
	v_or3_b32 v13, v16, v13, v12
.LBB1_2756:
	s_or_b64 exec, exec, s[6:7]
	s_movk_i32 s4, 0xff
	v_mov_b32_e32 v12, 8
	v_or_b32_sdwa v16, v14, v20 dst_sel:DWORD dst_unused:UNUSED_PAD src0_sel:BYTE_0 src1_sel:DWORD
	v_lshlrev_b16_sdwa v12, v12, v14 dst_sel:DWORD dst_unused:UNUSED_PAD src0_sel:DWORD src1_sel:BYTE_3
	v_and_b32_sdwa v14, v14, s4 dst_sel:DWORD dst_unused:UNUSED_PAD src0_sel:WORD_1 src1_sel:DWORD
	s_movk_i32 s4, 0x7f
	v_or_b32_sdwa v12, v14, v12 dst_sel:WORD_1 dst_unused:UNUSED_PAD src0_sel:DWORD src1_sel:DWORD
	v_cmp_gt_i16_sdwa s[6:7], v16, s4 src0_sel:BYTE_0 src1_sel:DWORD
	s_mov_b64 s[4:5], 0
                                        ; implicit-def: $sgpr10
	s_and_saveexec_b64 s[8:9], s[6:7]
	s_xor_b64 s[6:7], exec, s[8:9]
	s_cbranch_execz .LBB1_2757
; %bb.16599:
	s_getpc_b64 s[14:15]
.Lpost_getpc4203:
	s_add_u32 s14, s14, (.LBB1_6853-.Lpost_getpc4203)&4294967295
	s_addc_u32 s15, s15, (.LBB1_6853-.Lpost_getpc4203)>>32
	s_setpc_b64 s[14:15]
.LBB1_2757:
	s_or_saveexec_b64 s[6:7], s[6:7]
	v_mov_b32_e32 v14, s10
	s_xor_b64 exec, exec, s[6:7]
	s_cbranch_execz .LBB1_2758
; %bb.16601:
	s_getpc_b64 s[14:15]
.Lpost_getpc4204:
	s_add_u32 s14, s14, (.LBB1_6856-.Lpost_getpc4204)&4294967295
	s_addc_u32 s15, s15, (.LBB1_6856-.Lpost_getpc4204)>>32
	s_setpc_b64 s[14:15]
.LBB1_2758:
	s_or_b64 exec, exec, s[6:7]
	v_or_b32_sdwa v12, v16, v12 dst_sel:DWORD dst_unused:UNUSED_PAD src0_sel:WORD_0 src1_sel:DWORD
	s_and_saveexec_b64 s[6:7], s[4:5]
	s_cbranch_execz .LBB1_2760
.LBB1_2759:
	v_and_b32_e32 v14, 3, v12
	v_ffbh_u32_e32 v17, v14
	v_min_u32_e32 v17, 32, v17
	v_lshrrev_b16_e32 v16, 2, v16
	v_subrev_u32_e32 v20, 29, v17
	v_and_b32_e32 v16, 31, v16
	v_lshlrev_b32_e32 v20, v20, v12
	v_sub_u32_e32 v17, 30, v17
	v_and_b32_e32 v20, 3, v20
	v_cmp_eq_u16_e32 vcc, 0, v16
	v_cndmask_b32_e32 v14, v14, v20, vcc
	v_cndmask_b32_e32 v16, v16, v17, vcc
	v_lshlrev_b32_e32 v17, 24, v12
	v_mov_b32_e32 v20, 0x37800000
	v_lshlrev_b32_e32 v14, 21, v14
	v_and_b32_e32 v17, 0x80000000, v17
	v_lshl_add_u32 v16, v16, 23, v20
	v_or3_b32 v14, v17, v16, v14
.LBB1_2760:
	s_or_b64 exec, exec, s[6:7]
	s_nop 0
	v_mfma_f32_16x16x4f32 a[0:3], v13, v14, a[0:3]
	v_lshrrev_b32_e32 v14, 8, v18
	s_movk_i32 s4, 0x7f
	v_cmp_gt_i16_sdwa s[6:7], v14, s4 src0_sel:BYTE_0 src1_sel:DWORD
	s_mov_b64 s[4:5], 0
                                        ; implicit-def: $sgpr10
	s_and_saveexec_b64 s[8:9], s[6:7]
	s_xor_b64 s[6:7], exec, s[8:9]
	s_cbranch_execz .LBB1_2761
; %bb.16603:
	s_getpc_b64 s[14:15]
.Lpost_getpc4205:
	s_add_u32 s14, s14, (.LBB1_6857-.Lpost_getpc4205)&4294967295
	s_addc_u32 s15, s15, (.LBB1_6857-.Lpost_getpc4205)>>32
	s_setpc_b64 s[14:15]
.LBB1_2761:
	s_or_saveexec_b64 s[6:7], s[6:7]
	v_mov_b32_e32 v13, s10
	s_xor_b64 exec, exec, s[6:7]
	s_cbranch_execz .LBB1_2762
; %bb.16605:
	s_getpc_b64 s[14:15]
.Lpost_getpc4206:
	s_add_u32 s14, s14, (.LBB1_6860-.Lpost_getpc4206)&4294967295
	s_addc_u32 s15, s15, (.LBB1_6860-.Lpost_getpc4206)>>32
	s_setpc_b64 s[14:15]
.LBB1_2762:
	s_or_b64 exec, exec, s[6:7]
	s_and_saveexec_b64 s[6:7], s[4:5]
	s_cbranch_execz .LBB1_2764
.LBB1_2763:
	v_bfe_u32 v13, v18, 8, 3
	v_ffbh_u32_e32 v17, v13
	v_min_u32_e32 v17, 32, v17
	v_lshrrev_b16_e32 v16, 3, v14
	v_subrev_u32_e32 v20, 28, v17
	v_and_b32_e32 v16, 15, v16
	v_lshlrev_b32_e32 v14, v20, v14
	v_sub_u32_e32 v17, 29, v17
	v_and_b32_e32 v14, 7, v14
	v_cmp_eq_u16_e32 vcc, 0, v16
	v_cndmask_b32_e32 v13, v13, v14, vcc
	v_cndmask_b32_e32 v14, v16, v17, vcc
	v_lshlrev_b32_e32 v16, 16, v18
	v_mov_b32_e32 v17, 0x3b800000
	v_lshlrev_b32_e32 v13, 20, v13
	v_and_b32_e32 v16, 0x80000000, v16
	v_lshl_add_u32 v14, v14, 23, v17
	v_or3_b32 v13, v16, v14, v13
.LBB1_2764:
	s_or_b64 exec, exec, s[6:7]
	v_lshrrev_b32_e32 v14, 8, v12
	s_movk_i32 s4, 0x7f
	v_cmp_gt_i16_sdwa s[6:7], v14, s4 src0_sel:BYTE_0 src1_sel:DWORD
	s_mov_b64 s[4:5], 0
                                        ; implicit-def: $sgpr10
	s_and_saveexec_b64 s[8:9], s[6:7]
	s_xor_b64 s[6:7], exec, s[8:9]
	s_cbranch_execz .LBB1_2765
; %bb.16607:
	s_getpc_b64 s[14:15]
.Lpost_getpc4207:
	s_add_u32 s14, s14, (.LBB1_6861-.Lpost_getpc4207)&4294967295
	s_addc_u32 s15, s15, (.LBB1_6861-.Lpost_getpc4207)>>32
	s_setpc_b64 s[14:15]
.LBB1_2765:
	s_or_saveexec_b64 s[6:7], s[6:7]
	v_mov_b32_e32 v16, s10
	s_xor_b64 exec, exec, s[6:7]
	s_cbranch_execz .LBB1_2766
; %bb.16609:
	s_getpc_b64 s[14:15]
.Lpost_getpc4208:
	s_add_u32 s14, s14, (.LBB1_6864-.Lpost_getpc4208)&4294967295
	s_addc_u32 s15, s15, (.LBB1_6864-.Lpost_getpc4208)>>32
	s_setpc_b64 s[14:15]
.LBB1_2766:
	s_or_b64 exec, exec, s[6:7]
	s_and_saveexec_b64 s[6:7], s[4:5]
	s_cbranch_execz .LBB1_2768
.LBB1_2767:
	v_bfe_u32 v16, v12, 8, 2
	v_ffbh_u32_e32 v20, v16
	v_min_u32_e32 v20, 32, v20
	v_lshrrev_b16_e32 v17, 2, v14
	v_subrev_u32_e32 v21, 29, v20
	v_and_b32_e32 v17, 31, v17
	v_lshlrev_b32_e32 v14, v21, v14
	v_sub_u32_e32 v20, 30, v20
	v_and_b32_e32 v14, 3, v14
	v_cmp_eq_u16_e32 vcc, 0, v17
	v_cndmask_b32_e32 v14, v16, v14, vcc
	v_cndmask_b32_e32 v16, v17, v20, vcc
	v_lshlrev_b32_e32 v17, 16, v12
	v_mov_b32_e32 v20, 0x37800000
	v_lshlrev_b32_e32 v14, 21, v14
	v_and_b32_e32 v17, 0x80000000, v17
	v_lshl_add_u32 v16, v16, 23, v20
	v_or3_b32 v16, v17, v16, v14
.LBB1_2768:
	s_or_b64 exec, exec, s[6:7]
	s_nop 0
	v_mfma_f32_16x16x4f32 a[0:3], v13, v16, a[0:3]
	s_movk_i32 s4, 0xff
	v_and_b32_sdwa v14, v18, s4 dst_sel:DWORD dst_unused:UNUSED_PAD src0_sel:WORD_1 src1_sel:DWORD
	s_movk_i32 s4, 0x7f
	v_cmp_lt_i16_e32 vcc, s4, v14
	s_mov_b64 s[4:5], 0
                                        ; implicit-def: $sgpr10
	s_and_saveexec_b64 s[6:7], vcc
	s_xor_b64 s[6:7], exec, s[6:7]
	s_cbranch_execz .LBB1_2769
; %bb.16611:
	s_getpc_b64 s[14:15]
.Lpost_getpc4209:
	s_add_u32 s14, s14, (.LBB1_6865-.Lpost_getpc4209)&4294967295
	s_addc_u32 s15, s15, (.LBB1_6865-.Lpost_getpc4209)>>32
	s_setpc_b64 s[14:15]
.LBB1_2769:
	s_or_saveexec_b64 s[6:7], s[6:7]
	v_mov_b32_e32 v13, s10
	s_xor_b64 exec, exec, s[6:7]
	s_cbranch_execz .LBB1_2770
; %bb.16613:
	s_getpc_b64 s[14:15]
.Lpost_getpc4210:
	s_add_u32 s14, s14, (.LBB1_6868-.Lpost_getpc4210)&4294967295
	s_addc_u32 s15, s15, (.LBB1_6868-.Lpost_getpc4210)>>32
	s_setpc_b64 s[14:15]
.LBB1_2770:
	s_or_b64 exec, exec, s[6:7]
	s_and_saveexec_b64 s[6:7], s[4:5]
	s_cbranch_execz .LBB1_2772
.LBB1_2771:
	v_bfe_u32 v13, v18, 16, 3
	v_ffbh_u32_e32 v17, v13
	v_min_u32_e32 v17, 32, v17
	v_lshrrev_b32_e32 v14, 19, v18
	v_subrev_u32_e32 v20, 28, v17
	v_and_b32_e32 v14, 15, v14
	v_lshlrev_b32_sdwa v20, v20, v18 dst_sel:DWORD dst_unused:UNUSED_PAD src0_sel:DWORD src1_sel:WORD_1
	v_bfe_u32 v16, v18, 19, 4
	v_sub_u32_e32 v17, 29, v17
	v_and_b32_e32 v20, 7, v20
	v_cmp_eq_u16_e32 vcc, 0, v14
	v_cndmask_b32_e32 v13, v13, v20, vcc
	v_cndmask_b32_e32 v14, v16, v17, vcc
	v_lshlrev_b32_e32 v16, 8, v18
	v_mov_b32_e32 v17, 0x3b800000
	v_lshlrev_b32_e32 v13, 20, v13
	v_and_b32_e32 v16, 0x80000000, v16
	v_lshl_add_u32 v14, v14, 23, v17
	v_or3_b32 v13, v16, v14, v13
.LBB1_2772:
	s_or_b64 exec, exec, s[6:7]
	s_movk_i32 s4, 0xff
	v_and_b32_sdwa v14, v12, s4 dst_sel:DWORD dst_unused:UNUSED_PAD src0_sel:WORD_1 src1_sel:DWORD
	s_movk_i32 s4, 0x7f
	v_cmp_lt_i16_e32 vcc, s4, v14
	s_mov_b64 s[4:5], 0
                                        ; implicit-def: $sgpr10
	s_and_saveexec_b64 s[6:7], vcc
	s_xor_b64 s[6:7], exec, s[6:7]
	s_cbranch_execz .LBB1_2773
; %bb.16615:
	s_getpc_b64 s[14:15]
.Lpost_getpc4211:
	s_add_u32 s14, s14, (.LBB1_6869-.Lpost_getpc4211)&4294967295
	s_addc_u32 s15, s15, (.LBB1_6869-.Lpost_getpc4211)>>32
	s_setpc_b64 s[14:15]
.LBB1_2773:
	s_or_saveexec_b64 s[6:7], s[6:7]
	v_mov_b32_e32 v16, s10
	s_xor_b64 exec, exec, s[6:7]
	s_cbranch_execz .LBB1_2774
; %bb.16617:
	s_getpc_b64 s[14:15]
.Lpost_getpc4212:
	s_add_u32 s14, s14, (.LBB1_6872-.Lpost_getpc4212)&4294967295
	s_addc_u32 s15, s15, (.LBB1_6872-.Lpost_getpc4212)>>32
	s_setpc_b64 s[14:15]
.LBB1_2774:
	s_or_b64 exec, exec, s[6:7]
	s_and_saveexec_b64 s[6:7], s[4:5]
	s_cbranch_execz .LBB1_2776
.LBB1_2775:
	v_bfe_u32 v14, v12, 16, 2
	v_ffbh_u32_e32 v20, v14
	v_min_u32_e32 v20, 32, v20
	v_lshrrev_b32_e32 v16, 18, v12
	v_subrev_u32_e32 v21, 29, v20
	v_and_b32_e32 v16, 31, v16
	v_lshlrev_b32_sdwa v21, v21, v12 dst_sel:DWORD dst_unused:UNUSED_PAD src0_sel:DWORD src1_sel:WORD_1
	v_bfe_u32 v17, v12, 18, 5
	v_sub_u32_e32 v20, 30, v20
	v_and_b32_e32 v21, 3, v21
	v_cmp_eq_u16_e32 vcc, 0, v16
	v_cndmask_b32_e32 v14, v14, v21, vcc
	v_cndmask_b32_e32 v16, v17, v20, vcc
	v_lshlrev_b32_e32 v17, 8, v12
	v_mov_b32_e32 v20, 0x37800000
	v_lshlrev_b32_e32 v14, 21, v14
	v_and_b32_e32 v17, 0x80000000, v17
	v_lshl_add_u32 v16, v16, 23, v20
	v_or3_b32 v16, v17, v16, v14
.LBB1_2776:
	s_or_b64 exec, exec, s[6:7]
	s_nop 0
	v_mfma_f32_16x16x4f32 a[0:3], v13, v16, a[0:3]
	s_movk_i32 s4, 0x7f
	v_cmp_gt_i16_sdwa s[6:7], v18, s4 src0_sel:BYTE_3 src1_sel:DWORD
	s_mov_b64 s[4:5], 0
                                        ; implicit-def: $sgpr10
	s_and_saveexec_b64 s[8:9], s[6:7]
	s_xor_b64 s[6:7], exec, s[8:9]
	s_cbranch_execz .LBB1_2777
; %bb.16619:
	s_getpc_b64 s[14:15]
.Lpost_getpc4213:
	s_add_u32 s14, s14, (.LBB1_6873-.Lpost_getpc4213)&4294967295
	s_addc_u32 s15, s15, (.LBB1_6873-.Lpost_getpc4213)>>32
	s_setpc_b64 s[14:15]
.LBB1_2777:
	s_or_saveexec_b64 s[6:7], s[6:7]
	v_mov_b32_e32 v13, s10
	s_xor_b64 exec, exec, s[6:7]
	s_cbranch_execz .LBB1_2778
; %bb.16621:
	s_getpc_b64 s[14:15]
.Lpost_getpc4214:
	s_add_u32 s14, s14, (.LBB1_6876-.Lpost_getpc4214)&4294967295
	s_addc_u32 s15, s15, (.LBB1_6876-.Lpost_getpc4214)>>32
	s_setpc_b64 s[14:15]
.LBB1_2778:
	s_or_b64 exec, exec, s[6:7]
	s_and_saveexec_b64 s[6:7], s[4:5]
	s_cbranch_execz .LBB1_2780
.LBB1_2779:
	v_bfe_u32 v13, v18, 24, 3
	v_ffbh_u32_e32 v20, v13
	v_min_u32_e32 v20, 32, v20
	v_lshrrev_b32_e32 v16, 27, v18
	v_subrev_u32_e32 v21, 28, v20
	v_and_b32_e32 v14, 0x80000000, v18
	v_and_b32_e32 v16, 15, v16
	v_bfe_u32 v17, v18, 27, 4
	v_lshlrev_b32_sdwa v18, v21, v18 dst_sel:DWORD dst_unused:UNUSED_PAD src0_sel:DWORD src1_sel:BYTE_3
	v_sub_u32_e32 v20, 29, v20
	v_and_b32_e32 v18, 7, v18
	v_cmp_eq_u16_e32 vcc, 0, v16
	v_cndmask_b32_e32 v13, v13, v18, vcc
	v_cndmask_b32_e32 v16, v17, v20, vcc
	v_mov_b32_e32 v17, 0x3b800000
	v_lshlrev_b32_e32 v13, 20, v13
	v_lshl_add_u32 v16, v16, 23, v17
	v_or3_b32 v13, v14, v16, v13
.LBB1_2780:
	s_or_b64 exec, exec, s[6:7]
	s_movk_i32 s4, 0x7f
	v_cmp_gt_i16_sdwa s[6:7], v12, s4 src0_sel:BYTE_3 src1_sel:DWORD
	s_mov_b64 s[4:5], 0
                                        ; implicit-def: $sgpr10
	s_and_saveexec_b64 s[8:9], s[6:7]
	s_xor_b64 s[6:7], exec, s[8:9]
	s_cbranch_execz .LBB1_2781
; %bb.16623:
	s_getpc_b64 s[14:15]
.Lpost_getpc4215:
	s_add_u32 s14, s14, (.LBB1_6877-.Lpost_getpc4215)&4294967295
	s_addc_u32 s15, s15, (.LBB1_6877-.Lpost_getpc4215)>>32
	s_setpc_b64 s[14:15]
.LBB1_2781:
	s_or_saveexec_b64 s[6:7], s[6:7]
	v_mov_b32_e32 v14, s10
	s_xor_b64 exec, exec, s[6:7]
	s_cbranch_execz .LBB1_2782
; %bb.16625:
	s_getpc_b64 s[14:15]
.Lpost_getpc4216:
	s_add_u32 s14, s14, (.LBB1_6880-.Lpost_getpc4216)&4294967295
	s_addc_u32 s15, s15, (.LBB1_6880-.Lpost_getpc4216)>>32
	s_setpc_b64 s[14:15]
.LBB1_2782:
	s_or_b64 exec, exec, s[6:7]
	s_and_saveexec_b64 s[6:7], s[4:5]
	s_cbranch_execz .LBB1_2784
.LBB1_2783:
	v_bfe_u32 v14, v12, 24, 2
	v_ffbh_u32_e32 v20, v14
	v_min_u32_e32 v20, 32, v20
	v_lshrrev_b32_e32 v17, 26, v12
	v_subrev_u32_e32 v21, 29, v20
	v_and_b32_e32 v16, 0x80000000, v12
	v_and_b32_e32 v17, 31, v17
	v_bfe_u32 v18, v12, 26, 5
	v_lshlrev_b32_sdwa v12, v21, v12 dst_sel:DWORD dst_unused:UNUSED_PAD src0_sel:DWORD src1_sel:BYTE_3
	v_sub_u32_e32 v20, 30, v20
	v_and_b32_e32 v12, 3, v12
	v_cmp_eq_u16_e32 vcc, 0, v17
	v_cndmask_b32_e32 v12, v14, v12, vcc
	v_cndmask_b32_e32 v14, v18, v20, vcc
	v_mov_b32_e32 v17, 0x37800000
	v_lshlrev_b32_e32 v12, 21, v12
	v_lshl_add_u32 v14, v14, 23, v17
	v_or3_b32 v14, v16, v14, v12
.LBB1_2784:
	s_or_b64 exec, exec, s[6:7]
	s_nop 0
	v_mfma_f32_16x16x4f32 a[0:3], v13, v14, a[0:3]
	s_movk_i32 s4, 0x7f
	v_cmp_gt_i16_sdwa s[6:7], v19, s4 src0_sel:BYTE_0 src1_sel:DWORD
	s_mov_b64 s[4:5], 0
                                        ; implicit-def: $sgpr10
	s_and_saveexec_b64 s[8:9], s[6:7]
	s_xor_b64 s[6:7], exec, s[8:9]
	s_cbranch_execz .LBB1_2785
; %bb.16627:
	s_getpc_b64 s[14:15]
.Lpost_getpc4217:
	s_add_u32 s14, s14, (.LBB1_6881-.Lpost_getpc4217)&4294967295
	s_addc_u32 s15, s15, (.LBB1_6881-.Lpost_getpc4217)>>32
	s_setpc_b64 s[14:15]
.LBB1_2785:
	s_or_saveexec_b64 s[6:7], s[6:7]
	v_mov_b32_e32 v12, s10
	s_xor_b64 exec, exec, s[6:7]
	s_cbranch_execz .LBB1_2786
; %bb.16629:
	s_getpc_b64 s[14:15]
.Lpost_getpc4218:
	s_add_u32 s14, s14, (.LBB1_6884-.Lpost_getpc4218)&4294967295
	s_addc_u32 s15, s15, (.LBB1_6884-.Lpost_getpc4218)>>32
	s_setpc_b64 s[14:15]
.LBB1_2786:
	s_or_b64 exec, exec, s[6:7]
	s_and_saveexec_b64 s[6:7], s[4:5]
	s_cbranch_execz .LBB1_2788
.LBB1_2787:
	v_mov_b32_e32 v12, 8
	v_and_b32_e32 v13, 7, v19
	v_lshrrev_b32_sdwa v12, v12, v19 dst_sel:BYTE_1 dst_unused:UNUSED_PAD src0_sel:DWORD src1_sel:DWORD
	v_ffbh_u32_e32 v14, v13
	v_or_b32_sdwa v12, v19, v12 dst_sel:DWORD dst_unused:UNUSED_PAD src0_sel:BYTE_0 src1_sel:DWORD
	v_min_u32_e32 v14, 32, v14
	v_lshrrev_b16_e32 v12, 3, v12
	v_subrev_u32_e32 v16, 28, v14
	v_and_b32_e32 v12, 15, v12
	v_lshlrev_b32_e32 v16, v16, v19
	v_sub_u32_e32 v14, 29, v14
	v_and_b32_e32 v16, 7, v16
	v_cmp_eq_u16_e32 vcc, 0, v12
	v_cndmask_b32_e32 v13, v13, v16, vcc
	v_cndmask_b32_e32 v12, v12, v14, vcc
	v_lshlrev_b32_e32 v14, 24, v19
	v_mov_b32_e32 v16, 0x3b800000
	v_lshlrev_b32_e32 v13, 20, v13
	v_and_b32_e32 v14, 0x80000000, v14
	v_lshl_add_u32 v12, v12, 23, v16
	v_or3_b32 v12, v14, v12, v13
.LBB1_2788:
	s_or_b64 exec, exec, s[6:7]
	s_movk_i32 s4, 0x7f
	v_cmp_gt_i16_sdwa s[6:7], v15, s4 src0_sel:BYTE_0 src1_sel:DWORD
	s_mov_b64 s[4:5], 0
                                        ; implicit-def: $sgpr10
	s_and_saveexec_b64 s[8:9], s[6:7]
	s_xor_b64 s[6:7], exec, s[8:9]
	s_cbranch_execz .LBB1_2789
; %bb.16631:
	s_getpc_b64 s[14:15]
.Lpost_getpc4219:
	s_add_u32 s14, s14, (.LBB1_6885-.Lpost_getpc4219)&4294967295
	s_addc_u32 s15, s15, (.LBB1_6885-.Lpost_getpc4219)>>32
	s_setpc_b64 s[14:15]
.LBB1_2789:
	s_or_saveexec_b64 s[6:7], s[6:7]
	v_mov_b32_e32 v13, s10
	s_xor_b64 exec, exec, s[6:7]
	s_cbranch_execz .LBB1_2790
; %bb.16633:
	s_getpc_b64 s[14:15]
.Lpost_getpc4220:
	s_add_u32 s14, s14, (.LBB1_6888-.Lpost_getpc4220)&4294967295
	s_addc_u32 s15, s15, (.LBB1_6888-.Lpost_getpc4220)>>32
	s_setpc_b64 s[14:15]
.LBB1_2790:
	s_or_b64 exec, exec, s[6:7]
	s_and_saveexec_b64 s[6:7], s[4:5]
	s_cbranch_execz .LBB1_2792
.LBB1_2791:
	v_and_b32_e32 v13, 3, v15
	v_ffbh_u32_e32 v16, v13
	v_min_u32_e32 v16, 32, v16
	v_lshrrev_b16_e32 v14, 2, v15
	v_subrev_u32_e32 v17, 29, v16
	v_and_b32_e32 v14, 31, v14
	v_lshlrev_b32_e32 v17, v17, v15
	v_sub_u32_e32 v16, 30, v16
	v_and_b32_e32 v17, 3, v17
	v_cmp_eq_u16_e32 vcc, 0, v14
	v_cndmask_b32_e32 v13, v13, v17, vcc
	v_cndmask_b32_e32 v14, v14, v16, vcc
	v_lshlrev_b32_e32 v16, 24, v15
	v_mov_b32_e32 v17, 0x37800000
	v_lshlrev_b32_e32 v13, 21, v13
	v_and_b32_e32 v16, 0x80000000, v16
	v_lshl_add_u32 v14, v14, 23, v17
	v_or3_b32 v13, v16, v14, v13
.LBB1_2792:
	s_or_b64 exec, exec, s[6:7]
	s_nop 0
	v_mfma_f32_16x16x4f32 a[0:3], v12, v13, a[0:3]
	v_lshrrev_b32_e32 v13, 8, v19
	s_movk_i32 s4, 0x7f
	v_cmp_gt_i16_sdwa s[6:7], v13, s4 src0_sel:BYTE_0 src1_sel:DWORD
	s_mov_b64 s[4:5], 0
                                        ; implicit-def: $sgpr10
	s_and_saveexec_b64 s[8:9], s[6:7]
	s_xor_b64 s[6:7], exec, s[8:9]
	s_cbranch_execz .LBB1_2793
; %bb.16635:
	s_getpc_b64 s[14:15]
.Lpost_getpc4221:
	s_add_u32 s14, s14, (.LBB1_6889-.Lpost_getpc4221)&4294967295
	s_addc_u32 s15, s15, (.LBB1_6889-.Lpost_getpc4221)>>32
	s_setpc_b64 s[14:15]
.LBB1_2793:
	s_or_saveexec_b64 s[6:7], s[6:7]
	v_mov_b32_e32 v12, s10
	s_xor_b64 exec, exec, s[6:7]
	s_cbranch_execz .LBB1_2794
; %bb.16637:
	s_getpc_b64 s[14:15]
.Lpost_getpc4222:
	s_add_u32 s14, s14, (.LBB1_6892-.Lpost_getpc4222)&4294967295
	s_addc_u32 s15, s15, (.LBB1_6892-.Lpost_getpc4222)>>32
	s_setpc_b64 s[14:15]
.LBB1_2794:
	s_or_b64 exec, exec, s[6:7]
	s_and_saveexec_b64 s[6:7], s[4:5]
	s_cbranch_execz .LBB1_2796
.LBB1_2795:
	v_bfe_u32 v12, v19, 8, 3
	v_ffbh_u32_e32 v16, v12
	v_min_u32_e32 v16, 32, v16
	v_lshrrev_b16_e32 v14, 3, v13
	v_subrev_u32_e32 v17, 28, v16
	v_and_b32_e32 v14, 15, v14
	v_lshlrev_b32_e32 v13, v17, v13
	v_sub_u32_e32 v16, 29, v16
	v_and_b32_e32 v13, 7, v13
	v_cmp_eq_u16_e32 vcc, 0, v14
	v_cndmask_b32_e32 v12, v12, v13, vcc
	v_cndmask_b32_e32 v13, v14, v16, vcc
	v_lshlrev_b32_e32 v14, 16, v19
	v_mov_b32_e32 v16, 0x3b800000
	v_lshlrev_b32_e32 v12, 20, v12
	v_and_b32_e32 v14, 0x80000000, v14
	v_lshl_add_u32 v13, v13, 23, v16
	v_or3_b32 v12, v14, v13, v12
.LBB1_2796:
	s_or_b64 exec, exec, s[6:7]
	v_lshrrev_b32_e32 v13, 8, v15
	s_movk_i32 s4, 0x7f
	v_cmp_gt_i16_sdwa s[6:7], v13, s4 src0_sel:BYTE_0 src1_sel:DWORD
	s_mov_b64 s[4:5], 0
                                        ; implicit-def: $sgpr10
	s_and_saveexec_b64 s[8:9], s[6:7]
	s_xor_b64 s[6:7], exec, s[8:9]
	s_cbranch_execz .LBB1_2797
; %bb.16639:
	s_getpc_b64 s[14:15]
.Lpost_getpc4223:
	s_add_u32 s14, s14, (.LBB1_6893-.Lpost_getpc4223)&4294967295
	s_addc_u32 s15, s15, (.LBB1_6893-.Lpost_getpc4223)>>32
	s_setpc_b64 s[14:15]
.LBB1_2797:
	s_or_saveexec_b64 s[6:7], s[6:7]
	v_mov_b32_e32 v14, s10
	s_xor_b64 exec, exec, s[6:7]
	s_cbranch_execz .LBB1_2798
; %bb.16641:
	s_getpc_b64 s[14:15]
.Lpost_getpc4224:
	s_add_u32 s14, s14, (.LBB1_6896-.Lpost_getpc4224)&4294967295
	s_addc_u32 s15, s15, (.LBB1_6896-.Lpost_getpc4224)>>32
	s_setpc_b64 s[14:15]
.LBB1_2798:
	s_or_b64 exec, exec, s[6:7]
	s_and_saveexec_b64 s[6:7], s[4:5]
	s_cbranch_execz .LBB1_2800
.LBB1_2799:
	v_bfe_u32 v14, v15, 8, 2
	v_ffbh_u32_e32 v17, v14
	v_min_u32_e32 v17, 32, v17
	v_lshrrev_b16_e32 v16, 2, v13
	v_subrev_u32_e32 v18, 29, v17
	v_and_b32_e32 v16, 31, v16
	v_lshlrev_b32_e32 v13, v18, v13
	v_sub_u32_e32 v17, 30, v17
	v_and_b32_e32 v13, 3, v13
	v_cmp_eq_u16_e32 vcc, 0, v16
	v_cndmask_b32_e32 v13, v14, v13, vcc
	v_cndmask_b32_e32 v14, v16, v17, vcc
	v_lshlrev_b32_e32 v16, 16, v15
	v_mov_b32_e32 v17, 0x37800000
	v_lshlrev_b32_e32 v13, 21, v13
	v_and_b32_e32 v16, 0x80000000, v16
	v_lshl_add_u32 v14, v14, 23, v17
	v_or3_b32 v14, v16, v14, v13
.LBB1_2800:
	s_or_b64 exec, exec, s[6:7]
	s_nop 0
	v_mfma_f32_16x16x4f32 a[0:3], v12, v14, a[0:3]
	s_movk_i32 s4, 0xff
	v_and_b32_sdwa v13, v19, s4 dst_sel:DWORD dst_unused:UNUSED_PAD src0_sel:WORD_1 src1_sel:DWORD
	s_movk_i32 s4, 0x7f
	v_cmp_lt_i16_e32 vcc, s4, v13
	s_mov_b64 s[4:5], 0
                                        ; implicit-def: $sgpr10
	s_and_saveexec_b64 s[6:7], vcc
	s_xor_b64 s[6:7], exec, s[6:7]
	s_cbranch_execz .LBB1_2801
; %bb.16643:
	s_getpc_b64 s[14:15]
.Lpost_getpc4225:
	s_add_u32 s14, s14, (.LBB1_6897-.Lpost_getpc4225)&4294967295
	s_addc_u32 s15, s15, (.LBB1_6897-.Lpost_getpc4225)>>32
	s_setpc_b64 s[14:15]
.LBB1_2801:
	s_or_saveexec_b64 s[6:7], s[6:7]
	v_mov_b32_e32 v12, s10
	s_xor_b64 exec, exec, s[6:7]
	s_cbranch_execz .LBB1_2802
; %bb.16645:
	s_getpc_b64 s[14:15]
.Lpost_getpc4226:
	s_add_u32 s14, s14, (.LBB1_6900-.Lpost_getpc4226)&4294967295
	s_addc_u32 s15, s15, (.LBB1_6900-.Lpost_getpc4226)>>32
	s_setpc_b64 s[14:15]
.LBB1_2802:
	s_or_b64 exec, exec, s[6:7]
	s_and_saveexec_b64 s[6:7], s[4:5]
	s_cbranch_execz .LBB1_2804
.LBB1_2803:
	v_bfe_u32 v12, v19, 16, 3
	v_ffbh_u32_e32 v16, v12
	v_min_u32_e32 v16, 32, v16
	v_lshrrev_b32_e32 v13, 19, v19
	v_subrev_u32_e32 v17, 28, v16
	v_and_b32_e32 v13, 15, v13
	v_lshlrev_b32_sdwa v17, v17, v19 dst_sel:DWORD dst_unused:UNUSED_PAD src0_sel:DWORD src1_sel:WORD_1
	v_bfe_u32 v14, v19, 19, 4
	v_sub_u32_e32 v16, 29, v16
	v_and_b32_e32 v17, 7, v17
	v_cmp_eq_u16_e32 vcc, 0, v13
	v_cndmask_b32_e32 v12, v12, v17, vcc
	v_cndmask_b32_e32 v13, v14, v16, vcc
	v_lshlrev_b32_e32 v14, 8, v19
	v_mov_b32_e32 v16, 0x3b800000
	v_lshlrev_b32_e32 v12, 20, v12
	v_and_b32_e32 v14, 0x80000000, v14
	v_lshl_add_u32 v13, v13, 23, v16
	v_or3_b32 v12, v14, v13, v12
.LBB1_2804:
	s_or_b64 exec, exec, s[6:7]
	s_movk_i32 s4, 0xff
	v_and_b32_sdwa v13, v15, s4 dst_sel:DWORD dst_unused:UNUSED_PAD src0_sel:WORD_1 src1_sel:DWORD
	s_movk_i32 s4, 0x7f
	v_cmp_lt_i16_e32 vcc, s4, v13
	s_mov_b64 s[4:5], 0
                                        ; implicit-def: $sgpr10
	s_and_saveexec_b64 s[6:7], vcc
	s_xor_b64 s[6:7], exec, s[6:7]
	s_cbranch_execz .LBB1_2805
; %bb.16647:
	s_getpc_b64 s[14:15]
.Lpost_getpc4227:
	s_add_u32 s14, s14, (.LBB1_6901-.Lpost_getpc4227)&4294967295
	s_addc_u32 s15, s15, (.LBB1_6901-.Lpost_getpc4227)>>32
	s_setpc_b64 s[14:15]
.LBB1_2805:
	s_or_saveexec_b64 s[6:7], s[6:7]
	v_mov_b32_e32 v14, s10
	s_xor_b64 exec, exec, s[6:7]
	s_cbranch_execz .LBB1_2806
; %bb.16649:
	s_getpc_b64 s[14:15]
.Lpost_getpc4228:
	s_add_u32 s14, s14, (.LBB1_6904-.Lpost_getpc4228)&4294967295
	s_addc_u32 s15, s15, (.LBB1_6904-.Lpost_getpc4228)>>32
	s_setpc_b64 s[14:15]
.LBB1_2806:
	s_or_b64 exec, exec, s[6:7]
	s_and_saveexec_b64 s[6:7], s[4:5]
	s_cbranch_execz .LBB1_2808
.LBB1_2807:
	v_bfe_u32 v13, v15, 16, 2
	v_ffbh_u32_e32 v17, v13
	v_min_u32_e32 v17, 32, v17
	v_lshrrev_b32_e32 v14, 18, v15
	v_subrev_u32_e32 v18, 29, v17
	v_and_b32_e32 v14, 31, v14
	v_lshlrev_b32_sdwa v18, v18, v15 dst_sel:DWORD dst_unused:UNUSED_PAD src0_sel:DWORD src1_sel:WORD_1
	v_bfe_u32 v16, v15, 18, 5
	v_sub_u32_e32 v17, 30, v17
	v_and_b32_e32 v18, 3, v18
	v_cmp_eq_u16_e32 vcc, 0, v14
	v_cndmask_b32_e32 v13, v13, v18, vcc
	v_cndmask_b32_e32 v14, v16, v17, vcc
	v_lshlrev_b32_e32 v16, 8, v15
	v_mov_b32_e32 v17, 0x37800000
	v_lshlrev_b32_e32 v13, 21, v13
	v_and_b32_e32 v16, 0x80000000, v16
	v_lshl_add_u32 v14, v14, 23, v17
	v_or3_b32 v14, v16, v14, v13
.LBB1_2808:
	s_or_b64 exec, exec, s[6:7]
	s_nop 0
	v_mfma_f32_16x16x4f32 a[0:3], v12, v14, a[0:3]
	s_movk_i32 s4, 0x7f
	v_cmp_gt_i16_sdwa s[6:7], v19, s4 src0_sel:BYTE_3 src1_sel:DWORD
	s_mov_b64 s[4:5], 0
                                        ; implicit-def: $sgpr10
	s_and_saveexec_b64 s[8:9], s[6:7]
	s_xor_b64 s[6:7], exec, s[8:9]
	s_cbranch_execz .LBB1_2809
; %bb.16651:
	s_getpc_b64 s[14:15]
.Lpost_getpc4229:
	s_add_u32 s14, s14, (.LBB1_6905-.Lpost_getpc4229)&4294967295
	s_addc_u32 s15, s15, (.LBB1_6905-.Lpost_getpc4229)>>32
	s_setpc_b64 s[14:15]
.LBB1_2809:
	s_or_saveexec_b64 s[6:7], s[6:7]
	v_mov_b32_e32 v12, s10
	s_xor_b64 exec, exec, s[6:7]
	s_cbranch_execz .LBB1_2810
; %bb.16653:
	s_getpc_b64 s[14:15]
.Lpost_getpc4230:
	s_add_u32 s14, s14, (.LBB1_6908-.Lpost_getpc4230)&4294967295
	s_addc_u32 s15, s15, (.LBB1_6908-.Lpost_getpc4230)>>32
	s_setpc_b64 s[14:15]
.LBB1_2810:
	s_or_b64 exec, exec, s[6:7]
	s_and_saveexec_b64 s[6:7], s[4:5]
	s_cbranch_execz .LBB1_2812
.LBB1_2811:
	v_bfe_u32 v12, v19, 24, 3
	v_ffbh_u32_e32 v17, v12
	v_min_u32_e32 v17, 32, v17
	v_lshrrev_b32_e32 v14, 27, v19
	v_subrev_u32_e32 v18, 28, v17
	v_and_b32_e32 v14, 15, v14
	v_lshlrev_b32_sdwa v18, v18, v19 dst_sel:DWORD dst_unused:UNUSED_PAD src0_sel:DWORD src1_sel:BYTE_3
	v_bfe_u32 v16, v19, 27, 4
	v_sub_u32_e32 v17, 29, v17
	v_and_b32_e32 v18, 7, v18
	v_cmp_eq_u16_e32 vcc, 0, v14
	v_cndmask_b32_e32 v12, v12, v18, vcc
	v_cndmask_b32_e32 v14, v16, v17, vcc
	v_mov_b32_e32 v16, 0x3b800000
	v_and_b32_e32 v13, 0x80000000, v19
	v_lshlrev_b32_e32 v12, 20, v12
	v_lshl_add_u32 v14, v14, 23, v16
	v_or3_b32 v12, v13, v14, v12
.LBB1_2812:
	s_or_b64 exec, exec, s[6:7]
	s_movk_i32 s4, 0x7f
	v_cmp_gt_i16_sdwa s[6:7], v15, s4 src0_sel:BYTE_3 src1_sel:DWORD
	s_mov_b64 s[4:5], 0
                                        ; implicit-def: $sgpr10
	s_and_saveexec_b64 s[8:9], s[6:7]
	s_xor_b64 s[6:7], exec, s[8:9]
	s_cbranch_execz .LBB1_2813
; %bb.16655:
	s_getpc_b64 s[14:15]
.Lpost_getpc4231:
	s_add_u32 s14, s14, (.LBB1_6909-.Lpost_getpc4231)&4294967295
	s_addc_u32 s15, s15, (.LBB1_6909-.Lpost_getpc4231)>>32
	s_setpc_b64 s[14:15]
.LBB1_2813:
	s_or_saveexec_b64 s[6:7], s[6:7]
	v_mov_b32_e32 v13, s10
	s_xor_b64 exec, exec, s[6:7]
	s_cbranch_execz .LBB1_2814
; %bb.16657:
	s_getpc_b64 s[14:15]
.Lpost_getpc4232:
	s_add_u32 s14, s14, (.LBB1_6912-.Lpost_getpc4232)&4294967295
	s_addc_u32 s15, s15, (.LBB1_6912-.Lpost_getpc4232)>>32
	s_setpc_b64 s[14:15]
.LBB1_2814:
	s_or_b64 exec, exec, s[6:7]
	s_and_saveexec_b64 s[6:7], s[4:5]
	s_cbranch_execz .LBB1_2816
.LBB1_2815:
	v_bfe_u32 v13, v15, 24, 2
	v_ffbh_u32_e32 v18, v13
	v_min_u32_e32 v18, 32, v18
	v_lshrrev_b32_e32 v16, 26, v15
	v_subrev_u32_e32 v19, 29, v18
	v_and_b32_e32 v14, 0x80000000, v15
	v_and_b32_e32 v16, 31, v16
	v_bfe_u32 v17, v15, 26, 5
	v_lshlrev_b32_sdwa v15, v19, v15 dst_sel:DWORD dst_unused:UNUSED_PAD src0_sel:DWORD src1_sel:BYTE_3
	v_sub_u32_e32 v18, 30, v18
	v_and_b32_e32 v15, 3, v15
	v_cmp_eq_u16_e32 vcc, 0, v16
	v_cndmask_b32_e32 v13, v13, v15, vcc
	v_cndmask_b32_e32 v15, v17, v18, vcc
	v_mov_b32_e32 v16, 0x37800000
	v_lshlrev_b32_e32 v13, 21, v13
	v_lshl_add_u32 v15, v15, 23, v16
	v_or3_b32 v13, v14, v15, v13
.LBB1_2816:
	s_or_b64 exec, exec, s[6:7]
	s_nop 0
	v_mfma_f32_16x16x4f32 a[0:3], v12, v13, a[0:3]
	v_mov_b32_e32 v16, 8
	s_movk_i32 s4, 0x7f
                                        ; implicit-def: $sgpr10
	s_nop 7
	s_nop 0
	flat_store_dwordx4 v[10:11], a[0:3] offset:336
	flat_load_dword v14, v[0:1] offset:544
	flat_load_dwordx2 v[12:13], v[6:7]
	s_waitcnt vmcnt(0) lgkmcnt(0)
	v_ashrrev_i32_e32 v15, 31, v14
	v_add_co_u32_e32 v12, vcc, v12, v14
	v_addc_co_u32_e32 v13, vcc, v13, v15, vcc
	flat_load_dwordx4 v[12:15], v[12:13] offset:1024
	s_waitcnt vmcnt(0) lgkmcnt(0)
	v_lshrrev_b32_sdwa v20, v16, v14 dst_sel:BYTE_1 dst_unused:UNUSED_PAD src0_sel:DWORD src1_sel:DWORD
	flat_store_dwordx4 v[8:9], v[12:15]
	flat_load_dwordx4 v[16:19], v[4:5]
	s_waitcnt vmcnt(0) lgkmcnt(0)
	v_cmp_gt_i16_sdwa s[6:7], v16, s4 src0_sel:BYTE_0 src1_sel:DWORD
	s_mov_b64 s[4:5], 0
	s_and_saveexec_b64 s[8:9], s[6:7]
	s_xor_b64 s[6:7], exec, s[8:9]
	s_cbranch_execz .LBB1_2817
; %bb.16659:
	s_getpc_b64 s[14:15]
.Lpost_getpc4233:
	s_add_u32 s14, s14, (.LBB1_6913-.Lpost_getpc4233)&4294967295
	s_addc_u32 s15, s15, (.LBB1_6913-.Lpost_getpc4233)>>32
	s_setpc_b64 s[14:15]
.LBB1_2817:
	s_or_saveexec_b64 s[6:7], s[6:7]
	v_mov_b32_e32 v21, s10
	s_xor_b64 exec, exec, s[6:7]
	s_cbranch_execz .LBB1_2818
; %bb.16661:
	s_getpc_b64 s[14:15]
.Lpost_getpc4234:
	s_add_u32 s14, s14, (.LBB1_6916-.Lpost_getpc4234)&4294967295
	s_addc_u32 s15, s15, (.LBB1_6916-.Lpost_getpc4234)>>32
	s_setpc_b64 s[14:15]
.LBB1_2818:
	s_or_b64 exec, exec, s[6:7]
	s_and_saveexec_b64 s[6:7], s[4:5]
	s_cbranch_execz .LBB1_2820
.LBB1_2819:
	v_and_b32_e32 v21, 7, v16
	v_ffbh_u32_e32 v23, v21
	v_min_u32_e32 v23, 32, v23
	v_lshrrev_b16_e32 v22, 3, v16
	v_subrev_u32_e32 v24, 28, v23
	v_and_b32_e32 v22, 15, v22
	v_lshlrev_b32_e32 v24, v24, v16
	v_sub_u32_e32 v23, 29, v23
	v_and_b32_e32 v24, 7, v24
	v_cmp_eq_u16_e32 vcc, 0, v22
	v_cndmask_b32_e32 v21, v21, v24, vcc
	v_cndmask_b32_e32 v22, v22, v23, vcc
	v_lshlrev_b32_e32 v23, 24, v16
	v_mov_b32_e32 v24, 0x3b800000
	v_lshlrev_b32_e32 v21, 20, v21
	v_and_b32_e32 v23, 0x80000000, v23
	v_lshl_add_u32 v22, v22, 23, v24
	v_or3_b32 v21, v23, v22, v21
.LBB1_2820:
	s_or_b64 exec, exec, s[6:7]
	s_movk_i32 s4, 0x7f
	v_cmp_gt_i16_sdwa s[6:7], v12, s4 src0_sel:BYTE_0 src1_sel:DWORD
	s_mov_b64 s[4:5], 0
                                        ; implicit-def: $sgpr10
	s_and_saveexec_b64 s[8:9], s[6:7]
	s_xor_b64 s[6:7], exec, s[8:9]
	s_cbranch_execz .LBB1_2821
; %bb.16663:
	s_getpc_b64 s[14:15]
.Lpost_getpc4235:
	s_add_u32 s14, s14, (.LBB1_6917-.Lpost_getpc4235)&4294967295
	s_addc_u32 s15, s15, (.LBB1_6917-.Lpost_getpc4235)>>32
	s_setpc_b64 s[14:15]
.LBB1_2821:
	s_or_saveexec_b64 s[6:7], s[6:7]
	v_mov_b32_e32 v22, s10
	s_xor_b64 exec, exec, s[6:7]
	s_cbranch_execz .LBB1_2822
; %bb.16665:
	s_getpc_b64 s[14:15]
.Lpost_getpc4236:
	s_add_u32 s14, s14, (.LBB1_6920-.Lpost_getpc4236)&4294967295
	s_addc_u32 s15, s15, (.LBB1_6920-.Lpost_getpc4236)>>32
	s_setpc_b64 s[14:15]
.LBB1_2822:
	s_or_b64 exec, exec, s[6:7]
	s_and_saveexec_b64 s[6:7], s[4:5]
	s_cbranch_execz .LBB1_2824
.LBB1_2823:
	v_and_b32_e32 v22, 3, v12
	v_ffbh_u32_e32 v24, v22
	v_min_u32_e32 v24, 32, v24
	v_lshrrev_b16_e32 v23, 2, v12
	v_subrev_u32_e32 v25, 29, v24
	v_and_b32_e32 v23, 31, v23
	v_lshlrev_b32_e32 v25, v25, v12
	v_sub_u32_e32 v24, 30, v24
	v_and_b32_e32 v25, 3, v25
	v_cmp_eq_u16_e32 vcc, 0, v23
	v_cndmask_b32_e32 v22, v22, v25, vcc
	v_cndmask_b32_e32 v23, v23, v24, vcc
	v_lshlrev_b32_e32 v24, 24, v12
	v_mov_b32_e32 v25, 0x37800000
	v_lshlrev_b32_e32 v22, 21, v22
	v_and_b32_e32 v24, 0x80000000, v24
	v_lshl_add_u32 v23, v23, 23, v25
	v_or3_b32 v22, v24, v23, v22
.LBB1_2824:
	s_or_b64 exec, exec, s[6:7]
	flat_load_dwordx4 a[0:3], v[10:11] offset:352
	s_movk_i32 s4, 0x7f
                                        ; implicit-def: $sgpr10
	s_waitcnt vmcnt(0) lgkmcnt(0)
	v_mfma_f32_16x16x4f32 a[0:3], v21, v22, a[0:3]
	v_lshrrev_b32_e32 v22, 8, v16
	v_cmp_gt_i16_sdwa s[6:7], v22, s4 src0_sel:BYTE_0 src1_sel:DWORD
	s_mov_b64 s[4:5], 0
	s_and_saveexec_b64 s[8:9], s[6:7]
	s_xor_b64 s[6:7], exec, s[8:9]
	s_cbranch_execz .LBB1_2825
; %bb.16667:
	s_getpc_b64 s[14:15]
.Lpost_getpc4237:
	s_add_u32 s14, s14, (.LBB1_6921-.Lpost_getpc4237)&4294967295
	s_addc_u32 s15, s15, (.LBB1_6921-.Lpost_getpc4237)>>32
	s_setpc_b64 s[14:15]
.LBB1_2825:
	s_or_saveexec_b64 s[6:7], s[6:7]
	v_mov_b32_e32 v21, s10
	s_xor_b64 exec, exec, s[6:7]
	s_cbranch_execz .LBB1_2826
; %bb.16669:
	s_getpc_b64 s[14:15]
.Lpost_getpc4238:
	s_add_u32 s14, s14, (.LBB1_6924-.Lpost_getpc4238)&4294967295
	s_addc_u32 s15, s15, (.LBB1_6924-.Lpost_getpc4238)>>32
	s_setpc_b64 s[14:15]
.LBB1_2826:
	s_or_b64 exec, exec, s[6:7]
	s_and_saveexec_b64 s[6:7], s[4:5]
	s_cbranch_execz .LBB1_2828
.LBB1_2827:
	v_bfe_u32 v21, v16, 8, 3
	v_ffbh_u32_e32 v24, v21
	v_min_u32_e32 v24, 32, v24
	v_lshrrev_b16_e32 v23, 3, v22
	v_subrev_u32_e32 v25, 28, v24
	v_and_b32_e32 v23, 15, v23
	v_lshlrev_b32_e32 v22, v25, v22
	v_sub_u32_e32 v24, 29, v24
	v_and_b32_e32 v22, 7, v22
	v_cmp_eq_u16_e32 vcc, 0, v23
	v_cndmask_b32_e32 v21, v21, v22, vcc
	v_cndmask_b32_e32 v22, v23, v24, vcc
	v_lshlrev_b32_e32 v23, 16, v16
	v_mov_b32_e32 v24, 0x3b800000
	v_lshlrev_b32_e32 v21, 20, v21
	v_and_b32_e32 v23, 0x80000000, v23
	v_lshl_add_u32 v22, v22, 23, v24
	v_or3_b32 v21, v23, v22, v21
.LBB1_2828:
	s_or_b64 exec, exec, s[6:7]
	v_lshrrev_b32_e32 v22, 8, v12
	s_movk_i32 s4, 0x7f
	v_cmp_gt_i16_sdwa s[6:7], v22, s4 src0_sel:BYTE_0 src1_sel:DWORD
	s_mov_b64 s[4:5], 0
                                        ; implicit-def: $sgpr10
	s_and_saveexec_b64 s[8:9], s[6:7]
	s_xor_b64 s[6:7], exec, s[8:9]
	s_cbranch_execz .LBB1_2829
; %bb.16671:
	s_getpc_b64 s[14:15]
.Lpost_getpc4239:
	s_add_u32 s14, s14, (.LBB1_6925-.Lpost_getpc4239)&4294967295
	s_addc_u32 s15, s15, (.LBB1_6925-.Lpost_getpc4239)>>32
	s_setpc_b64 s[14:15]
.LBB1_2829:
	s_or_saveexec_b64 s[6:7], s[6:7]
	v_mov_b32_e32 v23, s10
	s_xor_b64 exec, exec, s[6:7]
	s_cbranch_execz .LBB1_2830
; %bb.16673:
	s_getpc_b64 s[14:15]
.Lpost_getpc4240:
	s_add_u32 s14, s14, (.LBB1_6928-.Lpost_getpc4240)&4294967295
	s_addc_u32 s15, s15, (.LBB1_6928-.Lpost_getpc4240)>>32
	s_setpc_b64 s[14:15]
.LBB1_2830:
	s_or_b64 exec, exec, s[6:7]
	s_and_saveexec_b64 s[6:7], s[4:5]
	s_cbranch_execz .LBB1_2832
.LBB1_2831:
	v_bfe_u32 v23, v12, 8, 2
	v_ffbh_u32_e32 v25, v23
	v_min_u32_e32 v25, 32, v25
	v_lshrrev_b16_e32 v24, 2, v22
	v_subrev_u32_e32 v26, 29, v25
	v_and_b32_e32 v24, 31, v24
	v_lshlrev_b32_e32 v22, v26, v22
	v_sub_u32_e32 v25, 30, v25
	v_and_b32_e32 v22, 3, v22
	v_cmp_eq_u16_e32 vcc, 0, v24
	v_cndmask_b32_e32 v22, v23, v22, vcc
	v_cndmask_b32_e32 v23, v24, v25, vcc
	v_lshlrev_b32_e32 v24, 16, v12
	v_mov_b32_e32 v25, 0x37800000
	v_lshlrev_b32_e32 v22, 21, v22
	v_and_b32_e32 v24, 0x80000000, v24
	v_lshl_add_u32 v23, v23, 23, v25
	v_or3_b32 v23, v24, v23, v22
.LBB1_2832:
	s_or_b64 exec, exec, s[6:7]
	s_nop 0
	v_mfma_f32_16x16x4f32 a[0:3], v21, v23, a[0:3]
	s_movk_i32 s4, 0xff
	v_and_b32_sdwa v22, v16, s4 dst_sel:DWORD dst_unused:UNUSED_PAD src0_sel:WORD_1 src1_sel:DWORD
	s_movk_i32 s4, 0x7f
	v_cmp_lt_i16_e32 vcc, s4, v22
	s_mov_b64 s[4:5], 0
                                        ; implicit-def: $sgpr10
	s_and_saveexec_b64 s[6:7], vcc
	s_xor_b64 s[6:7], exec, s[6:7]
	s_cbranch_execz .LBB1_2833
; %bb.16675:
	s_getpc_b64 s[14:15]
.Lpost_getpc4241:
	s_add_u32 s14, s14, (.LBB1_6929-.Lpost_getpc4241)&4294967295
	s_addc_u32 s15, s15, (.LBB1_6929-.Lpost_getpc4241)>>32
	s_setpc_b64 s[14:15]
.LBB1_2833:
	s_or_saveexec_b64 s[6:7], s[6:7]
	v_mov_b32_e32 v21, s10
	s_xor_b64 exec, exec, s[6:7]
	s_cbranch_execz .LBB1_2834
; %bb.16677:
	s_getpc_b64 s[14:15]
.Lpost_getpc4242:
	s_add_u32 s14, s14, (.LBB1_6932-.Lpost_getpc4242)&4294967295
	s_addc_u32 s15, s15, (.LBB1_6932-.Lpost_getpc4242)>>32
	s_setpc_b64 s[14:15]
.LBB1_2834:
	s_or_b64 exec, exec, s[6:7]
	s_and_saveexec_b64 s[6:7], s[4:5]
	s_cbranch_execz .LBB1_2836
.LBB1_2835:
	v_bfe_u32 v21, v16, 16, 3
	v_ffbh_u32_e32 v24, v21
	v_min_u32_e32 v24, 32, v24
	v_lshrrev_b32_e32 v22, 19, v16
	v_subrev_u32_e32 v25, 28, v24
	v_and_b32_e32 v22, 15, v22
	v_lshlrev_b32_sdwa v25, v25, v16 dst_sel:DWORD dst_unused:UNUSED_PAD src0_sel:DWORD src1_sel:WORD_1
	v_bfe_u32 v23, v16, 19, 4
	v_sub_u32_e32 v24, 29, v24
	v_and_b32_e32 v25, 7, v25
	v_cmp_eq_u16_e32 vcc, 0, v22
	v_cndmask_b32_e32 v21, v21, v25, vcc
	v_cndmask_b32_e32 v22, v23, v24, vcc
	v_lshlrev_b32_e32 v23, 8, v16
	v_mov_b32_e32 v24, 0x3b800000
	v_lshlrev_b32_e32 v21, 20, v21
	v_and_b32_e32 v23, 0x80000000, v23
	v_lshl_add_u32 v22, v22, 23, v24
	v_or3_b32 v21, v23, v22, v21
.LBB1_2836:
	s_or_b64 exec, exec, s[6:7]
	s_movk_i32 s4, 0xff
	v_and_b32_sdwa v22, v12, s4 dst_sel:DWORD dst_unused:UNUSED_PAD src0_sel:WORD_1 src1_sel:DWORD
	s_movk_i32 s4, 0x7f
	v_cmp_lt_i16_e32 vcc, s4, v22
	s_mov_b64 s[4:5], 0
                                        ; implicit-def: $sgpr10
	s_and_saveexec_b64 s[6:7], vcc
	s_xor_b64 s[6:7], exec, s[6:7]
	s_cbranch_execz .LBB1_2837
; %bb.16679:
	s_getpc_b64 s[14:15]
.Lpost_getpc4243:
	s_add_u32 s14, s14, (.LBB1_6933-.Lpost_getpc4243)&4294967295
	s_addc_u32 s15, s15, (.LBB1_6933-.Lpost_getpc4243)>>32
	s_setpc_b64 s[14:15]
.LBB1_2837:
	s_or_saveexec_b64 s[6:7], s[6:7]
	v_mov_b32_e32 v23, s10
	s_xor_b64 exec, exec, s[6:7]
	s_cbranch_execz .LBB1_2838
; %bb.16681:
	s_getpc_b64 s[14:15]
.Lpost_getpc4244:
	s_add_u32 s14, s14, (.LBB1_6936-.Lpost_getpc4244)&4294967295
	s_addc_u32 s15, s15, (.LBB1_6936-.Lpost_getpc4244)>>32
	s_setpc_b64 s[14:15]
.LBB1_2838:
	s_or_b64 exec, exec, s[6:7]
	s_and_saveexec_b64 s[6:7], s[4:5]
	s_cbranch_execz .LBB1_2840
.LBB1_2839:
	v_bfe_u32 v22, v12, 16, 2
	v_ffbh_u32_e32 v25, v22
	v_min_u32_e32 v25, 32, v25
	v_lshrrev_b32_e32 v23, 18, v12
	v_subrev_u32_e32 v26, 29, v25
	v_and_b32_e32 v23, 31, v23
	v_lshlrev_b32_sdwa v26, v26, v12 dst_sel:DWORD dst_unused:UNUSED_PAD src0_sel:DWORD src1_sel:WORD_1
	v_bfe_u32 v24, v12, 18, 5
	v_sub_u32_e32 v25, 30, v25
	v_and_b32_e32 v26, 3, v26
	v_cmp_eq_u16_e32 vcc, 0, v23
	v_cndmask_b32_e32 v22, v22, v26, vcc
	v_cndmask_b32_e32 v23, v24, v25, vcc
	v_lshlrev_b32_e32 v24, 8, v12
	v_mov_b32_e32 v25, 0x37800000
	v_lshlrev_b32_e32 v22, 21, v22
	v_and_b32_e32 v24, 0x80000000, v24
	v_lshl_add_u32 v23, v23, 23, v25
	v_or3_b32 v23, v24, v23, v22
.LBB1_2840:
	s_or_b64 exec, exec, s[6:7]
	s_nop 0
	v_mfma_f32_16x16x4f32 a[0:3], v21, v23, a[0:3]
	s_movk_i32 s4, 0x7f
	v_cmp_gt_i16_sdwa s[6:7], v16, s4 src0_sel:BYTE_3 src1_sel:DWORD
	s_mov_b64 s[4:5], 0
                                        ; implicit-def: $sgpr10
	s_and_saveexec_b64 s[8:9], s[6:7]
	s_xor_b64 s[6:7], exec, s[8:9]
	s_cbranch_execz .LBB1_2841
; %bb.16683:
	s_getpc_b64 s[14:15]
.Lpost_getpc4245:
	s_add_u32 s14, s14, (.LBB1_6937-.Lpost_getpc4245)&4294967295
	s_addc_u32 s15, s15, (.LBB1_6937-.Lpost_getpc4245)>>32
	s_setpc_b64 s[14:15]
.LBB1_2841:
	s_or_saveexec_b64 s[6:7], s[6:7]
	v_mov_b32_e32 v21, s10
	s_xor_b64 exec, exec, s[6:7]
	s_cbranch_execz .LBB1_2842
; %bb.16685:
	s_getpc_b64 s[14:15]
.Lpost_getpc4246:
	s_add_u32 s14, s14, (.LBB1_6940-.Lpost_getpc4246)&4294967295
	s_addc_u32 s15, s15, (.LBB1_6940-.Lpost_getpc4246)>>32
	s_setpc_b64 s[14:15]
.LBB1_2842:
	s_or_b64 exec, exec, s[6:7]
	s_and_saveexec_b64 s[6:7], s[4:5]
	s_cbranch_execz .LBB1_2844
.LBB1_2843:
	v_bfe_u32 v21, v16, 24, 3
	v_ffbh_u32_e32 v25, v21
	v_min_u32_e32 v25, 32, v25
	v_lshrrev_b32_e32 v23, 27, v16
	v_subrev_u32_e32 v26, 28, v25
	v_and_b32_e32 v22, 0x80000000, v16
	v_and_b32_e32 v23, 15, v23
	v_bfe_u32 v24, v16, 27, 4
	v_lshlrev_b32_sdwa v16, v26, v16 dst_sel:DWORD dst_unused:UNUSED_PAD src0_sel:DWORD src1_sel:BYTE_3
	v_sub_u32_e32 v25, 29, v25
	v_and_b32_e32 v16, 7, v16
	v_cmp_eq_u16_e32 vcc, 0, v23
	v_cndmask_b32_e32 v16, v21, v16, vcc
	v_cndmask_b32_e32 v21, v24, v25, vcc
	v_mov_b32_e32 v23, 0x3b800000
	v_lshlrev_b32_e32 v16, 20, v16
	v_lshl_add_u32 v21, v21, 23, v23
	v_or3_b32 v21, v22, v21, v16
.LBB1_2844:
	s_or_b64 exec, exec, s[6:7]
	s_movk_i32 s4, 0x7f
	v_cmp_gt_i16_sdwa s[6:7], v12, s4 src0_sel:BYTE_3 src1_sel:DWORD
	s_mov_b64 s[4:5], 0
                                        ; implicit-def: $sgpr10
	s_and_saveexec_b64 s[8:9], s[6:7]
	s_xor_b64 s[6:7], exec, s[8:9]
	s_cbranch_execz .LBB1_2845
; %bb.16687:
	s_getpc_b64 s[14:15]
.Lpost_getpc4247:
	s_add_u32 s14, s14, (.LBB1_6941-.Lpost_getpc4247)&4294967295
	s_addc_u32 s15, s15, (.LBB1_6941-.Lpost_getpc4247)>>32
	s_setpc_b64 s[14:15]
.LBB1_2845:
	s_or_saveexec_b64 s[6:7], s[6:7]
	v_mov_b32_e32 v16, s10
	s_xor_b64 exec, exec, s[6:7]
	s_cbranch_execz .LBB1_2846
; %bb.16689:
	s_getpc_b64 s[14:15]
.Lpost_getpc4248:
	s_add_u32 s14, s14, (.LBB1_6944-.Lpost_getpc4248)&4294967295
	s_addc_u32 s15, s15, (.LBB1_6944-.Lpost_getpc4248)>>32
	s_setpc_b64 s[14:15]
.LBB1_2846:
	s_or_b64 exec, exec, s[6:7]
	s_and_saveexec_b64 s[6:7], s[4:5]
	s_cbranch_execz .LBB1_2848
.LBB1_2847:
	v_bfe_u32 v16, v12, 24, 2
	v_ffbh_u32_e32 v25, v16
	v_min_u32_e32 v25, 32, v25
	v_lshrrev_b32_e32 v23, 26, v12
	v_subrev_u32_e32 v26, 29, v25
	v_and_b32_e32 v22, 0x80000000, v12
	v_and_b32_e32 v23, 31, v23
	v_bfe_u32 v24, v12, 26, 5
	v_lshlrev_b32_sdwa v12, v26, v12 dst_sel:DWORD dst_unused:UNUSED_PAD src0_sel:DWORD src1_sel:BYTE_3
	v_sub_u32_e32 v25, 30, v25
	v_and_b32_e32 v12, 3, v12
	v_cmp_eq_u16_e32 vcc, 0, v23
	v_cndmask_b32_e32 v12, v16, v12, vcc
	v_cndmask_b32_e32 v16, v24, v25, vcc
	v_mov_b32_e32 v23, 0x37800000
	v_lshlrev_b32_e32 v12, 21, v12
	v_lshl_add_u32 v16, v16, 23, v23
	v_or3_b32 v16, v22, v16, v12
.LBB1_2848:
	s_or_b64 exec, exec, s[6:7]
	s_nop 0
	v_mfma_f32_16x16x4f32 a[0:3], v21, v16, a[0:3]
	s_movk_i32 s4, 0x7f
	v_cmp_gt_i16_sdwa s[6:7], v17, s4 src0_sel:BYTE_0 src1_sel:DWORD
	s_mov_b64 s[4:5], 0
                                        ; implicit-def: $sgpr10
	s_and_saveexec_b64 s[8:9], s[6:7]
	s_xor_b64 s[6:7], exec, s[8:9]
	s_cbranch_execz .LBB1_2849
; %bb.16691:
	s_getpc_b64 s[14:15]
.Lpost_getpc4249:
	s_add_u32 s14, s14, (.LBB1_6945-.Lpost_getpc4249)&4294967295
	s_addc_u32 s15, s15, (.LBB1_6945-.Lpost_getpc4249)>>32
	s_setpc_b64 s[14:15]
.LBB1_2849:
	s_or_saveexec_b64 s[6:7], s[6:7]
	v_mov_b32_e32 v12, s10
	s_xor_b64 exec, exec, s[6:7]
	s_cbranch_execz .LBB1_2850
; %bb.16693:
	s_getpc_b64 s[14:15]
.Lpost_getpc4250:
	s_add_u32 s14, s14, (.LBB1_6948-.Lpost_getpc4250)&4294967295
	s_addc_u32 s15, s15, (.LBB1_6948-.Lpost_getpc4250)>>32
	s_setpc_b64 s[14:15]
.LBB1_2850:
	s_or_b64 exec, exec, s[6:7]
	s_and_saveexec_b64 s[6:7], s[4:5]
	s_cbranch_execz .LBB1_2852
.LBB1_2851:
	v_and_b32_e32 v12, 7, v17
	v_ffbh_u32_e32 v21, v12
	v_min_u32_e32 v21, 32, v21
	v_lshrrev_b16_e32 v16, 3, v17
	v_subrev_u32_e32 v22, 28, v21
	v_and_b32_e32 v16, 15, v16
	v_lshlrev_b32_e32 v22, v22, v17
	v_sub_u32_e32 v21, 29, v21
	v_and_b32_e32 v22, 7, v22
	v_cmp_eq_u16_e32 vcc, 0, v16
	v_cndmask_b32_e32 v12, v12, v22, vcc
	v_cndmask_b32_e32 v16, v16, v21, vcc
	v_lshlrev_b32_e32 v21, 24, v17
	v_mov_b32_e32 v22, 0x3b800000
	v_lshlrev_b32_e32 v12, 20, v12
	v_and_b32_e32 v21, 0x80000000, v21
	v_lshl_add_u32 v16, v16, 23, v22
	v_or3_b32 v12, v21, v16, v12
.LBB1_2852:
	s_or_b64 exec, exec, s[6:7]
	s_movk_i32 s4, 0x7f
	v_cmp_gt_i16_sdwa s[6:7], v13, s4 src0_sel:BYTE_0 src1_sel:DWORD
	s_mov_b64 s[4:5], 0
                                        ; implicit-def: $sgpr10
	s_and_saveexec_b64 s[8:9], s[6:7]
	s_xor_b64 s[6:7], exec, s[8:9]
	s_cbranch_execz .LBB1_2853
; %bb.16695:
	s_getpc_b64 s[14:15]
.Lpost_getpc4251:
	s_add_u32 s14, s14, (.LBB1_6949-.Lpost_getpc4251)&4294967295
	s_addc_u32 s15, s15, (.LBB1_6949-.Lpost_getpc4251)>>32
	s_setpc_b64 s[14:15]
.LBB1_2853:
	s_or_saveexec_b64 s[6:7], s[6:7]
	v_mov_b32_e32 v16, s10
	s_xor_b64 exec, exec, s[6:7]
	s_cbranch_execz .LBB1_2854
; %bb.16697:
	s_getpc_b64 s[14:15]
.Lpost_getpc4252:
	s_add_u32 s14, s14, (.LBB1_6952-.Lpost_getpc4252)&4294967295
	s_addc_u32 s15, s15, (.LBB1_6952-.Lpost_getpc4252)>>32
	s_setpc_b64 s[14:15]
.LBB1_2854:
	s_or_b64 exec, exec, s[6:7]
	s_and_saveexec_b64 s[6:7], s[4:5]
	s_cbranch_execz .LBB1_2856
.LBB1_2855:
	v_and_b32_e32 v16, 3, v13
	v_ffbh_u32_e32 v22, v16
	v_min_u32_e32 v22, 32, v22
	v_lshrrev_b16_e32 v21, 2, v13
	v_subrev_u32_e32 v23, 29, v22
	v_and_b32_e32 v21, 31, v21
	v_lshlrev_b32_e32 v23, v23, v13
	v_sub_u32_e32 v22, 30, v22
	v_and_b32_e32 v23, 3, v23
	v_cmp_eq_u16_e32 vcc, 0, v21
	v_cndmask_b32_e32 v16, v16, v23, vcc
	v_cndmask_b32_e32 v21, v21, v22, vcc
	v_lshlrev_b32_e32 v22, 24, v13
	v_mov_b32_e32 v23, 0x37800000
	v_lshlrev_b32_e32 v16, 21, v16
	v_and_b32_e32 v22, 0x80000000, v22
	v_lshl_add_u32 v21, v21, 23, v23
	v_or3_b32 v16, v22, v21, v16
.LBB1_2856:
	s_or_b64 exec, exec, s[6:7]
	s_nop 0
	v_mfma_f32_16x16x4f32 a[0:3], v12, v16, a[0:3]
	v_lshrrev_b32_e32 v16, 8, v17
	s_movk_i32 s4, 0x7f
	v_cmp_gt_i16_sdwa s[6:7], v16, s4 src0_sel:BYTE_0 src1_sel:DWORD
	s_mov_b64 s[4:5], 0
                                        ; implicit-def: $sgpr10
	s_and_saveexec_b64 s[8:9], s[6:7]
	s_xor_b64 s[6:7], exec, s[8:9]
	s_cbranch_execz .LBB1_2857
; %bb.16699:
	s_getpc_b64 s[14:15]
.Lpost_getpc4253:
	s_add_u32 s14, s14, (.LBB1_6953-.Lpost_getpc4253)&4294967295
	s_addc_u32 s15, s15, (.LBB1_6953-.Lpost_getpc4253)>>32
	s_setpc_b64 s[14:15]
.LBB1_2857:
	s_or_saveexec_b64 s[6:7], s[6:7]
	v_mov_b32_e32 v12, s10
	s_xor_b64 exec, exec, s[6:7]
	s_cbranch_execz .LBB1_2858
; %bb.16701:
	s_getpc_b64 s[14:15]
.Lpost_getpc4254:
	s_add_u32 s14, s14, (.LBB1_6956-.Lpost_getpc4254)&4294967295
	s_addc_u32 s15, s15, (.LBB1_6956-.Lpost_getpc4254)>>32
	s_setpc_b64 s[14:15]
.LBB1_2858:
	s_or_b64 exec, exec, s[6:7]
	s_and_saveexec_b64 s[6:7], s[4:5]
	s_cbranch_execz .LBB1_2860
.LBB1_2859:
	v_bfe_u32 v12, v17, 8, 3
	v_ffbh_u32_e32 v22, v12
	v_min_u32_e32 v22, 32, v22
	v_lshrrev_b16_e32 v21, 3, v16
	v_subrev_u32_e32 v23, 28, v22
	v_and_b32_e32 v21, 15, v21
	v_lshlrev_b32_e32 v16, v23, v16
	v_sub_u32_e32 v22, 29, v22
	v_and_b32_e32 v16, 7, v16
	v_cmp_eq_u16_e32 vcc, 0, v21
	v_cndmask_b32_e32 v12, v12, v16, vcc
	v_cndmask_b32_e32 v16, v21, v22, vcc
	v_lshlrev_b32_e32 v21, 16, v17
	v_mov_b32_e32 v22, 0x3b800000
	v_lshlrev_b32_e32 v12, 20, v12
	v_and_b32_e32 v21, 0x80000000, v21
	v_lshl_add_u32 v16, v16, 23, v22
	v_or3_b32 v12, v21, v16, v12
.LBB1_2860:
	s_or_b64 exec, exec, s[6:7]
	v_lshrrev_b32_e32 v16, 8, v13
	s_movk_i32 s4, 0x7f
	v_cmp_gt_i16_sdwa s[6:7], v16, s4 src0_sel:BYTE_0 src1_sel:DWORD
	s_mov_b64 s[4:5], 0
                                        ; implicit-def: $sgpr10
	s_and_saveexec_b64 s[8:9], s[6:7]
	s_xor_b64 s[6:7], exec, s[8:9]
	s_cbranch_execz .LBB1_2861
; %bb.16703:
	s_getpc_b64 s[14:15]
.Lpost_getpc4255:
	s_add_u32 s14, s14, (.LBB1_6957-.Lpost_getpc4255)&4294967295
	s_addc_u32 s15, s15, (.LBB1_6957-.Lpost_getpc4255)>>32
	s_setpc_b64 s[14:15]
.LBB1_2861:
	s_or_saveexec_b64 s[6:7], s[6:7]
	v_mov_b32_e32 v21, s10
	s_xor_b64 exec, exec, s[6:7]
	s_cbranch_execz .LBB1_2862
; %bb.16705:
	s_getpc_b64 s[14:15]
.Lpost_getpc4256:
	s_add_u32 s14, s14, (.LBB1_6960-.Lpost_getpc4256)&4294967295
	s_addc_u32 s15, s15, (.LBB1_6960-.Lpost_getpc4256)>>32
	s_setpc_b64 s[14:15]
.LBB1_2862:
	s_or_b64 exec, exec, s[6:7]
	s_and_saveexec_b64 s[6:7], s[4:5]
	s_cbranch_execz .LBB1_2864
.LBB1_2863:
	v_bfe_u32 v21, v13, 8, 2
	v_ffbh_u32_e32 v23, v21
	v_min_u32_e32 v23, 32, v23
	v_lshrrev_b16_e32 v22, 2, v16
	v_subrev_u32_e32 v24, 29, v23
	v_and_b32_e32 v22, 31, v22
	v_lshlrev_b32_e32 v16, v24, v16
	v_sub_u32_e32 v23, 30, v23
	v_and_b32_e32 v16, 3, v16
	v_cmp_eq_u16_e32 vcc, 0, v22
	v_cndmask_b32_e32 v16, v21, v16, vcc
	v_cndmask_b32_e32 v21, v22, v23, vcc
	v_lshlrev_b32_e32 v22, 16, v13
	v_mov_b32_e32 v23, 0x37800000
	v_lshlrev_b32_e32 v16, 21, v16
	v_and_b32_e32 v22, 0x80000000, v22
	v_lshl_add_u32 v21, v21, 23, v23
	v_or3_b32 v21, v22, v21, v16
.LBB1_2864:
	s_or_b64 exec, exec, s[6:7]
	s_nop 0
	v_mfma_f32_16x16x4f32 a[0:3], v12, v21, a[0:3]
	s_movk_i32 s4, 0xff
	v_and_b32_sdwa v16, v17, s4 dst_sel:DWORD dst_unused:UNUSED_PAD src0_sel:WORD_1 src1_sel:DWORD
	s_movk_i32 s4, 0x7f
	v_cmp_lt_i16_e32 vcc, s4, v16
	s_mov_b64 s[4:5], 0
                                        ; implicit-def: $sgpr10
	s_and_saveexec_b64 s[6:7], vcc
	s_xor_b64 s[6:7], exec, s[6:7]
	s_cbranch_execz .LBB1_2865
; %bb.16707:
	s_getpc_b64 s[14:15]
.Lpost_getpc4257:
	s_add_u32 s14, s14, (.LBB1_6961-.Lpost_getpc4257)&4294967295
	s_addc_u32 s15, s15, (.LBB1_6961-.Lpost_getpc4257)>>32
	s_setpc_b64 s[14:15]
.LBB1_2865:
	s_or_saveexec_b64 s[6:7], s[6:7]
	v_mov_b32_e32 v12, s10
	s_xor_b64 exec, exec, s[6:7]
	s_cbranch_execz .LBB1_2866
; %bb.16709:
	s_getpc_b64 s[14:15]
.Lpost_getpc4258:
	s_add_u32 s14, s14, (.LBB1_6964-.Lpost_getpc4258)&4294967295
	s_addc_u32 s15, s15, (.LBB1_6964-.Lpost_getpc4258)>>32
	s_setpc_b64 s[14:15]
.LBB1_2866:
	s_or_b64 exec, exec, s[6:7]
	s_and_saveexec_b64 s[6:7], s[4:5]
	s_cbranch_execz .LBB1_2868
.LBB1_2867:
	v_bfe_u32 v12, v17, 16, 3
	v_ffbh_u32_e32 v22, v12
	v_min_u32_e32 v22, 32, v22
	v_lshrrev_b32_e32 v16, 19, v17
	v_subrev_u32_e32 v23, 28, v22
	v_and_b32_e32 v16, 15, v16
	v_lshlrev_b32_sdwa v23, v23, v17 dst_sel:DWORD dst_unused:UNUSED_PAD src0_sel:DWORD src1_sel:WORD_1
	v_bfe_u32 v21, v17, 19, 4
	v_sub_u32_e32 v22, 29, v22
	v_and_b32_e32 v23, 7, v23
	v_cmp_eq_u16_e32 vcc, 0, v16
	v_cndmask_b32_e32 v12, v12, v23, vcc
	v_cndmask_b32_e32 v16, v21, v22, vcc
	v_lshlrev_b32_e32 v21, 8, v17
	v_mov_b32_e32 v22, 0x3b800000
	v_lshlrev_b32_e32 v12, 20, v12
	v_and_b32_e32 v21, 0x80000000, v21
	v_lshl_add_u32 v16, v16, 23, v22
	v_or3_b32 v12, v21, v16, v12
.LBB1_2868:
	s_or_b64 exec, exec, s[6:7]
	s_movk_i32 s4, 0xff
	v_and_b32_sdwa v16, v13, s4 dst_sel:DWORD dst_unused:UNUSED_PAD src0_sel:WORD_1 src1_sel:DWORD
	s_movk_i32 s4, 0x7f
	v_cmp_lt_i16_e32 vcc, s4, v16
	s_mov_b64 s[4:5], 0
                                        ; implicit-def: $sgpr10
	s_and_saveexec_b64 s[6:7], vcc
	s_xor_b64 s[6:7], exec, s[6:7]
	s_cbranch_execz .LBB1_2869
; %bb.16711:
	s_getpc_b64 s[14:15]
.Lpost_getpc4259:
	s_add_u32 s14, s14, (.LBB1_6965-.Lpost_getpc4259)&4294967295
	s_addc_u32 s15, s15, (.LBB1_6965-.Lpost_getpc4259)>>32
	s_setpc_b64 s[14:15]
.LBB1_2869:
	s_or_saveexec_b64 s[6:7], s[6:7]
	v_mov_b32_e32 v21, s10
	s_xor_b64 exec, exec, s[6:7]
	s_cbranch_execz .LBB1_2870
; %bb.16713:
	s_getpc_b64 s[14:15]
.Lpost_getpc4260:
	s_add_u32 s14, s14, (.LBB1_6968-.Lpost_getpc4260)&4294967295
	s_addc_u32 s15, s15, (.LBB1_6968-.Lpost_getpc4260)>>32
	s_setpc_b64 s[14:15]
.LBB1_2870:
	s_or_b64 exec, exec, s[6:7]
	s_and_saveexec_b64 s[6:7], s[4:5]
	s_cbranch_execz .LBB1_2872
.LBB1_2871:
	v_bfe_u32 v16, v13, 16, 2
	v_ffbh_u32_e32 v23, v16
	v_min_u32_e32 v23, 32, v23
	v_lshrrev_b32_e32 v21, 18, v13
	v_subrev_u32_e32 v24, 29, v23
	v_and_b32_e32 v21, 31, v21
	v_lshlrev_b32_sdwa v24, v24, v13 dst_sel:DWORD dst_unused:UNUSED_PAD src0_sel:DWORD src1_sel:WORD_1
	v_bfe_u32 v22, v13, 18, 5
	v_sub_u32_e32 v23, 30, v23
	v_and_b32_e32 v24, 3, v24
	v_cmp_eq_u16_e32 vcc, 0, v21
	v_cndmask_b32_e32 v16, v16, v24, vcc
	v_cndmask_b32_e32 v21, v22, v23, vcc
	v_lshlrev_b32_e32 v22, 8, v13
	v_mov_b32_e32 v23, 0x37800000
	v_lshlrev_b32_e32 v16, 21, v16
	v_and_b32_e32 v22, 0x80000000, v22
	v_lshl_add_u32 v21, v21, 23, v23
	v_or3_b32 v21, v22, v21, v16
.LBB1_2872:
	s_or_b64 exec, exec, s[6:7]
	s_nop 0
	v_mfma_f32_16x16x4f32 a[0:3], v12, v21, a[0:3]
	s_movk_i32 s4, 0x7f
	v_cmp_gt_i16_sdwa s[6:7], v17, s4 src0_sel:BYTE_3 src1_sel:DWORD
	s_mov_b64 s[4:5], 0
                                        ; implicit-def: $sgpr10
	s_and_saveexec_b64 s[8:9], s[6:7]
	s_xor_b64 s[6:7], exec, s[8:9]
	s_cbranch_execz .LBB1_2873
; %bb.16715:
	s_getpc_b64 s[14:15]
.Lpost_getpc4261:
	s_add_u32 s14, s14, (.LBB1_6969-.Lpost_getpc4261)&4294967295
	s_addc_u32 s15, s15, (.LBB1_6969-.Lpost_getpc4261)>>32
	s_setpc_b64 s[14:15]
.LBB1_2873:
	s_or_saveexec_b64 s[6:7], s[6:7]
	v_mov_b32_e32 v12, s10
	s_xor_b64 exec, exec, s[6:7]
	s_cbranch_execz .LBB1_2874
; %bb.16717:
	s_getpc_b64 s[14:15]
.Lpost_getpc4262:
	s_add_u32 s14, s14, (.LBB1_6972-.Lpost_getpc4262)&4294967295
	s_addc_u32 s15, s15, (.LBB1_6972-.Lpost_getpc4262)>>32
	s_setpc_b64 s[14:15]
.LBB1_2874:
	s_or_b64 exec, exec, s[6:7]
	s_and_saveexec_b64 s[6:7], s[4:5]
	s_cbranch_execz .LBB1_2876
.LBB1_2875:
	v_bfe_u32 v12, v17, 24, 3
	v_ffbh_u32_e32 v23, v12
	v_min_u32_e32 v23, 32, v23
	v_lshrrev_b32_e32 v21, 27, v17
	v_subrev_u32_e32 v24, 28, v23
	v_and_b32_e32 v16, 0x80000000, v17
	v_and_b32_e32 v21, 15, v21
	v_bfe_u32 v22, v17, 27, 4
	v_lshlrev_b32_sdwa v17, v24, v17 dst_sel:DWORD dst_unused:UNUSED_PAD src0_sel:DWORD src1_sel:BYTE_3
	v_sub_u32_e32 v23, 29, v23
	v_and_b32_e32 v17, 7, v17
	v_cmp_eq_u16_e32 vcc, 0, v21
	v_cndmask_b32_e32 v12, v12, v17, vcc
	v_cndmask_b32_e32 v17, v22, v23, vcc
	v_mov_b32_e32 v21, 0x3b800000
	v_lshlrev_b32_e32 v12, 20, v12
	v_lshl_add_u32 v17, v17, 23, v21
	v_or3_b32 v12, v16, v17, v12
.LBB1_2876:
	s_or_b64 exec, exec, s[6:7]
	s_movk_i32 s4, 0x7f
	v_cmp_gt_i16_sdwa s[6:7], v13, s4 src0_sel:BYTE_3 src1_sel:DWORD
	s_mov_b64 s[4:5], 0
                                        ; implicit-def: $sgpr10
	s_and_saveexec_b64 s[8:9], s[6:7]
	s_xor_b64 s[6:7], exec, s[8:9]
	s_cbranch_execz .LBB1_2877
; %bb.16719:
	s_getpc_b64 s[14:15]
.Lpost_getpc4263:
	s_add_u32 s14, s14, (.LBB1_6973-.Lpost_getpc4263)&4294967295
	s_addc_u32 s15, s15, (.LBB1_6973-.Lpost_getpc4263)>>32
	s_setpc_b64 s[14:15]
.LBB1_2877:
	s_or_saveexec_b64 s[6:7], s[6:7]
	v_mov_b32_e32 v16, s10
	s_xor_b64 exec, exec, s[6:7]
	s_cbranch_execz .LBB1_2878
; %bb.16721:
	s_getpc_b64 s[14:15]
.Lpost_getpc4264:
	s_add_u32 s14, s14, (.LBB1_6976-.Lpost_getpc4264)&4294967295
	s_addc_u32 s15, s15, (.LBB1_6976-.Lpost_getpc4264)>>32
	s_setpc_b64 s[14:15]
.LBB1_2878:
	s_or_b64 exec, exec, s[6:7]
	s_and_saveexec_b64 s[6:7], s[4:5]
	s_cbranch_execz .LBB1_2880
.LBB1_2879:
	v_bfe_u32 v16, v13, 24, 2
	v_ffbh_u32_e32 v23, v16
	v_min_u32_e32 v23, 32, v23
	v_lshrrev_b32_e32 v21, 26, v13
	v_subrev_u32_e32 v24, 29, v23
	v_and_b32_e32 v17, 0x80000000, v13
	v_and_b32_e32 v21, 31, v21
	v_bfe_u32 v22, v13, 26, 5
	v_lshlrev_b32_sdwa v13, v24, v13 dst_sel:DWORD dst_unused:UNUSED_PAD src0_sel:DWORD src1_sel:BYTE_3
	v_sub_u32_e32 v23, 30, v23
	v_and_b32_e32 v13, 3, v13
	v_cmp_eq_u16_e32 vcc, 0, v21
	v_cndmask_b32_e32 v13, v16, v13, vcc
	v_cndmask_b32_e32 v16, v22, v23, vcc
	v_mov_b32_e32 v21, 0x37800000
	v_lshlrev_b32_e32 v13, 21, v13
	v_lshl_add_u32 v16, v16, 23, v21
	v_or3_b32 v16, v17, v16, v13
.LBB1_2880:
	s_or_b64 exec, exec, s[6:7]
	s_nop 0
	v_mfma_f32_16x16x4f32 a[0:3], v12, v16, a[0:3]
	s_movk_i32 s4, 0x7f
	v_cmp_gt_i16_sdwa s[6:7], v18, s4 src0_sel:BYTE_0 src1_sel:DWORD
	s_mov_b64 s[4:5], 0
                                        ; implicit-def: $sgpr10
	s_and_saveexec_b64 s[8:9], s[6:7]
	s_xor_b64 s[6:7], exec, s[8:9]
	s_cbranch_execz .LBB1_2881
; %bb.16723:
	s_getpc_b64 s[14:15]
.Lpost_getpc4265:
	s_add_u32 s14, s14, (.LBB1_6977-.Lpost_getpc4265)&4294967295
	s_addc_u32 s15, s15, (.LBB1_6977-.Lpost_getpc4265)>>32
	s_setpc_b64 s[14:15]
.LBB1_2881:
	s_or_saveexec_b64 s[6:7], s[6:7]
	v_mov_b32_e32 v13, s10
	s_xor_b64 exec, exec, s[6:7]
	s_cbranch_execz .LBB1_2882
; %bb.16725:
	s_getpc_b64 s[14:15]
.Lpost_getpc4266:
	s_add_u32 s14, s14, (.LBB1_6980-.Lpost_getpc4266)&4294967295
	s_addc_u32 s15, s15, (.LBB1_6980-.Lpost_getpc4266)>>32
	s_setpc_b64 s[14:15]
.LBB1_2882:
	s_or_b64 exec, exec, s[6:7]
	s_and_saveexec_b64 s[6:7], s[4:5]
	s_cbranch_execz .LBB1_2884
.LBB1_2883:
	v_and_b32_e32 v12, 7, v18
	v_ffbh_u32_e32 v16, v12
	v_min_u32_e32 v16, 32, v16
	v_lshrrev_b16_e32 v13, 3, v18
	v_subrev_u32_e32 v17, 28, v16
	v_and_b32_e32 v13, 15, v13
	v_lshlrev_b32_e32 v17, v17, v18
	v_sub_u32_e32 v16, 29, v16
	v_and_b32_e32 v17, 7, v17
	v_cmp_eq_u16_e32 vcc, 0, v13
	v_cndmask_b32_e32 v12, v12, v17, vcc
	v_cndmask_b32_e32 v13, v13, v16, vcc
	v_lshlrev_b32_e32 v16, 24, v18
	v_mov_b32_e32 v17, 0x3b800000
	v_lshlrev_b32_e32 v12, 20, v12
	v_and_b32_e32 v16, 0x80000000, v16
	v_lshl_add_u32 v13, v13, 23, v17
	v_or3_b32 v13, v16, v13, v12
.LBB1_2884:
	s_or_b64 exec, exec, s[6:7]
	s_movk_i32 s4, 0xff
	v_mov_b32_e32 v12, 8
	v_or_b32_sdwa v16, v14, v20 dst_sel:DWORD dst_unused:UNUSED_PAD src0_sel:BYTE_0 src1_sel:DWORD
	v_lshlrev_b16_sdwa v12, v12, v14 dst_sel:DWORD dst_unused:UNUSED_PAD src0_sel:DWORD src1_sel:BYTE_3
	v_and_b32_sdwa v14, v14, s4 dst_sel:DWORD dst_unused:UNUSED_PAD src0_sel:WORD_1 src1_sel:DWORD
	s_movk_i32 s4, 0x7f
	v_or_b32_sdwa v12, v14, v12 dst_sel:WORD_1 dst_unused:UNUSED_PAD src0_sel:DWORD src1_sel:DWORD
	v_cmp_gt_i16_sdwa s[6:7], v16, s4 src0_sel:BYTE_0 src1_sel:DWORD
	s_mov_b64 s[4:5], 0
                                        ; implicit-def: $sgpr10
	s_and_saveexec_b64 s[8:9], s[6:7]
	s_xor_b64 s[6:7], exec, s[8:9]
	s_cbranch_execz .LBB1_2885
; %bb.16727:
	s_getpc_b64 s[14:15]
.Lpost_getpc4267:
	s_add_u32 s14, s14, (.LBB1_6981-.Lpost_getpc4267)&4294967295
	s_addc_u32 s15, s15, (.LBB1_6981-.Lpost_getpc4267)>>32
	s_setpc_b64 s[14:15]
.LBB1_2885:
	s_or_saveexec_b64 s[6:7], s[6:7]
	v_mov_b32_e32 v14, s10
	s_xor_b64 exec, exec, s[6:7]
	s_cbranch_execz .LBB1_2886
; %bb.16729:
	s_getpc_b64 s[14:15]
.Lpost_getpc4268:
	s_add_u32 s14, s14, (.LBB1_6984-.Lpost_getpc4268)&4294967295
	s_addc_u32 s15, s15, (.LBB1_6984-.Lpost_getpc4268)>>32
	s_setpc_b64 s[14:15]
.LBB1_2886:
	s_or_b64 exec, exec, s[6:7]
	v_or_b32_sdwa v12, v16, v12 dst_sel:DWORD dst_unused:UNUSED_PAD src0_sel:WORD_0 src1_sel:DWORD
	s_and_saveexec_b64 s[6:7], s[4:5]
	s_cbranch_execz .LBB1_2888
.LBB1_2887:
	v_and_b32_e32 v14, 3, v12
	v_ffbh_u32_e32 v17, v14
	v_min_u32_e32 v17, 32, v17
	v_lshrrev_b16_e32 v16, 2, v16
	v_subrev_u32_e32 v20, 29, v17
	v_and_b32_e32 v16, 31, v16
	v_lshlrev_b32_e32 v20, v20, v12
	v_sub_u32_e32 v17, 30, v17
	v_and_b32_e32 v20, 3, v20
	v_cmp_eq_u16_e32 vcc, 0, v16
	v_cndmask_b32_e32 v14, v14, v20, vcc
	v_cndmask_b32_e32 v16, v16, v17, vcc
	v_lshlrev_b32_e32 v17, 24, v12
	v_mov_b32_e32 v20, 0x37800000
	v_lshlrev_b32_e32 v14, 21, v14
	v_and_b32_e32 v17, 0x80000000, v17
	v_lshl_add_u32 v16, v16, 23, v20
	v_or3_b32 v14, v17, v16, v14
.LBB1_2888:
	s_or_b64 exec, exec, s[6:7]
	s_nop 0
	v_mfma_f32_16x16x4f32 a[0:3], v13, v14, a[0:3]
	v_lshrrev_b32_e32 v14, 8, v18
	s_movk_i32 s4, 0x7f
	v_cmp_gt_i16_sdwa s[6:7], v14, s4 src0_sel:BYTE_0 src1_sel:DWORD
	s_mov_b64 s[4:5], 0
                                        ; implicit-def: $sgpr10
	s_and_saveexec_b64 s[8:9], s[6:7]
	s_xor_b64 s[6:7], exec, s[8:9]
	s_cbranch_execz .LBB1_2889
; %bb.16731:
	s_getpc_b64 s[14:15]
.Lpost_getpc4269:
	s_add_u32 s14, s14, (.LBB1_6985-.Lpost_getpc4269)&4294967295
	s_addc_u32 s15, s15, (.LBB1_6985-.Lpost_getpc4269)>>32
	s_setpc_b64 s[14:15]
.LBB1_2889:
	s_or_saveexec_b64 s[6:7], s[6:7]
	v_mov_b32_e32 v13, s10
	s_xor_b64 exec, exec, s[6:7]
	s_cbranch_execz .LBB1_2890
; %bb.16733:
	s_getpc_b64 s[14:15]
.Lpost_getpc4270:
	s_add_u32 s14, s14, (.LBB1_6988-.Lpost_getpc4270)&4294967295
	s_addc_u32 s15, s15, (.LBB1_6988-.Lpost_getpc4270)>>32
	s_setpc_b64 s[14:15]
.LBB1_2890:
	s_or_b64 exec, exec, s[6:7]
	s_and_saveexec_b64 s[6:7], s[4:5]
	s_cbranch_execz .LBB1_2892
.LBB1_2891:
	v_bfe_u32 v13, v18, 8, 3
	v_ffbh_u32_e32 v17, v13
	v_min_u32_e32 v17, 32, v17
	v_lshrrev_b16_e32 v16, 3, v14
	v_subrev_u32_e32 v20, 28, v17
	v_and_b32_e32 v16, 15, v16
	v_lshlrev_b32_e32 v14, v20, v14
	v_sub_u32_e32 v17, 29, v17
	v_and_b32_e32 v14, 7, v14
	v_cmp_eq_u16_e32 vcc, 0, v16
	v_cndmask_b32_e32 v13, v13, v14, vcc
	v_cndmask_b32_e32 v14, v16, v17, vcc
	v_lshlrev_b32_e32 v16, 16, v18
	v_mov_b32_e32 v17, 0x3b800000
	v_lshlrev_b32_e32 v13, 20, v13
	v_and_b32_e32 v16, 0x80000000, v16
	v_lshl_add_u32 v14, v14, 23, v17
	v_or3_b32 v13, v16, v14, v13
.LBB1_2892:
	s_or_b64 exec, exec, s[6:7]
	v_lshrrev_b32_e32 v14, 8, v12
	s_movk_i32 s4, 0x7f
	v_cmp_gt_i16_sdwa s[6:7], v14, s4 src0_sel:BYTE_0 src1_sel:DWORD
	s_mov_b64 s[4:5], 0
                                        ; implicit-def: $sgpr10
	s_and_saveexec_b64 s[8:9], s[6:7]
	s_xor_b64 s[6:7], exec, s[8:9]
	s_cbranch_execz .LBB1_2893
; %bb.16735:
	s_getpc_b64 s[14:15]
.Lpost_getpc4271:
	s_add_u32 s14, s14, (.LBB1_6989-.Lpost_getpc4271)&4294967295
	s_addc_u32 s15, s15, (.LBB1_6989-.Lpost_getpc4271)>>32
	s_setpc_b64 s[14:15]
.LBB1_2893:
	s_or_saveexec_b64 s[6:7], s[6:7]
	v_mov_b32_e32 v16, s10
	s_xor_b64 exec, exec, s[6:7]
	s_cbranch_execz .LBB1_2894
; %bb.16737:
	s_getpc_b64 s[14:15]
.Lpost_getpc4272:
	s_add_u32 s14, s14, (.LBB1_6992-.Lpost_getpc4272)&4294967295
	s_addc_u32 s15, s15, (.LBB1_6992-.Lpost_getpc4272)>>32
	s_setpc_b64 s[14:15]
.LBB1_2894:
	s_or_b64 exec, exec, s[6:7]
	s_and_saveexec_b64 s[6:7], s[4:5]
	s_cbranch_execz .LBB1_2896
.LBB1_2895:
	v_bfe_u32 v16, v12, 8, 2
	v_ffbh_u32_e32 v20, v16
	v_min_u32_e32 v20, 32, v20
	v_lshrrev_b16_e32 v17, 2, v14
	v_subrev_u32_e32 v21, 29, v20
	v_and_b32_e32 v17, 31, v17
	v_lshlrev_b32_e32 v14, v21, v14
	v_sub_u32_e32 v20, 30, v20
	v_and_b32_e32 v14, 3, v14
	v_cmp_eq_u16_e32 vcc, 0, v17
	v_cndmask_b32_e32 v14, v16, v14, vcc
	v_cndmask_b32_e32 v16, v17, v20, vcc
	v_lshlrev_b32_e32 v17, 16, v12
	v_mov_b32_e32 v20, 0x37800000
	v_lshlrev_b32_e32 v14, 21, v14
	v_and_b32_e32 v17, 0x80000000, v17
	v_lshl_add_u32 v16, v16, 23, v20
	v_or3_b32 v16, v17, v16, v14
.LBB1_2896:
	s_or_b64 exec, exec, s[6:7]
	s_nop 0
	v_mfma_f32_16x16x4f32 a[0:3], v13, v16, a[0:3]
	s_movk_i32 s4, 0xff
	v_and_b32_sdwa v14, v18, s4 dst_sel:DWORD dst_unused:UNUSED_PAD src0_sel:WORD_1 src1_sel:DWORD
	s_movk_i32 s4, 0x7f
	v_cmp_lt_i16_e32 vcc, s4, v14
	s_mov_b64 s[4:5], 0
                                        ; implicit-def: $sgpr10
	s_and_saveexec_b64 s[6:7], vcc
	s_xor_b64 s[6:7], exec, s[6:7]
	s_cbranch_execz .LBB1_2897
; %bb.16739:
	s_getpc_b64 s[14:15]
.Lpost_getpc4273:
	s_add_u32 s14, s14, (.LBB1_6993-.Lpost_getpc4273)&4294967295
	s_addc_u32 s15, s15, (.LBB1_6993-.Lpost_getpc4273)>>32
	s_setpc_b64 s[14:15]
.LBB1_2897:
	s_or_saveexec_b64 s[6:7], s[6:7]
	v_mov_b32_e32 v13, s10
	s_xor_b64 exec, exec, s[6:7]
	s_cbranch_execz .LBB1_2898
; %bb.16741:
	s_getpc_b64 s[14:15]
.Lpost_getpc4274:
	s_add_u32 s14, s14, (.LBB1_6996-.Lpost_getpc4274)&4294967295
	s_addc_u32 s15, s15, (.LBB1_6996-.Lpost_getpc4274)>>32
	s_setpc_b64 s[14:15]
.LBB1_2898:
	s_or_b64 exec, exec, s[6:7]
	s_and_saveexec_b64 s[6:7], s[4:5]
	s_cbranch_execz .LBB1_2900
.LBB1_2899:
	v_bfe_u32 v13, v18, 16, 3
	v_ffbh_u32_e32 v17, v13
	v_min_u32_e32 v17, 32, v17
	v_lshrrev_b32_e32 v14, 19, v18
	v_subrev_u32_e32 v20, 28, v17
	v_and_b32_e32 v14, 15, v14
	v_lshlrev_b32_sdwa v20, v20, v18 dst_sel:DWORD dst_unused:UNUSED_PAD src0_sel:DWORD src1_sel:WORD_1
	v_bfe_u32 v16, v18, 19, 4
	v_sub_u32_e32 v17, 29, v17
	v_and_b32_e32 v20, 7, v20
	v_cmp_eq_u16_e32 vcc, 0, v14
	v_cndmask_b32_e32 v13, v13, v20, vcc
	v_cndmask_b32_e32 v14, v16, v17, vcc
	v_lshlrev_b32_e32 v16, 8, v18
	v_mov_b32_e32 v17, 0x3b800000
	v_lshlrev_b32_e32 v13, 20, v13
	v_and_b32_e32 v16, 0x80000000, v16
	v_lshl_add_u32 v14, v14, 23, v17
	v_or3_b32 v13, v16, v14, v13
.LBB1_2900:
	s_or_b64 exec, exec, s[6:7]
	s_movk_i32 s4, 0xff
	v_and_b32_sdwa v14, v12, s4 dst_sel:DWORD dst_unused:UNUSED_PAD src0_sel:WORD_1 src1_sel:DWORD
	s_movk_i32 s4, 0x7f
	v_cmp_lt_i16_e32 vcc, s4, v14
	s_mov_b64 s[4:5], 0
                                        ; implicit-def: $sgpr10
	s_and_saveexec_b64 s[6:7], vcc
	s_xor_b64 s[6:7], exec, s[6:7]
	s_cbranch_execz .LBB1_2901
; %bb.16743:
	s_getpc_b64 s[14:15]
.Lpost_getpc4275:
	s_add_u32 s14, s14, (.LBB1_6997-.Lpost_getpc4275)&4294967295
	s_addc_u32 s15, s15, (.LBB1_6997-.Lpost_getpc4275)>>32
	s_setpc_b64 s[14:15]
.LBB1_2901:
	s_or_saveexec_b64 s[6:7], s[6:7]
	v_mov_b32_e32 v16, s10
	s_xor_b64 exec, exec, s[6:7]
	s_cbranch_execz .LBB1_2902
; %bb.16745:
	s_getpc_b64 s[14:15]
.Lpost_getpc4276:
	s_add_u32 s14, s14, (.LBB1_7000-.Lpost_getpc4276)&4294967295
	s_addc_u32 s15, s15, (.LBB1_7000-.Lpost_getpc4276)>>32
	s_setpc_b64 s[14:15]
.LBB1_2902:
	s_or_b64 exec, exec, s[6:7]
	s_and_saveexec_b64 s[6:7], s[4:5]
	s_cbranch_execz .LBB1_2904
.LBB1_2903:
	v_bfe_u32 v14, v12, 16, 2
	v_ffbh_u32_e32 v20, v14
	v_min_u32_e32 v20, 32, v20
	v_lshrrev_b32_e32 v16, 18, v12
	v_subrev_u32_e32 v21, 29, v20
	v_and_b32_e32 v16, 31, v16
	v_lshlrev_b32_sdwa v21, v21, v12 dst_sel:DWORD dst_unused:UNUSED_PAD src0_sel:DWORD src1_sel:WORD_1
	v_bfe_u32 v17, v12, 18, 5
	v_sub_u32_e32 v20, 30, v20
	v_and_b32_e32 v21, 3, v21
	v_cmp_eq_u16_e32 vcc, 0, v16
	v_cndmask_b32_e32 v14, v14, v21, vcc
	v_cndmask_b32_e32 v16, v17, v20, vcc
	v_lshlrev_b32_e32 v17, 8, v12
	v_mov_b32_e32 v20, 0x37800000
	v_lshlrev_b32_e32 v14, 21, v14
	v_and_b32_e32 v17, 0x80000000, v17
	v_lshl_add_u32 v16, v16, 23, v20
	v_or3_b32 v16, v17, v16, v14
.LBB1_2904:
	s_or_b64 exec, exec, s[6:7]
	s_nop 0
	v_mfma_f32_16x16x4f32 a[0:3], v13, v16, a[0:3]
	s_movk_i32 s4, 0x7f
	v_cmp_gt_i16_sdwa s[6:7], v18, s4 src0_sel:BYTE_3 src1_sel:DWORD
	s_mov_b64 s[4:5], 0
                                        ; implicit-def: $sgpr10
	s_and_saveexec_b64 s[8:9], s[6:7]
	s_xor_b64 s[6:7], exec, s[8:9]
	s_cbranch_execz .LBB1_2905
; %bb.16747:
	s_getpc_b64 s[14:15]
.Lpost_getpc4277:
	s_add_u32 s14, s14, (.LBB1_7001-.Lpost_getpc4277)&4294967295
	s_addc_u32 s15, s15, (.LBB1_7001-.Lpost_getpc4277)>>32
	s_setpc_b64 s[14:15]
.LBB1_2905:
	s_or_saveexec_b64 s[6:7], s[6:7]
	v_mov_b32_e32 v13, s10
	s_xor_b64 exec, exec, s[6:7]
	s_cbranch_execz .LBB1_2906
; %bb.16749:
	s_getpc_b64 s[14:15]
.Lpost_getpc4278:
	s_add_u32 s14, s14, (.LBB1_7004-.Lpost_getpc4278)&4294967295
	s_addc_u32 s15, s15, (.LBB1_7004-.Lpost_getpc4278)>>32
	s_setpc_b64 s[14:15]
.LBB1_2906:
	s_or_b64 exec, exec, s[6:7]
	s_and_saveexec_b64 s[6:7], s[4:5]
	s_cbranch_execz .LBB1_2908
.LBB1_2907:
	v_bfe_u32 v13, v18, 24, 3
	v_ffbh_u32_e32 v20, v13
	v_min_u32_e32 v20, 32, v20
	v_lshrrev_b32_e32 v16, 27, v18
	v_subrev_u32_e32 v21, 28, v20
	v_and_b32_e32 v14, 0x80000000, v18
	v_and_b32_e32 v16, 15, v16
	v_bfe_u32 v17, v18, 27, 4
	v_lshlrev_b32_sdwa v18, v21, v18 dst_sel:DWORD dst_unused:UNUSED_PAD src0_sel:DWORD src1_sel:BYTE_3
	v_sub_u32_e32 v20, 29, v20
	v_and_b32_e32 v18, 7, v18
	v_cmp_eq_u16_e32 vcc, 0, v16
	v_cndmask_b32_e32 v13, v13, v18, vcc
	v_cndmask_b32_e32 v16, v17, v20, vcc
	v_mov_b32_e32 v17, 0x3b800000
	v_lshlrev_b32_e32 v13, 20, v13
	v_lshl_add_u32 v16, v16, 23, v17
	v_or3_b32 v13, v14, v16, v13
.LBB1_2908:
	s_or_b64 exec, exec, s[6:7]
	s_movk_i32 s4, 0x7f
	v_cmp_gt_i16_sdwa s[6:7], v12, s4 src0_sel:BYTE_3 src1_sel:DWORD
	s_mov_b64 s[4:5], 0
                                        ; implicit-def: $sgpr10
	s_and_saveexec_b64 s[8:9], s[6:7]
	s_xor_b64 s[6:7], exec, s[8:9]
	s_cbranch_execz .LBB1_2909
; %bb.16751:
	s_getpc_b64 s[14:15]
.Lpost_getpc4279:
	s_add_u32 s14, s14, (.LBB1_7005-.Lpost_getpc4279)&4294967295
	s_addc_u32 s15, s15, (.LBB1_7005-.Lpost_getpc4279)>>32
	s_setpc_b64 s[14:15]
.LBB1_2909:
	s_or_saveexec_b64 s[6:7], s[6:7]
	v_mov_b32_e32 v14, s10
	s_xor_b64 exec, exec, s[6:7]
	s_cbranch_execz .LBB1_2910
; %bb.16753:
	s_getpc_b64 s[14:15]
.Lpost_getpc4280:
	s_add_u32 s14, s14, (.LBB1_7008-.Lpost_getpc4280)&4294967295
	s_addc_u32 s15, s15, (.LBB1_7008-.Lpost_getpc4280)>>32
	s_setpc_b64 s[14:15]
.LBB1_2910:
	s_or_b64 exec, exec, s[6:7]
	s_and_saveexec_b64 s[6:7], s[4:5]
	s_cbranch_execz .LBB1_2912
.LBB1_2911:
	v_bfe_u32 v14, v12, 24, 2
	v_ffbh_u32_e32 v20, v14
	v_min_u32_e32 v20, 32, v20
	v_lshrrev_b32_e32 v17, 26, v12
	v_subrev_u32_e32 v21, 29, v20
	v_and_b32_e32 v16, 0x80000000, v12
	v_and_b32_e32 v17, 31, v17
	v_bfe_u32 v18, v12, 26, 5
	v_lshlrev_b32_sdwa v12, v21, v12 dst_sel:DWORD dst_unused:UNUSED_PAD src0_sel:DWORD src1_sel:BYTE_3
	v_sub_u32_e32 v20, 30, v20
	v_and_b32_e32 v12, 3, v12
	v_cmp_eq_u16_e32 vcc, 0, v17
	v_cndmask_b32_e32 v12, v14, v12, vcc
	v_cndmask_b32_e32 v14, v18, v20, vcc
	v_mov_b32_e32 v17, 0x37800000
	v_lshlrev_b32_e32 v12, 21, v12
	v_lshl_add_u32 v14, v14, 23, v17
	v_or3_b32 v14, v16, v14, v12
.LBB1_2912:
	s_or_b64 exec, exec, s[6:7]
	s_nop 0
	v_mfma_f32_16x16x4f32 a[0:3], v13, v14, a[0:3]
	s_movk_i32 s4, 0x7f
	v_cmp_gt_i16_sdwa s[6:7], v19, s4 src0_sel:BYTE_0 src1_sel:DWORD
	s_mov_b64 s[4:5], 0
                                        ; implicit-def: $sgpr10
	s_and_saveexec_b64 s[8:9], s[6:7]
	s_xor_b64 s[6:7], exec, s[8:9]
	s_cbranch_execz .LBB1_2913
; %bb.16755:
	s_getpc_b64 s[14:15]
.Lpost_getpc4281:
	s_add_u32 s14, s14, (.LBB1_7009-.Lpost_getpc4281)&4294967295
	s_addc_u32 s15, s15, (.LBB1_7009-.Lpost_getpc4281)>>32
	s_setpc_b64 s[14:15]
.LBB1_2913:
	s_or_saveexec_b64 s[6:7], s[6:7]
	v_mov_b32_e32 v12, s10
	s_xor_b64 exec, exec, s[6:7]
	s_cbranch_execz .LBB1_2914
; %bb.16757:
	s_getpc_b64 s[14:15]
.Lpost_getpc4282:
	s_add_u32 s14, s14, (.LBB1_7012-.Lpost_getpc4282)&4294967295
	s_addc_u32 s15, s15, (.LBB1_7012-.Lpost_getpc4282)>>32
	s_setpc_b64 s[14:15]
.LBB1_2914:
	s_or_b64 exec, exec, s[6:7]
	s_and_saveexec_b64 s[6:7], s[4:5]
	s_cbranch_execz .LBB1_2916
.LBB1_2915:
	v_mov_b32_e32 v12, 8
	v_and_b32_e32 v13, 7, v19
	v_lshrrev_b32_sdwa v12, v12, v19 dst_sel:BYTE_1 dst_unused:UNUSED_PAD src0_sel:DWORD src1_sel:DWORD
	v_ffbh_u32_e32 v14, v13
	v_or_b32_sdwa v12, v19, v12 dst_sel:DWORD dst_unused:UNUSED_PAD src0_sel:BYTE_0 src1_sel:DWORD
	v_min_u32_e32 v14, 32, v14
	v_lshrrev_b16_e32 v12, 3, v12
	v_subrev_u32_e32 v16, 28, v14
	v_and_b32_e32 v12, 15, v12
	v_lshlrev_b32_e32 v16, v16, v19
	v_sub_u32_e32 v14, 29, v14
	v_and_b32_e32 v16, 7, v16
	v_cmp_eq_u16_e32 vcc, 0, v12
	v_cndmask_b32_e32 v13, v13, v16, vcc
	v_cndmask_b32_e32 v12, v12, v14, vcc
	v_lshlrev_b32_e32 v14, 24, v19
	v_mov_b32_e32 v16, 0x3b800000
	v_lshlrev_b32_e32 v13, 20, v13
	v_and_b32_e32 v14, 0x80000000, v14
	v_lshl_add_u32 v12, v12, 23, v16
	v_or3_b32 v12, v14, v12, v13
.LBB1_2916:
	s_or_b64 exec, exec, s[6:7]
	s_movk_i32 s4, 0x7f
	v_cmp_gt_i16_sdwa s[6:7], v15, s4 src0_sel:BYTE_0 src1_sel:DWORD
	s_mov_b64 s[4:5], 0
                                        ; implicit-def: $sgpr10
	s_and_saveexec_b64 s[8:9], s[6:7]
	s_xor_b64 s[6:7], exec, s[8:9]
	s_cbranch_execz .LBB1_2917
; %bb.16759:
	s_getpc_b64 s[14:15]
.Lpost_getpc4283:
	s_add_u32 s14, s14, (.LBB1_7013-.Lpost_getpc4283)&4294967295
	s_addc_u32 s15, s15, (.LBB1_7013-.Lpost_getpc4283)>>32
	s_setpc_b64 s[14:15]
.LBB1_2917:
	s_or_saveexec_b64 s[6:7], s[6:7]
	v_mov_b32_e32 v13, s10
	s_xor_b64 exec, exec, s[6:7]
	s_cbranch_execz .LBB1_2918
; %bb.16761:
	s_getpc_b64 s[14:15]
.Lpost_getpc4284:
	s_add_u32 s14, s14, (.LBB1_7016-.Lpost_getpc4284)&4294967295
	s_addc_u32 s15, s15, (.LBB1_7016-.Lpost_getpc4284)>>32
	s_setpc_b64 s[14:15]
.LBB1_2918:
	s_or_b64 exec, exec, s[6:7]
	s_and_saveexec_b64 s[6:7], s[4:5]
	s_cbranch_execz .LBB1_2920
.LBB1_2919:
	v_and_b32_e32 v13, 3, v15
	v_ffbh_u32_e32 v16, v13
	v_min_u32_e32 v16, 32, v16
	v_lshrrev_b16_e32 v14, 2, v15
	v_subrev_u32_e32 v17, 29, v16
	v_and_b32_e32 v14, 31, v14
	v_lshlrev_b32_e32 v17, v17, v15
	v_sub_u32_e32 v16, 30, v16
	v_and_b32_e32 v17, 3, v17
	v_cmp_eq_u16_e32 vcc, 0, v14
	v_cndmask_b32_e32 v13, v13, v17, vcc
	v_cndmask_b32_e32 v14, v14, v16, vcc
	v_lshlrev_b32_e32 v16, 24, v15
	v_mov_b32_e32 v17, 0x37800000
	v_lshlrev_b32_e32 v13, 21, v13
	v_and_b32_e32 v16, 0x80000000, v16
	v_lshl_add_u32 v14, v14, 23, v17
	v_or3_b32 v13, v16, v14, v13
.LBB1_2920:
	s_or_b64 exec, exec, s[6:7]
	s_nop 0
	v_mfma_f32_16x16x4f32 a[0:3], v12, v13, a[0:3]
	v_lshrrev_b32_e32 v13, 8, v19
	s_movk_i32 s4, 0x7f
	v_cmp_gt_i16_sdwa s[6:7], v13, s4 src0_sel:BYTE_0 src1_sel:DWORD
	s_mov_b64 s[4:5], 0
                                        ; implicit-def: $sgpr10
	s_and_saveexec_b64 s[8:9], s[6:7]
	s_xor_b64 s[6:7], exec, s[8:9]
	s_cbranch_execz .LBB1_2921
; %bb.16763:
	s_getpc_b64 s[14:15]
.Lpost_getpc4285:
	s_add_u32 s14, s14, (.LBB1_7017-.Lpost_getpc4285)&4294967295
	s_addc_u32 s15, s15, (.LBB1_7017-.Lpost_getpc4285)>>32
	s_setpc_b64 s[14:15]
.LBB1_2921:
	s_or_saveexec_b64 s[6:7], s[6:7]
	v_mov_b32_e32 v12, s10
	s_xor_b64 exec, exec, s[6:7]
	s_cbranch_execz .LBB1_2922
; %bb.16765:
	s_getpc_b64 s[14:15]
.Lpost_getpc4286:
	s_add_u32 s14, s14, (.LBB1_7020-.Lpost_getpc4286)&4294967295
	s_addc_u32 s15, s15, (.LBB1_7020-.Lpost_getpc4286)>>32
	s_setpc_b64 s[14:15]
.LBB1_2922:
	s_or_b64 exec, exec, s[6:7]
	s_and_saveexec_b64 s[6:7], s[4:5]
	s_cbranch_execz .LBB1_2924
.LBB1_2923:
	v_bfe_u32 v12, v19, 8, 3
	v_ffbh_u32_e32 v16, v12
	v_min_u32_e32 v16, 32, v16
	v_lshrrev_b16_e32 v14, 3, v13
	v_subrev_u32_e32 v17, 28, v16
	v_and_b32_e32 v14, 15, v14
	v_lshlrev_b32_e32 v13, v17, v13
	v_sub_u32_e32 v16, 29, v16
	v_and_b32_e32 v13, 7, v13
	v_cmp_eq_u16_e32 vcc, 0, v14
	v_cndmask_b32_e32 v12, v12, v13, vcc
	v_cndmask_b32_e32 v13, v14, v16, vcc
	v_lshlrev_b32_e32 v14, 16, v19
	v_mov_b32_e32 v16, 0x3b800000
	v_lshlrev_b32_e32 v12, 20, v12
	v_and_b32_e32 v14, 0x80000000, v14
	v_lshl_add_u32 v13, v13, 23, v16
	v_or3_b32 v12, v14, v13, v12
.LBB1_2924:
	s_or_b64 exec, exec, s[6:7]
	v_lshrrev_b32_e32 v13, 8, v15
	s_movk_i32 s4, 0x7f
	v_cmp_gt_i16_sdwa s[6:7], v13, s4 src0_sel:BYTE_0 src1_sel:DWORD
	s_mov_b64 s[4:5], 0
                                        ; implicit-def: $sgpr10
	s_and_saveexec_b64 s[8:9], s[6:7]
	s_xor_b64 s[6:7], exec, s[8:9]
	s_cbranch_execz .LBB1_2925
; %bb.16767:
	s_getpc_b64 s[14:15]
.Lpost_getpc4287:
	s_add_u32 s14, s14, (.LBB1_7021-.Lpost_getpc4287)&4294967295
	s_addc_u32 s15, s15, (.LBB1_7021-.Lpost_getpc4287)>>32
	s_setpc_b64 s[14:15]
.LBB1_2925:
	s_or_saveexec_b64 s[6:7], s[6:7]
	v_mov_b32_e32 v14, s10
	s_xor_b64 exec, exec, s[6:7]
	s_cbranch_execz .LBB1_2926
; %bb.16769:
	s_getpc_b64 s[14:15]
.Lpost_getpc4288:
	s_add_u32 s14, s14, (.LBB1_7024-.Lpost_getpc4288)&4294967295
	s_addc_u32 s15, s15, (.LBB1_7024-.Lpost_getpc4288)>>32
	s_setpc_b64 s[14:15]
.LBB1_2926:
	s_or_b64 exec, exec, s[6:7]
	s_and_saveexec_b64 s[6:7], s[4:5]
	s_cbranch_execz .LBB1_2928
.LBB1_2927:
	v_bfe_u32 v14, v15, 8, 2
	v_ffbh_u32_e32 v17, v14
	v_min_u32_e32 v17, 32, v17
	v_lshrrev_b16_e32 v16, 2, v13
	v_subrev_u32_e32 v18, 29, v17
	v_and_b32_e32 v16, 31, v16
	v_lshlrev_b32_e32 v13, v18, v13
	v_sub_u32_e32 v17, 30, v17
	v_and_b32_e32 v13, 3, v13
	v_cmp_eq_u16_e32 vcc, 0, v16
	v_cndmask_b32_e32 v13, v14, v13, vcc
	v_cndmask_b32_e32 v14, v16, v17, vcc
	v_lshlrev_b32_e32 v16, 16, v15
	v_mov_b32_e32 v17, 0x37800000
	v_lshlrev_b32_e32 v13, 21, v13
	v_and_b32_e32 v16, 0x80000000, v16
	v_lshl_add_u32 v14, v14, 23, v17
	v_or3_b32 v14, v16, v14, v13
.LBB1_2928:
	s_or_b64 exec, exec, s[6:7]
	s_nop 0
	v_mfma_f32_16x16x4f32 a[0:3], v12, v14, a[0:3]
	s_movk_i32 s4, 0xff
	v_and_b32_sdwa v13, v19, s4 dst_sel:DWORD dst_unused:UNUSED_PAD src0_sel:WORD_1 src1_sel:DWORD
	s_movk_i32 s4, 0x7f
	v_cmp_lt_i16_e32 vcc, s4, v13
	s_mov_b64 s[4:5], 0
                                        ; implicit-def: $sgpr10
	s_and_saveexec_b64 s[6:7], vcc
	s_xor_b64 s[6:7], exec, s[6:7]
	s_cbranch_execz .LBB1_2929
; %bb.16771:
	s_getpc_b64 s[14:15]
.Lpost_getpc4289:
	s_add_u32 s14, s14, (.LBB1_7025-.Lpost_getpc4289)&4294967295
	s_addc_u32 s15, s15, (.LBB1_7025-.Lpost_getpc4289)>>32
	s_setpc_b64 s[14:15]
.LBB1_2929:
	s_or_saveexec_b64 s[6:7], s[6:7]
	v_mov_b32_e32 v12, s10
	s_xor_b64 exec, exec, s[6:7]
	s_cbranch_execz .LBB1_2930
; %bb.16773:
	s_getpc_b64 s[14:15]
.Lpost_getpc4290:
	s_add_u32 s14, s14, (.LBB1_7028-.Lpost_getpc4290)&4294967295
	s_addc_u32 s15, s15, (.LBB1_7028-.Lpost_getpc4290)>>32
	s_setpc_b64 s[14:15]
.LBB1_2930:
	s_or_b64 exec, exec, s[6:7]
	s_and_saveexec_b64 s[6:7], s[4:5]
	s_cbranch_execz .LBB1_2932
.LBB1_2931:
	v_bfe_u32 v12, v19, 16, 3
	v_ffbh_u32_e32 v16, v12
	v_min_u32_e32 v16, 32, v16
	v_lshrrev_b32_e32 v13, 19, v19
	v_subrev_u32_e32 v17, 28, v16
	v_and_b32_e32 v13, 15, v13
	v_lshlrev_b32_sdwa v17, v17, v19 dst_sel:DWORD dst_unused:UNUSED_PAD src0_sel:DWORD src1_sel:WORD_1
	v_bfe_u32 v14, v19, 19, 4
	v_sub_u32_e32 v16, 29, v16
	v_and_b32_e32 v17, 7, v17
	v_cmp_eq_u16_e32 vcc, 0, v13
	v_cndmask_b32_e32 v12, v12, v17, vcc
	v_cndmask_b32_e32 v13, v14, v16, vcc
	v_lshlrev_b32_e32 v14, 8, v19
	v_mov_b32_e32 v16, 0x3b800000
	v_lshlrev_b32_e32 v12, 20, v12
	v_and_b32_e32 v14, 0x80000000, v14
	v_lshl_add_u32 v13, v13, 23, v16
	v_or3_b32 v12, v14, v13, v12
.LBB1_2932:
	s_or_b64 exec, exec, s[6:7]
	s_movk_i32 s4, 0xff
	v_and_b32_sdwa v13, v15, s4 dst_sel:DWORD dst_unused:UNUSED_PAD src0_sel:WORD_1 src1_sel:DWORD
	s_movk_i32 s4, 0x7f
	v_cmp_lt_i16_e32 vcc, s4, v13
	s_mov_b64 s[4:5], 0
                                        ; implicit-def: $sgpr10
	s_and_saveexec_b64 s[6:7], vcc
	s_xor_b64 s[6:7], exec, s[6:7]
	s_cbranch_execz .LBB1_2933
; %bb.16775:
	s_getpc_b64 s[14:15]
.Lpost_getpc4291:
	s_add_u32 s14, s14, (.LBB1_7029-.Lpost_getpc4291)&4294967295
	s_addc_u32 s15, s15, (.LBB1_7029-.Lpost_getpc4291)>>32
	s_setpc_b64 s[14:15]
.LBB1_2933:
	s_or_saveexec_b64 s[6:7], s[6:7]
	v_mov_b32_e32 v14, s10
	s_xor_b64 exec, exec, s[6:7]
	s_cbranch_execz .LBB1_2934
; %bb.16777:
	s_getpc_b64 s[14:15]
.Lpost_getpc4292:
	s_add_u32 s14, s14, (.LBB1_7032-.Lpost_getpc4292)&4294967295
	s_addc_u32 s15, s15, (.LBB1_7032-.Lpost_getpc4292)>>32
	s_setpc_b64 s[14:15]
.LBB1_2934:
	s_or_b64 exec, exec, s[6:7]
	s_and_saveexec_b64 s[6:7], s[4:5]
	s_cbranch_execz .LBB1_2936
.LBB1_2935:
	v_bfe_u32 v13, v15, 16, 2
	v_ffbh_u32_e32 v17, v13
	v_min_u32_e32 v17, 32, v17
	v_lshrrev_b32_e32 v14, 18, v15
	v_subrev_u32_e32 v18, 29, v17
	v_and_b32_e32 v14, 31, v14
	v_lshlrev_b32_sdwa v18, v18, v15 dst_sel:DWORD dst_unused:UNUSED_PAD src0_sel:DWORD src1_sel:WORD_1
	v_bfe_u32 v16, v15, 18, 5
	v_sub_u32_e32 v17, 30, v17
	v_and_b32_e32 v18, 3, v18
	v_cmp_eq_u16_e32 vcc, 0, v14
	v_cndmask_b32_e32 v13, v13, v18, vcc
	v_cndmask_b32_e32 v14, v16, v17, vcc
	v_lshlrev_b32_e32 v16, 8, v15
	v_mov_b32_e32 v17, 0x37800000
	v_lshlrev_b32_e32 v13, 21, v13
	v_and_b32_e32 v16, 0x80000000, v16
	v_lshl_add_u32 v14, v14, 23, v17
	v_or3_b32 v14, v16, v14, v13
.LBB1_2936:
	s_or_b64 exec, exec, s[6:7]
	s_nop 0
	v_mfma_f32_16x16x4f32 a[0:3], v12, v14, a[0:3]
	s_movk_i32 s4, 0x7f
	v_cmp_gt_i16_sdwa s[6:7], v19, s4 src0_sel:BYTE_3 src1_sel:DWORD
	s_mov_b64 s[4:5], 0
                                        ; implicit-def: $sgpr10
	s_and_saveexec_b64 s[8:9], s[6:7]
	s_xor_b64 s[6:7], exec, s[8:9]
	s_cbranch_execz .LBB1_2937
; %bb.16779:
	s_getpc_b64 s[14:15]
.Lpost_getpc4293:
	s_add_u32 s14, s14, (.LBB1_7033-.Lpost_getpc4293)&4294967295
	s_addc_u32 s15, s15, (.LBB1_7033-.Lpost_getpc4293)>>32
	s_setpc_b64 s[14:15]
.LBB1_2937:
	s_or_saveexec_b64 s[6:7], s[6:7]
	v_mov_b32_e32 v12, s10
	s_xor_b64 exec, exec, s[6:7]
	s_cbranch_execz .LBB1_2938
; %bb.16781:
	s_getpc_b64 s[14:15]
.Lpost_getpc4294:
	s_add_u32 s14, s14, (.LBB1_7036-.Lpost_getpc4294)&4294967295
	s_addc_u32 s15, s15, (.LBB1_7036-.Lpost_getpc4294)>>32
	s_setpc_b64 s[14:15]
.LBB1_2938:
	s_or_b64 exec, exec, s[6:7]
	s_and_saveexec_b64 s[6:7], s[4:5]
	s_cbranch_execz .LBB1_2940
.LBB1_2939:
	v_bfe_u32 v12, v19, 24, 3
	v_ffbh_u32_e32 v17, v12
	v_min_u32_e32 v17, 32, v17
	v_lshrrev_b32_e32 v14, 27, v19
	v_subrev_u32_e32 v18, 28, v17
	v_and_b32_e32 v14, 15, v14
	v_lshlrev_b32_sdwa v18, v18, v19 dst_sel:DWORD dst_unused:UNUSED_PAD src0_sel:DWORD src1_sel:BYTE_3
	v_bfe_u32 v16, v19, 27, 4
	v_sub_u32_e32 v17, 29, v17
	v_and_b32_e32 v18, 7, v18
	v_cmp_eq_u16_e32 vcc, 0, v14
	v_cndmask_b32_e32 v12, v12, v18, vcc
	v_cndmask_b32_e32 v14, v16, v17, vcc
	v_mov_b32_e32 v16, 0x3b800000
	v_and_b32_e32 v13, 0x80000000, v19
	v_lshlrev_b32_e32 v12, 20, v12
	v_lshl_add_u32 v14, v14, 23, v16
	v_or3_b32 v12, v13, v14, v12
.LBB1_2940:
	s_or_b64 exec, exec, s[6:7]
	s_movk_i32 s4, 0x7f
	v_cmp_gt_i16_sdwa s[6:7], v15, s4 src0_sel:BYTE_3 src1_sel:DWORD
	s_mov_b64 s[4:5], 0
                                        ; implicit-def: $sgpr10
	s_and_saveexec_b64 s[8:9], s[6:7]
	s_xor_b64 s[6:7], exec, s[8:9]
	s_cbranch_execz .LBB1_2941
; %bb.16783:
	s_getpc_b64 s[14:15]
.Lpost_getpc4295:
	s_add_u32 s14, s14, (.LBB1_7037-.Lpost_getpc4295)&4294967295
	s_addc_u32 s15, s15, (.LBB1_7037-.Lpost_getpc4295)>>32
	s_setpc_b64 s[14:15]
.LBB1_2941:
	s_or_saveexec_b64 s[6:7], s[6:7]
	v_mov_b32_e32 v13, s10
	s_xor_b64 exec, exec, s[6:7]
	s_cbranch_execz .LBB1_2942
; %bb.16785:
	s_getpc_b64 s[14:15]
.Lpost_getpc4296:
	s_add_u32 s14, s14, (.LBB1_7040-.Lpost_getpc4296)&4294967295
	s_addc_u32 s15, s15, (.LBB1_7040-.Lpost_getpc4296)>>32
	s_setpc_b64 s[14:15]
.LBB1_2942:
	s_or_b64 exec, exec, s[6:7]
	s_and_saveexec_b64 s[6:7], s[4:5]
	s_cbranch_execz .LBB1_2944
.LBB1_2943:
	v_bfe_u32 v13, v15, 24, 2
	v_ffbh_u32_e32 v18, v13
	v_min_u32_e32 v18, 32, v18
	v_lshrrev_b32_e32 v16, 26, v15
	v_subrev_u32_e32 v19, 29, v18
	v_and_b32_e32 v14, 0x80000000, v15
	v_and_b32_e32 v16, 31, v16
	v_bfe_u32 v17, v15, 26, 5
	v_lshlrev_b32_sdwa v15, v19, v15 dst_sel:DWORD dst_unused:UNUSED_PAD src0_sel:DWORD src1_sel:BYTE_3
	v_sub_u32_e32 v18, 30, v18
	v_and_b32_e32 v15, 3, v15
	v_cmp_eq_u16_e32 vcc, 0, v16
	v_cndmask_b32_e32 v13, v13, v15, vcc
	v_cndmask_b32_e32 v15, v17, v18, vcc
	v_mov_b32_e32 v16, 0x37800000
	v_lshlrev_b32_e32 v13, 21, v13
	v_lshl_add_u32 v15, v15, 23, v16
	v_or3_b32 v13, v14, v15, v13
.LBB1_2944:
	s_or_b64 exec, exec, s[6:7]
	s_nop 0
	v_mfma_f32_16x16x4f32 a[0:3], v12, v13, a[0:3]
	v_mov_b32_e32 v16, 8
	s_movk_i32 s4, 0x7f
                                        ; implicit-def: $sgpr10
	s_nop 7
	s_nop 0
	flat_store_dwordx4 v[10:11], a[0:3] offset:352
	flat_load_dword v14, v[0:1] offset:544
	flat_load_dwordx2 v[12:13], v[6:7]
	s_waitcnt vmcnt(0) lgkmcnt(0)
	v_ashrrev_i32_e32 v15, 31, v14
	v_add_co_u32_e32 v12, vcc, v12, v14
	v_addc_co_u32_e32 v13, vcc, v13, v15, vcc
	flat_load_dwordx4 v[12:15], v[12:13] offset:1536
	s_waitcnt vmcnt(0) lgkmcnt(0)
	v_lshrrev_b32_sdwa v20, v16, v14 dst_sel:BYTE_1 dst_unused:UNUSED_PAD src0_sel:DWORD src1_sel:DWORD
	flat_store_dwordx4 v[8:9], v[12:15]
	flat_load_dwordx4 v[16:19], v[4:5]
	s_waitcnt vmcnt(0) lgkmcnt(0)
	v_cmp_gt_i16_sdwa s[6:7], v16, s4 src0_sel:BYTE_0 src1_sel:DWORD
	s_mov_b64 s[4:5], 0
	s_and_saveexec_b64 s[8:9], s[6:7]
	s_xor_b64 s[6:7], exec, s[8:9]
	s_cbranch_execz .LBB1_2945
; %bb.16787:
	s_getpc_b64 s[14:15]
.Lpost_getpc4297:
	s_add_u32 s14, s14, (.LBB1_7041-.Lpost_getpc4297)&4294967295
	s_addc_u32 s15, s15, (.LBB1_7041-.Lpost_getpc4297)>>32
	s_setpc_b64 s[14:15]
.LBB1_2945:
	s_or_saveexec_b64 s[6:7], s[6:7]
	v_mov_b32_e32 v21, s10
	s_xor_b64 exec, exec, s[6:7]
	s_cbranch_execz .LBB1_2946
; %bb.16789:
	s_getpc_b64 s[14:15]
.Lpost_getpc4298:
	s_add_u32 s14, s14, (.LBB1_7044-.Lpost_getpc4298)&4294967295
	s_addc_u32 s15, s15, (.LBB1_7044-.Lpost_getpc4298)>>32
	s_setpc_b64 s[14:15]
.LBB1_2946:
	s_or_b64 exec, exec, s[6:7]
	s_and_saveexec_b64 s[6:7], s[4:5]
	s_cbranch_execz .LBB1_2948
.LBB1_2947:
	v_and_b32_e32 v21, 7, v16
	v_ffbh_u32_e32 v23, v21
	v_min_u32_e32 v23, 32, v23
	v_lshrrev_b16_e32 v22, 3, v16
	v_subrev_u32_e32 v24, 28, v23
	v_and_b32_e32 v22, 15, v22
	v_lshlrev_b32_e32 v24, v24, v16
	v_sub_u32_e32 v23, 29, v23
	v_and_b32_e32 v24, 7, v24
	v_cmp_eq_u16_e32 vcc, 0, v22
	v_cndmask_b32_e32 v21, v21, v24, vcc
	v_cndmask_b32_e32 v22, v22, v23, vcc
	v_lshlrev_b32_e32 v23, 24, v16
	v_mov_b32_e32 v24, 0x3b800000
	v_lshlrev_b32_e32 v21, 20, v21
	v_and_b32_e32 v23, 0x80000000, v23
	v_lshl_add_u32 v22, v22, 23, v24
	v_or3_b32 v21, v23, v22, v21
.LBB1_2948:
	s_or_b64 exec, exec, s[6:7]
	s_movk_i32 s4, 0x7f
	v_cmp_gt_i16_sdwa s[6:7], v12, s4 src0_sel:BYTE_0 src1_sel:DWORD
	s_mov_b64 s[4:5], 0
                                        ; implicit-def: $sgpr10
	s_and_saveexec_b64 s[8:9], s[6:7]
	s_xor_b64 s[6:7], exec, s[8:9]
	s_cbranch_execz .LBB1_2949
; %bb.16791:
	s_getpc_b64 s[14:15]
.Lpost_getpc4299:
	s_add_u32 s14, s14, (.LBB1_7045-.Lpost_getpc4299)&4294967295
	s_addc_u32 s15, s15, (.LBB1_7045-.Lpost_getpc4299)>>32
	s_setpc_b64 s[14:15]
.LBB1_2949:
	s_or_saveexec_b64 s[6:7], s[6:7]
	v_mov_b32_e32 v22, s10
	s_xor_b64 exec, exec, s[6:7]
	s_cbranch_execz .LBB1_2950
; %bb.16793:
	s_getpc_b64 s[14:15]
.Lpost_getpc4300:
	s_add_u32 s14, s14, (.LBB1_7048-.Lpost_getpc4300)&4294967295
	s_addc_u32 s15, s15, (.LBB1_7048-.Lpost_getpc4300)>>32
	s_setpc_b64 s[14:15]
.LBB1_2950:
	s_or_b64 exec, exec, s[6:7]
	s_and_saveexec_b64 s[6:7], s[4:5]
	s_cbranch_execz .LBB1_2952
.LBB1_2951:
	v_and_b32_e32 v22, 3, v12
	v_ffbh_u32_e32 v24, v22
	v_min_u32_e32 v24, 32, v24
	v_lshrrev_b16_e32 v23, 2, v12
	v_subrev_u32_e32 v25, 29, v24
	v_and_b32_e32 v23, 31, v23
	v_lshlrev_b32_e32 v25, v25, v12
	v_sub_u32_e32 v24, 30, v24
	v_and_b32_e32 v25, 3, v25
	v_cmp_eq_u16_e32 vcc, 0, v23
	v_cndmask_b32_e32 v22, v22, v25, vcc
	v_cndmask_b32_e32 v23, v23, v24, vcc
	v_lshlrev_b32_e32 v24, 24, v12
	v_mov_b32_e32 v25, 0x37800000
	v_lshlrev_b32_e32 v22, 21, v22
	v_and_b32_e32 v24, 0x80000000, v24
	v_lshl_add_u32 v23, v23, 23, v25
	v_or3_b32 v22, v24, v23, v22
.LBB1_2952:
	s_or_b64 exec, exec, s[6:7]
	flat_load_dwordx4 a[0:3], v[10:11] offset:368
	s_movk_i32 s4, 0x7f
                                        ; implicit-def: $sgpr10
	s_waitcnt vmcnt(0) lgkmcnt(0)
	v_mfma_f32_16x16x4f32 a[0:3], v21, v22, a[0:3]
	v_lshrrev_b32_e32 v22, 8, v16
	v_cmp_gt_i16_sdwa s[6:7], v22, s4 src0_sel:BYTE_0 src1_sel:DWORD
	s_mov_b64 s[4:5], 0
	s_and_saveexec_b64 s[8:9], s[6:7]
	s_xor_b64 s[6:7], exec, s[8:9]
	s_cbranch_execz .LBB1_2953
; %bb.16795:
	s_getpc_b64 s[14:15]
.Lpost_getpc4301:
	s_add_u32 s14, s14, (.LBB1_7049-.Lpost_getpc4301)&4294967295
	s_addc_u32 s15, s15, (.LBB1_7049-.Lpost_getpc4301)>>32
	s_setpc_b64 s[14:15]
.LBB1_2953:
	s_or_saveexec_b64 s[6:7], s[6:7]
	v_mov_b32_e32 v21, s10
	s_xor_b64 exec, exec, s[6:7]
	s_cbranch_execz .LBB1_2954
; %bb.16797:
	s_getpc_b64 s[14:15]
.Lpost_getpc4302:
	s_add_u32 s14, s14, (.LBB1_7052-.Lpost_getpc4302)&4294967295
	s_addc_u32 s15, s15, (.LBB1_7052-.Lpost_getpc4302)>>32
	s_setpc_b64 s[14:15]
.LBB1_2954:
	s_or_b64 exec, exec, s[6:7]
	s_and_saveexec_b64 s[6:7], s[4:5]
	s_cbranch_execz .LBB1_2956
.LBB1_2955:
	v_bfe_u32 v21, v16, 8, 3
	v_ffbh_u32_e32 v24, v21
	v_min_u32_e32 v24, 32, v24
	v_lshrrev_b16_e32 v23, 3, v22
	v_subrev_u32_e32 v25, 28, v24
	v_and_b32_e32 v23, 15, v23
	v_lshlrev_b32_e32 v22, v25, v22
	v_sub_u32_e32 v24, 29, v24
	v_and_b32_e32 v22, 7, v22
	v_cmp_eq_u16_e32 vcc, 0, v23
	v_cndmask_b32_e32 v21, v21, v22, vcc
	v_cndmask_b32_e32 v22, v23, v24, vcc
	v_lshlrev_b32_e32 v23, 16, v16
	v_mov_b32_e32 v24, 0x3b800000
	v_lshlrev_b32_e32 v21, 20, v21
	v_and_b32_e32 v23, 0x80000000, v23
	v_lshl_add_u32 v22, v22, 23, v24
	v_or3_b32 v21, v23, v22, v21
.LBB1_2956:
	s_or_b64 exec, exec, s[6:7]
	v_lshrrev_b32_e32 v22, 8, v12
	s_movk_i32 s4, 0x7f
	v_cmp_gt_i16_sdwa s[6:7], v22, s4 src0_sel:BYTE_0 src1_sel:DWORD
	s_mov_b64 s[4:5], 0
                                        ; implicit-def: $sgpr10
	s_and_saveexec_b64 s[8:9], s[6:7]
	s_xor_b64 s[6:7], exec, s[8:9]
	s_cbranch_execz .LBB1_2957
; %bb.16799:
	s_getpc_b64 s[14:15]
.Lpost_getpc4303:
	s_add_u32 s14, s14, (.LBB1_7053-.Lpost_getpc4303)&4294967295
	s_addc_u32 s15, s15, (.LBB1_7053-.Lpost_getpc4303)>>32
	s_setpc_b64 s[14:15]
.LBB1_2957:
	s_or_saveexec_b64 s[6:7], s[6:7]
	v_mov_b32_e32 v23, s10
	s_xor_b64 exec, exec, s[6:7]
	s_cbranch_execz .LBB1_2958
; %bb.16801:
	s_getpc_b64 s[14:15]
.Lpost_getpc4304:
	s_add_u32 s14, s14, (.LBB1_7056-.Lpost_getpc4304)&4294967295
	s_addc_u32 s15, s15, (.LBB1_7056-.Lpost_getpc4304)>>32
	s_setpc_b64 s[14:15]
.LBB1_2958:
	s_or_b64 exec, exec, s[6:7]
	s_and_saveexec_b64 s[6:7], s[4:5]
	s_cbranch_execz .LBB1_2960
.LBB1_2959:
	v_bfe_u32 v23, v12, 8, 2
	v_ffbh_u32_e32 v25, v23
	v_min_u32_e32 v25, 32, v25
	v_lshrrev_b16_e32 v24, 2, v22
	v_subrev_u32_e32 v26, 29, v25
	v_and_b32_e32 v24, 31, v24
	v_lshlrev_b32_e32 v22, v26, v22
	v_sub_u32_e32 v25, 30, v25
	v_and_b32_e32 v22, 3, v22
	v_cmp_eq_u16_e32 vcc, 0, v24
	v_cndmask_b32_e32 v22, v23, v22, vcc
	v_cndmask_b32_e32 v23, v24, v25, vcc
	v_lshlrev_b32_e32 v24, 16, v12
	v_mov_b32_e32 v25, 0x37800000
	v_lshlrev_b32_e32 v22, 21, v22
	v_and_b32_e32 v24, 0x80000000, v24
	v_lshl_add_u32 v23, v23, 23, v25
	v_or3_b32 v23, v24, v23, v22
.LBB1_2960:
	s_or_b64 exec, exec, s[6:7]
	s_nop 0
	v_mfma_f32_16x16x4f32 a[0:3], v21, v23, a[0:3]
	s_movk_i32 s4, 0xff
	v_and_b32_sdwa v22, v16, s4 dst_sel:DWORD dst_unused:UNUSED_PAD src0_sel:WORD_1 src1_sel:DWORD
	s_movk_i32 s4, 0x7f
	v_cmp_lt_i16_e32 vcc, s4, v22
	s_mov_b64 s[4:5], 0
                                        ; implicit-def: $sgpr10
	s_and_saveexec_b64 s[6:7], vcc
	s_xor_b64 s[6:7], exec, s[6:7]
	s_cbranch_execz .LBB1_2961
; %bb.16803:
	s_getpc_b64 s[14:15]
.Lpost_getpc4305:
	s_add_u32 s14, s14, (.LBB1_7057-.Lpost_getpc4305)&4294967295
	s_addc_u32 s15, s15, (.LBB1_7057-.Lpost_getpc4305)>>32
	s_setpc_b64 s[14:15]
.LBB1_2961:
	s_or_saveexec_b64 s[6:7], s[6:7]
	v_mov_b32_e32 v21, s10
	s_xor_b64 exec, exec, s[6:7]
	s_cbranch_execz .LBB1_2962
; %bb.16805:
	s_getpc_b64 s[14:15]
.Lpost_getpc4306:
	s_add_u32 s14, s14, (.LBB1_7060-.Lpost_getpc4306)&4294967295
	s_addc_u32 s15, s15, (.LBB1_7060-.Lpost_getpc4306)>>32
	s_setpc_b64 s[14:15]
.LBB1_2962:
	s_or_b64 exec, exec, s[6:7]
	s_and_saveexec_b64 s[6:7], s[4:5]
	s_cbranch_execz .LBB1_2964
.LBB1_2963:
	v_bfe_u32 v21, v16, 16, 3
	v_ffbh_u32_e32 v24, v21
	v_min_u32_e32 v24, 32, v24
	v_lshrrev_b32_e32 v22, 19, v16
	v_subrev_u32_e32 v25, 28, v24
	v_and_b32_e32 v22, 15, v22
	v_lshlrev_b32_sdwa v25, v25, v16 dst_sel:DWORD dst_unused:UNUSED_PAD src0_sel:DWORD src1_sel:WORD_1
	v_bfe_u32 v23, v16, 19, 4
	v_sub_u32_e32 v24, 29, v24
	v_and_b32_e32 v25, 7, v25
	v_cmp_eq_u16_e32 vcc, 0, v22
	v_cndmask_b32_e32 v21, v21, v25, vcc
	v_cndmask_b32_e32 v22, v23, v24, vcc
	v_lshlrev_b32_e32 v23, 8, v16
	v_mov_b32_e32 v24, 0x3b800000
	v_lshlrev_b32_e32 v21, 20, v21
	v_and_b32_e32 v23, 0x80000000, v23
	v_lshl_add_u32 v22, v22, 23, v24
	v_or3_b32 v21, v23, v22, v21
.LBB1_2964:
	s_or_b64 exec, exec, s[6:7]
	s_movk_i32 s4, 0xff
	v_and_b32_sdwa v22, v12, s4 dst_sel:DWORD dst_unused:UNUSED_PAD src0_sel:WORD_1 src1_sel:DWORD
	s_movk_i32 s4, 0x7f
	v_cmp_lt_i16_e32 vcc, s4, v22
	s_mov_b64 s[4:5], 0
                                        ; implicit-def: $sgpr10
	s_and_saveexec_b64 s[6:7], vcc
	s_xor_b64 s[6:7], exec, s[6:7]
	s_cbranch_execz .LBB1_2965
; %bb.16807:
	s_getpc_b64 s[14:15]
.Lpost_getpc4307:
	s_add_u32 s14, s14, (.LBB1_7061-.Lpost_getpc4307)&4294967295
	s_addc_u32 s15, s15, (.LBB1_7061-.Lpost_getpc4307)>>32
	s_setpc_b64 s[14:15]
.LBB1_2965:
	s_or_saveexec_b64 s[6:7], s[6:7]
	v_mov_b32_e32 v23, s10
	s_xor_b64 exec, exec, s[6:7]
	s_cbranch_execz .LBB1_2966
; %bb.16809:
	s_getpc_b64 s[14:15]
.Lpost_getpc4308:
	s_add_u32 s14, s14, (.LBB1_7064-.Lpost_getpc4308)&4294967295
	s_addc_u32 s15, s15, (.LBB1_7064-.Lpost_getpc4308)>>32
	s_setpc_b64 s[14:15]
.LBB1_2966:
	s_or_b64 exec, exec, s[6:7]
	s_and_saveexec_b64 s[6:7], s[4:5]
	s_cbranch_execz .LBB1_2968
.LBB1_2967:
	v_bfe_u32 v22, v12, 16, 2
	v_ffbh_u32_e32 v25, v22
	v_min_u32_e32 v25, 32, v25
	v_lshrrev_b32_e32 v23, 18, v12
	v_subrev_u32_e32 v26, 29, v25
	v_and_b32_e32 v23, 31, v23
	v_lshlrev_b32_sdwa v26, v26, v12 dst_sel:DWORD dst_unused:UNUSED_PAD src0_sel:DWORD src1_sel:WORD_1
	v_bfe_u32 v24, v12, 18, 5
	v_sub_u32_e32 v25, 30, v25
	v_and_b32_e32 v26, 3, v26
	v_cmp_eq_u16_e32 vcc, 0, v23
	v_cndmask_b32_e32 v22, v22, v26, vcc
	v_cndmask_b32_e32 v23, v24, v25, vcc
	v_lshlrev_b32_e32 v24, 8, v12
	v_mov_b32_e32 v25, 0x37800000
	v_lshlrev_b32_e32 v22, 21, v22
	v_and_b32_e32 v24, 0x80000000, v24
	v_lshl_add_u32 v23, v23, 23, v25
	v_or3_b32 v23, v24, v23, v22
.LBB1_2968:
	s_or_b64 exec, exec, s[6:7]
	s_nop 0
	v_mfma_f32_16x16x4f32 a[0:3], v21, v23, a[0:3]
	s_movk_i32 s4, 0x7f
	v_cmp_gt_i16_sdwa s[6:7], v16, s4 src0_sel:BYTE_3 src1_sel:DWORD
	s_mov_b64 s[4:5], 0
                                        ; implicit-def: $sgpr10
	s_and_saveexec_b64 s[8:9], s[6:7]
	s_xor_b64 s[6:7], exec, s[8:9]
	s_cbranch_execz .LBB1_2969
; %bb.16811:
	s_getpc_b64 s[14:15]
.Lpost_getpc4309:
	s_add_u32 s14, s14, (.LBB1_7065-.Lpost_getpc4309)&4294967295
	s_addc_u32 s15, s15, (.LBB1_7065-.Lpost_getpc4309)>>32
	s_setpc_b64 s[14:15]
.LBB1_2969:
	s_or_saveexec_b64 s[6:7], s[6:7]
	v_mov_b32_e32 v21, s10
	s_xor_b64 exec, exec, s[6:7]
	s_cbranch_execz .LBB1_2970
; %bb.16813:
	s_getpc_b64 s[14:15]
.Lpost_getpc4310:
	s_add_u32 s14, s14, (.LBB1_7068-.Lpost_getpc4310)&4294967295
	s_addc_u32 s15, s15, (.LBB1_7068-.Lpost_getpc4310)>>32
	s_setpc_b64 s[14:15]
.LBB1_2970:
	s_or_b64 exec, exec, s[6:7]
	s_and_saveexec_b64 s[6:7], s[4:5]
	s_cbranch_execz .LBB1_2972
.LBB1_2971:
	v_bfe_u32 v21, v16, 24, 3
	v_ffbh_u32_e32 v25, v21
	v_min_u32_e32 v25, 32, v25
	v_lshrrev_b32_e32 v23, 27, v16
	v_subrev_u32_e32 v26, 28, v25
	v_and_b32_e32 v22, 0x80000000, v16
	v_and_b32_e32 v23, 15, v23
	v_bfe_u32 v24, v16, 27, 4
	v_lshlrev_b32_sdwa v16, v26, v16 dst_sel:DWORD dst_unused:UNUSED_PAD src0_sel:DWORD src1_sel:BYTE_3
	v_sub_u32_e32 v25, 29, v25
	v_and_b32_e32 v16, 7, v16
	v_cmp_eq_u16_e32 vcc, 0, v23
	v_cndmask_b32_e32 v16, v21, v16, vcc
	v_cndmask_b32_e32 v21, v24, v25, vcc
	v_mov_b32_e32 v23, 0x3b800000
	v_lshlrev_b32_e32 v16, 20, v16
	v_lshl_add_u32 v21, v21, 23, v23
	v_or3_b32 v21, v22, v21, v16
.LBB1_2972:
	s_or_b64 exec, exec, s[6:7]
	s_movk_i32 s4, 0x7f
	v_cmp_gt_i16_sdwa s[6:7], v12, s4 src0_sel:BYTE_3 src1_sel:DWORD
	s_mov_b64 s[4:5], 0
                                        ; implicit-def: $sgpr10
	s_and_saveexec_b64 s[8:9], s[6:7]
	s_xor_b64 s[6:7], exec, s[8:9]
	s_cbranch_execz .LBB1_2973
; %bb.16815:
	s_getpc_b64 s[14:15]
.Lpost_getpc4311:
	s_add_u32 s14, s14, (.LBB1_7069-.Lpost_getpc4311)&4294967295
	s_addc_u32 s15, s15, (.LBB1_7069-.Lpost_getpc4311)>>32
	s_setpc_b64 s[14:15]
.LBB1_2973:
	s_or_saveexec_b64 s[6:7], s[6:7]
	v_mov_b32_e32 v16, s10
	s_xor_b64 exec, exec, s[6:7]
	s_cbranch_execz .LBB1_2974
; %bb.16817:
	s_getpc_b64 s[14:15]
.Lpost_getpc4312:
	s_add_u32 s14, s14, (.LBB1_7072-.Lpost_getpc4312)&4294967295
	s_addc_u32 s15, s15, (.LBB1_7072-.Lpost_getpc4312)>>32
	s_setpc_b64 s[14:15]
.LBB1_2974:
	s_or_b64 exec, exec, s[6:7]
	s_and_saveexec_b64 s[6:7], s[4:5]
	s_cbranch_execz .LBB1_2976
.LBB1_2975:
	v_bfe_u32 v16, v12, 24, 2
	v_ffbh_u32_e32 v25, v16
	v_min_u32_e32 v25, 32, v25
	v_lshrrev_b32_e32 v23, 26, v12
	v_subrev_u32_e32 v26, 29, v25
	v_and_b32_e32 v22, 0x80000000, v12
	v_and_b32_e32 v23, 31, v23
	v_bfe_u32 v24, v12, 26, 5
	v_lshlrev_b32_sdwa v12, v26, v12 dst_sel:DWORD dst_unused:UNUSED_PAD src0_sel:DWORD src1_sel:BYTE_3
	v_sub_u32_e32 v25, 30, v25
	v_and_b32_e32 v12, 3, v12
	v_cmp_eq_u16_e32 vcc, 0, v23
	v_cndmask_b32_e32 v12, v16, v12, vcc
	v_cndmask_b32_e32 v16, v24, v25, vcc
	v_mov_b32_e32 v23, 0x37800000
	v_lshlrev_b32_e32 v12, 21, v12
	v_lshl_add_u32 v16, v16, 23, v23
	v_or3_b32 v16, v22, v16, v12
.LBB1_2976:
	s_or_b64 exec, exec, s[6:7]
	s_nop 0
	v_mfma_f32_16x16x4f32 a[0:3], v21, v16, a[0:3]
	s_movk_i32 s4, 0x7f
	v_cmp_gt_i16_sdwa s[6:7], v17, s4 src0_sel:BYTE_0 src1_sel:DWORD
	s_mov_b64 s[4:5], 0
                                        ; implicit-def: $sgpr10
	s_and_saveexec_b64 s[8:9], s[6:7]
	s_xor_b64 s[6:7], exec, s[8:9]
	s_cbranch_execz .LBB1_2977
; %bb.16819:
	s_getpc_b64 s[14:15]
.Lpost_getpc4313:
	s_add_u32 s14, s14, (.LBB1_7073-.Lpost_getpc4313)&4294967295
	s_addc_u32 s15, s15, (.LBB1_7073-.Lpost_getpc4313)>>32
	s_setpc_b64 s[14:15]
.LBB1_2977:
	s_or_saveexec_b64 s[6:7], s[6:7]
	v_mov_b32_e32 v12, s10
	s_xor_b64 exec, exec, s[6:7]
	s_cbranch_execz .LBB1_2978
; %bb.16821:
	s_getpc_b64 s[14:15]
.Lpost_getpc4314:
	s_add_u32 s14, s14, (.LBB1_7076-.Lpost_getpc4314)&4294967295
	s_addc_u32 s15, s15, (.LBB1_7076-.Lpost_getpc4314)>>32
	s_setpc_b64 s[14:15]
.LBB1_2978:
	s_or_b64 exec, exec, s[6:7]
	s_and_saveexec_b64 s[6:7], s[4:5]
	s_cbranch_execz .LBB1_2980
.LBB1_2979:
	v_and_b32_e32 v12, 7, v17
	v_ffbh_u32_e32 v21, v12
	v_min_u32_e32 v21, 32, v21
	v_lshrrev_b16_e32 v16, 3, v17
	v_subrev_u32_e32 v22, 28, v21
	v_and_b32_e32 v16, 15, v16
	v_lshlrev_b32_e32 v22, v22, v17
	v_sub_u32_e32 v21, 29, v21
	v_and_b32_e32 v22, 7, v22
	v_cmp_eq_u16_e32 vcc, 0, v16
	v_cndmask_b32_e32 v12, v12, v22, vcc
	v_cndmask_b32_e32 v16, v16, v21, vcc
	v_lshlrev_b32_e32 v21, 24, v17
	v_mov_b32_e32 v22, 0x3b800000
	v_lshlrev_b32_e32 v12, 20, v12
	v_and_b32_e32 v21, 0x80000000, v21
	v_lshl_add_u32 v16, v16, 23, v22
	v_or3_b32 v12, v21, v16, v12
.LBB1_2980:
	s_or_b64 exec, exec, s[6:7]
	s_movk_i32 s4, 0x7f
	v_cmp_gt_i16_sdwa s[6:7], v13, s4 src0_sel:BYTE_0 src1_sel:DWORD
	s_mov_b64 s[4:5], 0
                                        ; implicit-def: $sgpr10
	s_and_saveexec_b64 s[8:9], s[6:7]
	s_xor_b64 s[6:7], exec, s[8:9]
	s_cbranch_execz .LBB1_2981
; %bb.16823:
	s_getpc_b64 s[14:15]
.Lpost_getpc4315:
	s_add_u32 s14, s14, (.LBB1_7077-.Lpost_getpc4315)&4294967295
	s_addc_u32 s15, s15, (.LBB1_7077-.Lpost_getpc4315)>>32
	s_setpc_b64 s[14:15]
.LBB1_2981:
	s_or_saveexec_b64 s[6:7], s[6:7]
	v_mov_b32_e32 v16, s10
	s_xor_b64 exec, exec, s[6:7]
	s_cbranch_execz .LBB1_2982
; %bb.16825:
	s_getpc_b64 s[14:15]
.Lpost_getpc4316:
	s_add_u32 s14, s14, (.LBB1_7080-.Lpost_getpc4316)&4294967295
	s_addc_u32 s15, s15, (.LBB1_7080-.Lpost_getpc4316)>>32
	s_setpc_b64 s[14:15]
.LBB1_2982:
	s_or_b64 exec, exec, s[6:7]
	s_and_saveexec_b64 s[6:7], s[4:5]
	s_cbranch_execz .LBB1_2984
.LBB1_2983:
	v_and_b32_e32 v16, 3, v13
	v_ffbh_u32_e32 v22, v16
	v_min_u32_e32 v22, 32, v22
	v_lshrrev_b16_e32 v21, 2, v13
	v_subrev_u32_e32 v23, 29, v22
	v_and_b32_e32 v21, 31, v21
	v_lshlrev_b32_e32 v23, v23, v13
	v_sub_u32_e32 v22, 30, v22
	v_and_b32_e32 v23, 3, v23
	v_cmp_eq_u16_e32 vcc, 0, v21
	v_cndmask_b32_e32 v16, v16, v23, vcc
	v_cndmask_b32_e32 v21, v21, v22, vcc
	v_lshlrev_b32_e32 v22, 24, v13
	v_mov_b32_e32 v23, 0x37800000
	v_lshlrev_b32_e32 v16, 21, v16
	v_and_b32_e32 v22, 0x80000000, v22
	v_lshl_add_u32 v21, v21, 23, v23
	v_or3_b32 v16, v22, v21, v16
.LBB1_2984:
	s_or_b64 exec, exec, s[6:7]
	s_nop 0
	v_mfma_f32_16x16x4f32 a[0:3], v12, v16, a[0:3]
	v_lshrrev_b32_e32 v16, 8, v17
	s_movk_i32 s4, 0x7f
	v_cmp_gt_i16_sdwa s[6:7], v16, s4 src0_sel:BYTE_0 src1_sel:DWORD
	s_mov_b64 s[4:5], 0
                                        ; implicit-def: $sgpr10
	s_and_saveexec_b64 s[8:9], s[6:7]
	s_xor_b64 s[6:7], exec, s[8:9]
	s_cbranch_execz .LBB1_2985
; %bb.16827:
	s_getpc_b64 s[14:15]
.Lpost_getpc4317:
	s_add_u32 s14, s14, (.LBB1_7081-.Lpost_getpc4317)&4294967295
	s_addc_u32 s15, s15, (.LBB1_7081-.Lpost_getpc4317)>>32
	s_setpc_b64 s[14:15]
.LBB1_2985:
	s_or_saveexec_b64 s[6:7], s[6:7]
	v_mov_b32_e32 v12, s10
	s_xor_b64 exec, exec, s[6:7]
	s_cbranch_execz .LBB1_2986
; %bb.16829:
	s_getpc_b64 s[14:15]
.Lpost_getpc4318:
	s_add_u32 s14, s14, (.LBB1_7084-.Lpost_getpc4318)&4294967295
	s_addc_u32 s15, s15, (.LBB1_7084-.Lpost_getpc4318)>>32
	s_setpc_b64 s[14:15]
.LBB1_2986:
	s_or_b64 exec, exec, s[6:7]
	s_and_saveexec_b64 s[6:7], s[4:5]
	s_cbranch_execz .LBB1_2988
.LBB1_2987:
	v_bfe_u32 v12, v17, 8, 3
	v_ffbh_u32_e32 v22, v12
	v_min_u32_e32 v22, 32, v22
	v_lshrrev_b16_e32 v21, 3, v16
	v_subrev_u32_e32 v23, 28, v22
	v_and_b32_e32 v21, 15, v21
	v_lshlrev_b32_e32 v16, v23, v16
	v_sub_u32_e32 v22, 29, v22
	v_and_b32_e32 v16, 7, v16
	v_cmp_eq_u16_e32 vcc, 0, v21
	v_cndmask_b32_e32 v12, v12, v16, vcc
	v_cndmask_b32_e32 v16, v21, v22, vcc
	v_lshlrev_b32_e32 v21, 16, v17
	v_mov_b32_e32 v22, 0x3b800000
	v_lshlrev_b32_e32 v12, 20, v12
	v_and_b32_e32 v21, 0x80000000, v21
	v_lshl_add_u32 v16, v16, 23, v22
	v_or3_b32 v12, v21, v16, v12
.LBB1_2988:
	s_or_b64 exec, exec, s[6:7]
	v_lshrrev_b32_e32 v16, 8, v13
	s_movk_i32 s4, 0x7f
	v_cmp_gt_i16_sdwa s[6:7], v16, s4 src0_sel:BYTE_0 src1_sel:DWORD
	s_mov_b64 s[4:5], 0
                                        ; implicit-def: $sgpr10
	s_and_saveexec_b64 s[8:9], s[6:7]
	s_xor_b64 s[6:7], exec, s[8:9]
	s_cbranch_execz .LBB1_2989
; %bb.16831:
	s_getpc_b64 s[14:15]
.Lpost_getpc4319:
	s_add_u32 s14, s14, (.LBB1_7085-.Lpost_getpc4319)&4294967295
	s_addc_u32 s15, s15, (.LBB1_7085-.Lpost_getpc4319)>>32
	s_setpc_b64 s[14:15]
.LBB1_2989:
	s_or_saveexec_b64 s[6:7], s[6:7]
	v_mov_b32_e32 v21, s10
	s_xor_b64 exec, exec, s[6:7]
	s_cbranch_execz .LBB1_2990
; %bb.16833:
	s_getpc_b64 s[14:15]
.Lpost_getpc4320:
	s_add_u32 s14, s14, (.LBB1_7088-.Lpost_getpc4320)&4294967295
	s_addc_u32 s15, s15, (.LBB1_7088-.Lpost_getpc4320)>>32
	s_setpc_b64 s[14:15]
.LBB1_2990:
	s_or_b64 exec, exec, s[6:7]
	s_and_saveexec_b64 s[6:7], s[4:5]
	s_cbranch_execz .LBB1_2992
.LBB1_2991:
	v_bfe_u32 v21, v13, 8, 2
	v_ffbh_u32_e32 v23, v21
	v_min_u32_e32 v23, 32, v23
	v_lshrrev_b16_e32 v22, 2, v16
	v_subrev_u32_e32 v24, 29, v23
	v_and_b32_e32 v22, 31, v22
	v_lshlrev_b32_e32 v16, v24, v16
	v_sub_u32_e32 v23, 30, v23
	v_and_b32_e32 v16, 3, v16
	v_cmp_eq_u16_e32 vcc, 0, v22
	v_cndmask_b32_e32 v16, v21, v16, vcc
	v_cndmask_b32_e32 v21, v22, v23, vcc
	v_lshlrev_b32_e32 v22, 16, v13
	v_mov_b32_e32 v23, 0x37800000
	v_lshlrev_b32_e32 v16, 21, v16
	v_and_b32_e32 v22, 0x80000000, v22
	v_lshl_add_u32 v21, v21, 23, v23
	v_or3_b32 v21, v22, v21, v16
.LBB1_2992:
	s_or_b64 exec, exec, s[6:7]
	s_nop 0
	v_mfma_f32_16x16x4f32 a[0:3], v12, v21, a[0:3]
	s_movk_i32 s4, 0xff
	v_and_b32_sdwa v16, v17, s4 dst_sel:DWORD dst_unused:UNUSED_PAD src0_sel:WORD_1 src1_sel:DWORD
	s_movk_i32 s4, 0x7f
	v_cmp_lt_i16_e32 vcc, s4, v16
	s_mov_b64 s[4:5], 0
                                        ; implicit-def: $sgpr10
	s_and_saveexec_b64 s[6:7], vcc
	s_xor_b64 s[6:7], exec, s[6:7]
	s_cbranch_execz .LBB1_2993
; %bb.16835:
	s_getpc_b64 s[14:15]
.Lpost_getpc4321:
	s_add_u32 s14, s14, (.LBB1_7089-.Lpost_getpc4321)&4294967295
	s_addc_u32 s15, s15, (.LBB1_7089-.Lpost_getpc4321)>>32
	s_setpc_b64 s[14:15]
.LBB1_2993:
	s_or_saveexec_b64 s[6:7], s[6:7]
	v_mov_b32_e32 v12, s10
	s_xor_b64 exec, exec, s[6:7]
	s_cbranch_execz .LBB1_2994
; %bb.16837:
	s_getpc_b64 s[14:15]
.Lpost_getpc4322:
	s_add_u32 s14, s14, (.LBB1_7092-.Lpost_getpc4322)&4294967295
	s_addc_u32 s15, s15, (.LBB1_7092-.Lpost_getpc4322)>>32
	s_setpc_b64 s[14:15]
.LBB1_2994:
	s_or_b64 exec, exec, s[6:7]
	s_and_saveexec_b64 s[6:7], s[4:5]
	s_cbranch_execz .LBB1_2996
.LBB1_2995:
	v_bfe_u32 v12, v17, 16, 3
	v_ffbh_u32_e32 v22, v12
	v_min_u32_e32 v22, 32, v22
	v_lshrrev_b32_e32 v16, 19, v17
	v_subrev_u32_e32 v23, 28, v22
	v_and_b32_e32 v16, 15, v16
	v_lshlrev_b32_sdwa v23, v23, v17 dst_sel:DWORD dst_unused:UNUSED_PAD src0_sel:DWORD src1_sel:WORD_1
	v_bfe_u32 v21, v17, 19, 4
	v_sub_u32_e32 v22, 29, v22
	v_and_b32_e32 v23, 7, v23
	v_cmp_eq_u16_e32 vcc, 0, v16
	v_cndmask_b32_e32 v12, v12, v23, vcc
	v_cndmask_b32_e32 v16, v21, v22, vcc
	v_lshlrev_b32_e32 v21, 8, v17
	v_mov_b32_e32 v22, 0x3b800000
	v_lshlrev_b32_e32 v12, 20, v12
	v_and_b32_e32 v21, 0x80000000, v21
	v_lshl_add_u32 v16, v16, 23, v22
	v_or3_b32 v12, v21, v16, v12
.LBB1_2996:
	s_or_b64 exec, exec, s[6:7]
	s_movk_i32 s4, 0xff
	v_and_b32_sdwa v16, v13, s4 dst_sel:DWORD dst_unused:UNUSED_PAD src0_sel:WORD_1 src1_sel:DWORD
	s_movk_i32 s4, 0x7f
	v_cmp_lt_i16_e32 vcc, s4, v16
	s_mov_b64 s[4:5], 0
                                        ; implicit-def: $sgpr10
	s_and_saveexec_b64 s[6:7], vcc
	s_xor_b64 s[6:7], exec, s[6:7]
	s_cbranch_execz .LBB1_2997
; %bb.16839:
	s_getpc_b64 s[14:15]
.Lpost_getpc4323:
	s_add_u32 s14, s14, (.LBB1_7093-.Lpost_getpc4323)&4294967295
	s_addc_u32 s15, s15, (.LBB1_7093-.Lpost_getpc4323)>>32
	s_setpc_b64 s[14:15]
.LBB1_2997:
	s_or_saveexec_b64 s[6:7], s[6:7]
	v_mov_b32_e32 v21, s10
	s_xor_b64 exec, exec, s[6:7]
	s_cbranch_execz .LBB1_2998
; %bb.16841:
	s_getpc_b64 s[14:15]
.Lpost_getpc4324:
	s_add_u32 s14, s14, (.LBB1_7096-.Lpost_getpc4324)&4294967295
	s_addc_u32 s15, s15, (.LBB1_7096-.Lpost_getpc4324)>>32
	s_setpc_b64 s[14:15]
.LBB1_2998:
	s_or_b64 exec, exec, s[6:7]
	s_and_saveexec_b64 s[6:7], s[4:5]
	s_cbranch_execz .LBB1_3000
.LBB1_2999:
	v_bfe_u32 v16, v13, 16, 2
	v_ffbh_u32_e32 v23, v16
	v_min_u32_e32 v23, 32, v23
	v_lshrrev_b32_e32 v21, 18, v13
	v_subrev_u32_e32 v24, 29, v23
	v_and_b32_e32 v21, 31, v21
	v_lshlrev_b32_sdwa v24, v24, v13 dst_sel:DWORD dst_unused:UNUSED_PAD src0_sel:DWORD src1_sel:WORD_1
	v_bfe_u32 v22, v13, 18, 5
	v_sub_u32_e32 v23, 30, v23
	v_and_b32_e32 v24, 3, v24
	v_cmp_eq_u16_e32 vcc, 0, v21
	v_cndmask_b32_e32 v16, v16, v24, vcc
	v_cndmask_b32_e32 v21, v22, v23, vcc
	v_lshlrev_b32_e32 v22, 8, v13
	v_mov_b32_e32 v23, 0x37800000
	v_lshlrev_b32_e32 v16, 21, v16
	v_and_b32_e32 v22, 0x80000000, v22
	v_lshl_add_u32 v21, v21, 23, v23
	v_or3_b32 v21, v22, v21, v16
.LBB1_3000:
	s_or_b64 exec, exec, s[6:7]
	s_nop 0
	v_mfma_f32_16x16x4f32 a[0:3], v12, v21, a[0:3]
	s_movk_i32 s4, 0x7f
	v_cmp_gt_i16_sdwa s[6:7], v17, s4 src0_sel:BYTE_3 src1_sel:DWORD
	s_mov_b64 s[4:5], 0
                                        ; implicit-def: $sgpr10
	s_and_saveexec_b64 s[8:9], s[6:7]
	s_xor_b64 s[6:7], exec, s[8:9]
	s_cbranch_execz .LBB1_3001
; %bb.16843:
	s_getpc_b64 s[14:15]
.Lpost_getpc4325:
	s_add_u32 s14, s14, (.LBB1_7097-.Lpost_getpc4325)&4294967295
	s_addc_u32 s15, s15, (.LBB1_7097-.Lpost_getpc4325)>>32
	s_setpc_b64 s[14:15]
.LBB1_3001:
	s_or_saveexec_b64 s[6:7], s[6:7]
	v_mov_b32_e32 v12, s10
	s_xor_b64 exec, exec, s[6:7]
	s_cbranch_execz .LBB1_3002
; %bb.16845:
	s_getpc_b64 s[14:15]
.Lpost_getpc4326:
	s_add_u32 s14, s14, (.LBB1_7100-.Lpost_getpc4326)&4294967295
	s_addc_u32 s15, s15, (.LBB1_7100-.Lpost_getpc4326)>>32
	s_setpc_b64 s[14:15]
.LBB1_3002:
	s_or_b64 exec, exec, s[6:7]
	s_and_saveexec_b64 s[6:7], s[4:5]
	s_cbranch_execz .LBB1_3004
.LBB1_3003:
	v_bfe_u32 v12, v17, 24, 3
	v_ffbh_u32_e32 v23, v12
	v_min_u32_e32 v23, 32, v23
	v_lshrrev_b32_e32 v21, 27, v17
	v_subrev_u32_e32 v24, 28, v23
	v_and_b32_e32 v16, 0x80000000, v17
	v_and_b32_e32 v21, 15, v21
	v_bfe_u32 v22, v17, 27, 4
	v_lshlrev_b32_sdwa v17, v24, v17 dst_sel:DWORD dst_unused:UNUSED_PAD src0_sel:DWORD src1_sel:BYTE_3
	v_sub_u32_e32 v23, 29, v23
	v_and_b32_e32 v17, 7, v17
	v_cmp_eq_u16_e32 vcc, 0, v21
	v_cndmask_b32_e32 v12, v12, v17, vcc
	v_cndmask_b32_e32 v17, v22, v23, vcc
	v_mov_b32_e32 v21, 0x3b800000
	v_lshlrev_b32_e32 v12, 20, v12
	v_lshl_add_u32 v17, v17, 23, v21
	v_or3_b32 v12, v16, v17, v12
.LBB1_3004:
	s_or_b64 exec, exec, s[6:7]
	s_movk_i32 s4, 0x7f
	v_cmp_gt_i16_sdwa s[6:7], v13, s4 src0_sel:BYTE_3 src1_sel:DWORD
	s_mov_b64 s[4:5], 0
                                        ; implicit-def: $sgpr10
	s_and_saveexec_b64 s[8:9], s[6:7]
	s_xor_b64 s[6:7], exec, s[8:9]
	s_cbranch_execz .LBB1_3005
; %bb.16847:
	s_getpc_b64 s[14:15]
.Lpost_getpc4327:
	s_add_u32 s14, s14, (.LBB1_7101-.Lpost_getpc4327)&4294967295
	s_addc_u32 s15, s15, (.LBB1_7101-.Lpost_getpc4327)>>32
	s_setpc_b64 s[14:15]
.LBB1_3005:
	s_or_saveexec_b64 s[6:7], s[6:7]
	v_mov_b32_e32 v16, s10
	s_xor_b64 exec, exec, s[6:7]
	s_cbranch_execz .LBB1_3006
; %bb.16849:
	s_getpc_b64 s[14:15]
.Lpost_getpc4328:
	s_add_u32 s14, s14, (.LBB1_7104-.Lpost_getpc4328)&4294967295
	s_addc_u32 s15, s15, (.LBB1_7104-.Lpost_getpc4328)>>32
	s_setpc_b64 s[14:15]
.LBB1_3006:
	s_or_b64 exec, exec, s[6:7]
	s_and_saveexec_b64 s[6:7], s[4:5]
	s_cbranch_execz .LBB1_3008
.LBB1_3007:
	v_bfe_u32 v16, v13, 24, 2
	v_ffbh_u32_e32 v23, v16
	v_min_u32_e32 v23, 32, v23
	v_lshrrev_b32_e32 v21, 26, v13
	v_subrev_u32_e32 v24, 29, v23
	v_and_b32_e32 v17, 0x80000000, v13
	v_and_b32_e32 v21, 31, v21
	v_bfe_u32 v22, v13, 26, 5
	v_lshlrev_b32_sdwa v13, v24, v13 dst_sel:DWORD dst_unused:UNUSED_PAD src0_sel:DWORD src1_sel:BYTE_3
	v_sub_u32_e32 v23, 30, v23
	v_and_b32_e32 v13, 3, v13
	v_cmp_eq_u16_e32 vcc, 0, v21
	v_cndmask_b32_e32 v13, v16, v13, vcc
	v_cndmask_b32_e32 v16, v22, v23, vcc
	v_mov_b32_e32 v21, 0x37800000
	v_lshlrev_b32_e32 v13, 21, v13
	v_lshl_add_u32 v16, v16, 23, v21
	v_or3_b32 v16, v17, v16, v13
.LBB1_3008:
	s_or_b64 exec, exec, s[6:7]
	s_nop 0
	v_mfma_f32_16x16x4f32 a[0:3], v12, v16, a[0:3]
	s_movk_i32 s4, 0x7f
	v_cmp_gt_i16_sdwa s[6:7], v18, s4 src0_sel:BYTE_0 src1_sel:DWORD
	s_mov_b64 s[4:5], 0
                                        ; implicit-def: $sgpr10
	s_and_saveexec_b64 s[8:9], s[6:7]
	s_xor_b64 s[6:7], exec, s[8:9]
	s_cbranch_execz .LBB1_3009
; %bb.16851:
	s_getpc_b64 s[14:15]
.Lpost_getpc4329:
	s_add_u32 s14, s14, (.LBB1_7105-.Lpost_getpc4329)&4294967295
	s_addc_u32 s15, s15, (.LBB1_7105-.Lpost_getpc4329)>>32
	s_setpc_b64 s[14:15]
.LBB1_3009:
	s_or_saveexec_b64 s[6:7], s[6:7]
	v_mov_b32_e32 v13, s10
	s_xor_b64 exec, exec, s[6:7]
	s_cbranch_execz .LBB1_3010
; %bb.16853:
	s_getpc_b64 s[14:15]
.Lpost_getpc4330:
	s_add_u32 s14, s14, (.LBB1_7108-.Lpost_getpc4330)&4294967295
	s_addc_u32 s15, s15, (.LBB1_7108-.Lpost_getpc4330)>>32
	s_setpc_b64 s[14:15]
.LBB1_3010:
	s_or_b64 exec, exec, s[6:7]
	s_and_saveexec_b64 s[6:7], s[4:5]
	s_cbranch_execz .LBB1_3012
.LBB1_3011:
	v_and_b32_e32 v12, 7, v18
	v_ffbh_u32_e32 v16, v12
	v_min_u32_e32 v16, 32, v16
	v_lshrrev_b16_e32 v13, 3, v18
	v_subrev_u32_e32 v17, 28, v16
	v_and_b32_e32 v13, 15, v13
	v_lshlrev_b32_e32 v17, v17, v18
	v_sub_u32_e32 v16, 29, v16
	v_and_b32_e32 v17, 7, v17
	v_cmp_eq_u16_e32 vcc, 0, v13
	v_cndmask_b32_e32 v12, v12, v17, vcc
	v_cndmask_b32_e32 v13, v13, v16, vcc
	v_lshlrev_b32_e32 v16, 24, v18
	v_mov_b32_e32 v17, 0x3b800000
	v_lshlrev_b32_e32 v12, 20, v12
	v_and_b32_e32 v16, 0x80000000, v16
	v_lshl_add_u32 v13, v13, 23, v17
	v_or3_b32 v13, v16, v13, v12
.LBB1_3012:
	s_or_b64 exec, exec, s[6:7]
	s_movk_i32 s4, 0xff
	v_mov_b32_e32 v12, 8
	v_or_b32_sdwa v16, v14, v20 dst_sel:DWORD dst_unused:UNUSED_PAD src0_sel:BYTE_0 src1_sel:DWORD
	v_lshlrev_b16_sdwa v12, v12, v14 dst_sel:DWORD dst_unused:UNUSED_PAD src0_sel:DWORD src1_sel:BYTE_3
	v_and_b32_sdwa v14, v14, s4 dst_sel:DWORD dst_unused:UNUSED_PAD src0_sel:WORD_1 src1_sel:DWORD
	s_movk_i32 s4, 0x7f
	v_or_b32_sdwa v12, v14, v12 dst_sel:WORD_1 dst_unused:UNUSED_PAD src0_sel:DWORD src1_sel:DWORD
	v_cmp_gt_i16_sdwa s[6:7], v16, s4 src0_sel:BYTE_0 src1_sel:DWORD
	s_mov_b64 s[4:5], 0
                                        ; implicit-def: $sgpr10
	s_and_saveexec_b64 s[8:9], s[6:7]
	s_xor_b64 s[6:7], exec, s[8:9]
	s_cbranch_execz .LBB1_3013
; %bb.16855:
	s_getpc_b64 s[14:15]
.Lpost_getpc4331:
	s_add_u32 s14, s14, (.LBB1_7109-.Lpost_getpc4331)&4294967295
	s_addc_u32 s15, s15, (.LBB1_7109-.Lpost_getpc4331)>>32
	s_setpc_b64 s[14:15]
.LBB1_3013:
	s_or_saveexec_b64 s[6:7], s[6:7]
	v_mov_b32_e32 v14, s10
	s_xor_b64 exec, exec, s[6:7]
	s_cbranch_execz .LBB1_3014
; %bb.16857:
	s_getpc_b64 s[14:15]
.Lpost_getpc4332:
	s_add_u32 s14, s14, (.LBB1_7112-.Lpost_getpc4332)&4294967295
	s_addc_u32 s15, s15, (.LBB1_7112-.Lpost_getpc4332)>>32
	s_setpc_b64 s[14:15]
.LBB1_3014:
	s_or_b64 exec, exec, s[6:7]
	v_or_b32_sdwa v12, v16, v12 dst_sel:DWORD dst_unused:UNUSED_PAD src0_sel:WORD_0 src1_sel:DWORD
	s_and_saveexec_b64 s[6:7], s[4:5]
	s_cbranch_execz .LBB1_3016
.LBB1_3015:
	v_and_b32_e32 v14, 3, v12
	v_ffbh_u32_e32 v17, v14
	v_min_u32_e32 v17, 32, v17
	v_lshrrev_b16_e32 v16, 2, v16
	v_subrev_u32_e32 v20, 29, v17
	v_and_b32_e32 v16, 31, v16
	v_lshlrev_b32_e32 v20, v20, v12
	v_sub_u32_e32 v17, 30, v17
	v_and_b32_e32 v20, 3, v20
	v_cmp_eq_u16_e32 vcc, 0, v16
	v_cndmask_b32_e32 v14, v14, v20, vcc
	v_cndmask_b32_e32 v16, v16, v17, vcc
	v_lshlrev_b32_e32 v17, 24, v12
	v_mov_b32_e32 v20, 0x37800000
	v_lshlrev_b32_e32 v14, 21, v14
	v_and_b32_e32 v17, 0x80000000, v17
	v_lshl_add_u32 v16, v16, 23, v20
	v_or3_b32 v14, v17, v16, v14
.LBB1_3016:
	s_or_b64 exec, exec, s[6:7]
	s_nop 0
	v_mfma_f32_16x16x4f32 a[0:3], v13, v14, a[0:3]
	v_lshrrev_b32_e32 v14, 8, v18
	s_movk_i32 s4, 0x7f
	v_cmp_gt_i16_sdwa s[6:7], v14, s4 src0_sel:BYTE_0 src1_sel:DWORD
	s_mov_b64 s[4:5], 0
                                        ; implicit-def: $sgpr10
	s_and_saveexec_b64 s[8:9], s[6:7]
	s_xor_b64 s[6:7], exec, s[8:9]
	s_cbranch_execz .LBB1_3017
; %bb.16859:
	s_getpc_b64 s[14:15]
.Lpost_getpc4333:
	s_add_u32 s14, s14, (.LBB1_7113-.Lpost_getpc4333)&4294967295
	s_addc_u32 s15, s15, (.LBB1_7113-.Lpost_getpc4333)>>32
	s_setpc_b64 s[14:15]
.LBB1_3017:
	s_or_saveexec_b64 s[6:7], s[6:7]
	v_mov_b32_e32 v13, s10
	s_xor_b64 exec, exec, s[6:7]
	s_cbranch_execz .LBB1_3018
; %bb.16861:
	s_getpc_b64 s[14:15]
.Lpost_getpc4334:
	s_add_u32 s14, s14, (.LBB1_7116-.Lpost_getpc4334)&4294967295
	s_addc_u32 s15, s15, (.LBB1_7116-.Lpost_getpc4334)>>32
	s_setpc_b64 s[14:15]
.LBB1_3018:
	s_or_b64 exec, exec, s[6:7]
	s_and_saveexec_b64 s[6:7], s[4:5]
	s_cbranch_execz .LBB1_3020
.LBB1_3019:
	v_bfe_u32 v13, v18, 8, 3
	v_ffbh_u32_e32 v17, v13
	v_min_u32_e32 v17, 32, v17
	v_lshrrev_b16_e32 v16, 3, v14
	v_subrev_u32_e32 v20, 28, v17
	v_and_b32_e32 v16, 15, v16
	v_lshlrev_b32_e32 v14, v20, v14
	v_sub_u32_e32 v17, 29, v17
	v_and_b32_e32 v14, 7, v14
	v_cmp_eq_u16_e32 vcc, 0, v16
	v_cndmask_b32_e32 v13, v13, v14, vcc
	v_cndmask_b32_e32 v14, v16, v17, vcc
	v_lshlrev_b32_e32 v16, 16, v18
	v_mov_b32_e32 v17, 0x3b800000
	v_lshlrev_b32_e32 v13, 20, v13
	v_and_b32_e32 v16, 0x80000000, v16
	v_lshl_add_u32 v14, v14, 23, v17
	v_or3_b32 v13, v16, v14, v13
.LBB1_3020:
	s_or_b64 exec, exec, s[6:7]
	v_lshrrev_b32_e32 v14, 8, v12
	s_movk_i32 s4, 0x7f
	v_cmp_gt_i16_sdwa s[6:7], v14, s4 src0_sel:BYTE_0 src1_sel:DWORD
	s_mov_b64 s[4:5], 0
                                        ; implicit-def: $sgpr10
	s_and_saveexec_b64 s[8:9], s[6:7]
	s_xor_b64 s[6:7], exec, s[8:9]
	s_cbranch_execz .LBB1_3021
; %bb.16863:
	s_getpc_b64 s[14:15]
.Lpost_getpc4335:
	s_add_u32 s14, s14, (.LBB1_7117-.Lpost_getpc4335)&4294967295
	s_addc_u32 s15, s15, (.LBB1_7117-.Lpost_getpc4335)>>32
	s_setpc_b64 s[14:15]
.LBB1_3021:
	s_or_saveexec_b64 s[6:7], s[6:7]
	v_mov_b32_e32 v16, s10
	s_xor_b64 exec, exec, s[6:7]
	s_cbranch_execz .LBB1_3022
; %bb.16865:
	s_getpc_b64 s[14:15]
.Lpost_getpc4336:
	s_add_u32 s14, s14, (.LBB1_7120-.Lpost_getpc4336)&4294967295
	s_addc_u32 s15, s15, (.LBB1_7120-.Lpost_getpc4336)>>32
	s_setpc_b64 s[14:15]
.LBB1_3022:
	s_or_b64 exec, exec, s[6:7]
	s_and_saveexec_b64 s[6:7], s[4:5]
	s_cbranch_execz .LBB1_3024
.LBB1_3023:
	v_bfe_u32 v16, v12, 8, 2
	v_ffbh_u32_e32 v20, v16
	v_min_u32_e32 v20, 32, v20
	v_lshrrev_b16_e32 v17, 2, v14
	v_subrev_u32_e32 v21, 29, v20
	v_and_b32_e32 v17, 31, v17
	v_lshlrev_b32_e32 v14, v21, v14
	v_sub_u32_e32 v20, 30, v20
	v_and_b32_e32 v14, 3, v14
	v_cmp_eq_u16_e32 vcc, 0, v17
	v_cndmask_b32_e32 v14, v16, v14, vcc
	v_cndmask_b32_e32 v16, v17, v20, vcc
	v_lshlrev_b32_e32 v17, 16, v12
	v_mov_b32_e32 v20, 0x37800000
	v_lshlrev_b32_e32 v14, 21, v14
	v_and_b32_e32 v17, 0x80000000, v17
	v_lshl_add_u32 v16, v16, 23, v20
	v_or3_b32 v16, v17, v16, v14
.LBB1_3024:
	s_or_b64 exec, exec, s[6:7]
	s_nop 0
	v_mfma_f32_16x16x4f32 a[0:3], v13, v16, a[0:3]
	s_movk_i32 s4, 0xff
	v_and_b32_sdwa v14, v18, s4 dst_sel:DWORD dst_unused:UNUSED_PAD src0_sel:WORD_1 src1_sel:DWORD
	s_movk_i32 s4, 0x7f
	v_cmp_lt_i16_e32 vcc, s4, v14
	s_mov_b64 s[4:5], 0
                                        ; implicit-def: $sgpr10
	s_and_saveexec_b64 s[6:7], vcc
	s_xor_b64 s[6:7], exec, s[6:7]
	s_cbranch_execz .LBB1_3025
; %bb.16867:
	s_getpc_b64 s[14:15]
.Lpost_getpc4337:
	s_add_u32 s14, s14, (.LBB1_7121-.Lpost_getpc4337)&4294967295
	s_addc_u32 s15, s15, (.LBB1_7121-.Lpost_getpc4337)>>32
	s_setpc_b64 s[14:15]
.LBB1_3025:
	s_or_saveexec_b64 s[6:7], s[6:7]
	v_mov_b32_e32 v13, s10
	s_xor_b64 exec, exec, s[6:7]
	s_cbranch_execz .LBB1_3026
; %bb.16869:
	s_getpc_b64 s[14:15]
.Lpost_getpc4338:
	s_add_u32 s14, s14, (.LBB1_7124-.Lpost_getpc4338)&4294967295
	s_addc_u32 s15, s15, (.LBB1_7124-.Lpost_getpc4338)>>32
	s_setpc_b64 s[14:15]
.LBB1_3026:
	s_or_b64 exec, exec, s[6:7]
	s_and_saveexec_b64 s[6:7], s[4:5]
	s_cbranch_execz .LBB1_3028
.LBB1_3027:
	v_bfe_u32 v13, v18, 16, 3
	v_ffbh_u32_e32 v17, v13
	v_min_u32_e32 v17, 32, v17
	v_lshrrev_b32_e32 v14, 19, v18
	v_subrev_u32_e32 v20, 28, v17
	v_and_b32_e32 v14, 15, v14
	v_lshlrev_b32_sdwa v20, v20, v18 dst_sel:DWORD dst_unused:UNUSED_PAD src0_sel:DWORD src1_sel:WORD_1
	v_bfe_u32 v16, v18, 19, 4
	v_sub_u32_e32 v17, 29, v17
	v_and_b32_e32 v20, 7, v20
	v_cmp_eq_u16_e32 vcc, 0, v14
	v_cndmask_b32_e32 v13, v13, v20, vcc
	v_cndmask_b32_e32 v14, v16, v17, vcc
	v_lshlrev_b32_e32 v16, 8, v18
	v_mov_b32_e32 v17, 0x3b800000
	v_lshlrev_b32_e32 v13, 20, v13
	v_and_b32_e32 v16, 0x80000000, v16
	v_lshl_add_u32 v14, v14, 23, v17
	v_or3_b32 v13, v16, v14, v13
.LBB1_3028:
	s_or_b64 exec, exec, s[6:7]
	s_movk_i32 s4, 0xff
	v_and_b32_sdwa v14, v12, s4 dst_sel:DWORD dst_unused:UNUSED_PAD src0_sel:WORD_1 src1_sel:DWORD
	s_movk_i32 s4, 0x7f
	v_cmp_lt_i16_e32 vcc, s4, v14
	s_mov_b64 s[4:5], 0
                                        ; implicit-def: $sgpr10
	s_and_saveexec_b64 s[6:7], vcc
	s_xor_b64 s[6:7], exec, s[6:7]
	s_cbranch_execz .LBB1_3029
; %bb.16871:
	s_getpc_b64 s[14:15]
.Lpost_getpc4339:
	s_add_u32 s14, s14, (.LBB1_7125-.Lpost_getpc4339)&4294967295
	s_addc_u32 s15, s15, (.LBB1_7125-.Lpost_getpc4339)>>32
	s_setpc_b64 s[14:15]
.LBB1_3029:
	s_or_saveexec_b64 s[6:7], s[6:7]
	v_mov_b32_e32 v16, s10
	s_xor_b64 exec, exec, s[6:7]
	s_cbranch_execz .LBB1_3030
; %bb.16873:
	s_getpc_b64 s[14:15]
.Lpost_getpc4340:
	s_add_u32 s14, s14, (.LBB1_7128-.Lpost_getpc4340)&4294967295
	s_addc_u32 s15, s15, (.LBB1_7128-.Lpost_getpc4340)>>32
	s_setpc_b64 s[14:15]
.LBB1_3030:
	s_or_b64 exec, exec, s[6:7]
	s_and_saveexec_b64 s[6:7], s[4:5]
	s_cbranch_execz .LBB1_3032
.LBB1_3031:
	v_bfe_u32 v14, v12, 16, 2
	v_ffbh_u32_e32 v20, v14
	v_min_u32_e32 v20, 32, v20
	v_lshrrev_b32_e32 v16, 18, v12
	v_subrev_u32_e32 v21, 29, v20
	v_and_b32_e32 v16, 31, v16
	v_lshlrev_b32_sdwa v21, v21, v12 dst_sel:DWORD dst_unused:UNUSED_PAD src0_sel:DWORD src1_sel:WORD_1
	v_bfe_u32 v17, v12, 18, 5
	v_sub_u32_e32 v20, 30, v20
	v_and_b32_e32 v21, 3, v21
	v_cmp_eq_u16_e32 vcc, 0, v16
	v_cndmask_b32_e32 v14, v14, v21, vcc
	v_cndmask_b32_e32 v16, v17, v20, vcc
	v_lshlrev_b32_e32 v17, 8, v12
	v_mov_b32_e32 v20, 0x37800000
	v_lshlrev_b32_e32 v14, 21, v14
	v_and_b32_e32 v17, 0x80000000, v17
	v_lshl_add_u32 v16, v16, 23, v20
	v_or3_b32 v16, v17, v16, v14
.LBB1_3032:
	s_or_b64 exec, exec, s[6:7]
	s_nop 0
	v_mfma_f32_16x16x4f32 a[0:3], v13, v16, a[0:3]
	s_movk_i32 s4, 0x7f
	v_cmp_gt_i16_sdwa s[6:7], v18, s4 src0_sel:BYTE_3 src1_sel:DWORD
	s_mov_b64 s[4:5], 0
                                        ; implicit-def: $sgpr10
	s_and_saveexec_b64 s[8:9], s[6:7]
	s_xor_b64 s[6:7], exec, s[8:9]
	s_cbranch_execz .LBB1_3033
; %bb.16875:
	s_getpc_b64 s[14:15]
.Lpost_getpc4341:
	s_add_u32 s14, s14, (.LBB1_7129-.Lpost_getpc4341)&4294967295
	s_addc_u32 s15, s15, (.LBB1_7129-.Lpost_getpc4341)>>32
	s_setpc_b64 s[14:15]
.LBB1_3033:
	s_or_saveexec_b64 s[6:7], s[6:7]
	v_mov_b32_e32 v13, s10
	s_xor_b64 exec, exec, s[6:7]
	s_cbranch_execz .LBB1_3034
; %bb.16877:
	s_getpc_b64 s[14:15]
.Lpost_getpc4342:
	s_add_u32 s14, s14, (.LBB1_7132-.Lpost_getpc4342)&4294967295
	s_addc_u32 s15, s15, (.LBB1_7132-.Lpost_getpc4342)>>32
	s_setpc_b64 s[14:15]
.LBB1_3034:
	s_or_b64 exec, exec, s[6:7]
	s_and_saveexec_b64 s[6:7], s[4:5]
	s_cbranch_execz .LBB1_3036
.LBB1_3035:
	v_bfe_u32 v13, v18, 24, 3
	v_ffbh_u32_e32 v20, v13
	v_min_u32_e32 v20, 32, v20
	v_lshrrev_b32_e32 v16, 27, v18
	v_subrev_u32_e32 v21, 28, v20
	v_and_b32_e32 v14, 0x80000000, v18
	v_and_b32_e32 v16, 15, v16
	v_bfe_u32 v17, v18, 27, 4
	v_lshlrev_b32_sdwa v18, v21, v18 dst_sel:DWORD dst_unused:UNUSED_PAD src0_sel:DWORD src1_sel:BYTE_3
	v_sub_u32_e32 v20, 29, v20
	v_and_b32_e32 v18, 7, v18
	v_cmp_eq_u16_e32 vcc, 0, v16
	v_cndmask_b32_e32 v13, v13, v18, vcc
	v_cndmask_b32_e32 v16, v17, v20, vcc
	v_mov_b32_e32 v17, 0x3b800000
	v_lshlrev_b32_e32 v13, 20, v13
	v_lshl_add_u32 v16, v16, 23, v17
	v_or3_b32 v13, v14, v16, v13
.LBB1_3036:
	s_or_b64 exec, exec, s[6:7]
	s_movk_i32 s4, 0x7f
	v_cmp_gt_i16_sdwa s[6:7], v12, s4 src0_sel:BYTE_3 src1_sel:DWORD
	s_mov_b64 s[4:5], 0
                                        ; implicit-def: $sgpr10
	s_and_saveexec_b64 s[8:9], s[6:7]
	s_xor_b64 s[6:7], exec, s[8:9]
	s_cbranch_execz .LBB1_3037
; %bb.16879:
	s_getpc_b64 s[14:15]
.Lpost_getpc4343:
	s_add_u32 s14, s14, (.LBB1_7133-.Lpost_getpc4343)&4294967295
	s_addc_u32 s15, s15, (.LBB1_7133-.Lpost_getpc4343)>>32
	s_setpc_b64 s[14:15]
.LBB1_3037:
	s_or_saveexec_b64 s[6:7], s[6:7]
	v_mov_b32_e32 v14, s10
	s_xor_b64 exec, exec, s[6:7]
	s_cbranch_execz .LBB1_3038
; %bb.16881:
	s_getpc_b64 s[14:15]
.Lpost_getpc4344:
	s_add_u32 s14, s14, (.LBB1_7136-.Lpost_getpc4344)&4294967295
	s_addc_u32 s15, s15, (.LBB1_7136-.Lpost_getpc4344)>>32
	s_setpc_b64 s[14:15]
.LBB1_3038:
	s_or_b64 exec, exec, s[6:7]
	s_and_saveexec_b64 s[6:7], s[4:5]
	s_cbranch_execz .LBB1_3040
.LBB1_3039:
	v_bfe_u32 v14, v12, 24, 2
	v_ffbh_u32_e32 v20, v14
	v_min_u32_e32 v20, 32, v20
	v_lshrrev_b32_e32 v17, 26, v12
	v_subrev_u32_e32 v21, 29, v20
	v_and_b32_e32 v16, 0x80000000, v12
	v_and_b32_e32 v17, 31, v17
	v_bfe_u32 v18, v12, 26, 5
	v_lshlrev_b32_sdwa v12, v21, v12 dst_sel:DWORD dst_unused:UNUSED_PAD src0_sel:DWORD src1_sel:BYTE_3
	v_sub_u32_e32 v20, 30, v20
	v_and_b32_e32 v12, 3, v12
	v_cmp_eq_u16_e32 vcc, 0, v17
	v_cndmask_b32_e32 v12, v14, v12, vcc
	v_cndmask_b32_e32 v14, v18, v20, vcc
	v_mov_b32_e32 v17, 0x37800000
	v_lshlrev_b32_e32 v12, 21, v12
	v_lshl_add_u32 v14, v14, 23, v17
	v_or3_b32 v14, v16, v14, v12
.LBB1_3040:
	s_or_b64 exec, exec, s[6:7]
	s_nop 0
	v_mfma_f32_16x16x4f32 a[0:3], v13, v14, a[0:3]
	s_movk_i32 s4, 0x7f
	v_cmp_gt_i16_sdwa s[6:7], v19, s4 src0_sel:BYTE_0 src1_sel:DWORD
	s_mov_b64 s[4:5], 0
                                        ; implicit-def: $sgpr10
	s_and_saveexec_b64 s[8:9], s[6:7]
	s_xor_b64 s[6:7], exec, s[8:9]
	s_cbranch_execz .LBB1_3041
; %bb.16883:
	s_getpc_b64 s[14:15]
.Lpost_getpc4345:
	s_add_u32 s14, s14, (.LBB1_7137-.Lpost_getpc4345)&4294967295
	s_addc_u32 s15, s15, (.LBB1_7137-.Lpost_getpc4345)>>32
	s_setpc_b64 s[14:15]
.LBB1_3041:
	s_or_saveexec_b64 s[6:7], s[6:7]
	v_mov_b32_e32 v12, s10
	s_xor_b64 exec, exec, s[6:7]
	s_cbranch_execz .LBB1_3042
; %bb.16885:
	s_getpc_b64 s[14:15]
.Lpost_getpc4346:
	s_add_u32 s14, s14, (.LBB1_7140-.Lpost_getpc4346)&4294967295
	s_addc_u32 s15, s15, (.LBB1_7140-.Lpost_getpc4346)>>32
	s_setpc_b64 s[14:15]
.LBB1_3042:
	s_or_b64 exec, exec, s[6:7]
	s_and_saveexec_b64 s[6:7], s[4:5]
	s_cbranch_execz .LBB1_3044
.LBB1_3043:
	v_mov_b32_e32 v12, 8
	v_and_b32_e32 v13, 7, v19
	v_lshrrev_b32_sdwa v12, v12, v19 dst_sel:BYTE_1 dst_unused:UNUSED_PAD src0_sel:DWORD src1_sel:DWORD
	v_ffbh_u32_e32 v14, v13
	v_or_b32_sdwa v12, v19, v12 dst_sel:DWORD dst_unused:UNUSED_PAD src0_sel:BYTE_0 src1_sel:DWORD
	v_min_u32_e32 v14, 32, v14
	v_lshrrev_b16_e32 v12, 3, v12
	v_subrev_u32_e32 v16, 28, v14
	v_and_b32_e32 v12, 15, v12
	v_lshlrev_b32_e32 v16, v16, v19
	v_sub_u32_e32 v14, 29, v14
	v_and_b32_e32 v16, 7, v16
	v_cmp_eq_u16_e32 vcc, 0, v12
	v_cndmask_b32_e32 v13, v13, v16, vcc
	v_cndmask_b32_e32 v12, v12, v14, vcc
	v_lshlrev_b32_e32 v14, 24, v19
	v_mov_b32_e32 v16, 0x3b800000
	v_lshlrev_b32_e32 v13, 20, v13
	v_and_b32_e32 v14, 0x80000000, v14
	v_lshl_add_u32 v12, v12, 23, v16
	v_or3_b32 v12, v14, v12, v13
.LBB1_3044:
	s_or_b64 exec, exec, s[6:7]
	s_movk_i32 s4, 0x7f
	v_cmp_gt_i16_sdwa s[6:7], v15, s4 src0_sel:BYTE_0 src1_sel:DWORD
	s_mov_b64 s[4:5], 0
                                        ; implicit-def: $sgpr10
	s_and_saveexec_b64 s[8:9], s[6:7]
	s_xor_b64 s[6:7], exec, s[8:9]
	s_cbranch_execz .LBB1_3045
; %bb.16887:
	s_getpc_b64 s[14:15]
.Lpost_getpc4347:
	s_add_u32 s14, s14, (.LBB1_7141-.Lpost_getpc4347)&4294967295
	s_addc_u32 s15, s15, (.LBB1_7141-.Lpost_getpc4347)>>32
	s_setpc_b64 s[14:15]
.LBB1_3045:
	s_or_saveexec_b64 s[6:7], s[6:7]
	v_mov_b32_e32 v13, s10
	s_xor_b64 exec, exec, s[6:7]
	s_cbranch_execz .LBB1_3046
; %bb.16889:
	s_getpc_b64 s[14:15]
.Lpost_getpc4348:
	s_add_u32 s14, s14, (.LBB1_7144-.Lpost_getpc4348)&4294967295
	s_addc_u32 s15, s15, (.LBB1_7144-.Lpost_getpc4348)>>32
	s_setpc_b64 s[14:15]
.LBB1_3046:
	s_or_b64 exec, exec, s[6:7]
	s_and_saveexec_b64 s[6:7], s[4:5]
	s_cbranch_execz .LBB1_3048
.LBB1_3047:
	v_and_b32_e32 v13, 3, v15
	v_ffbh_u32_e32 v16, v13
	v_min_u32_e32 v16, 32, v16
	v_lshrrev_b16_e32 v14, 2, v15
	v_subrev_u32_e32 v17, 29, v16
	v_and_b32_e32 v14, 31, v14
	v_lshlrev_b32_e32 v17, v17, v15
	v_sub_u32_e32 v16, 30, v16
	v_and_b32_e32 v17, 3, v17
	v_cmp_eq_u16_e32 vcc, 0, v14
	v_cndmask_b32_e32 v13, v13, v17, vcc
	v_cndmask_b32_e32 v14, v14, v16, vcc
	v_lshlrev_b32_e32 v16, 24, v15
	v_mov_b32_e32 v17, 0x37800000
	v_lshlrev_b32_e32 v13, 21, v13
	v_and_b32_e32 v16, 0x80000000, v16
	v_lshl_add_u32 v14, v14, 23, v17
	v_or3_b32 v13, v16, v14, v13
.LBB1_3048:
	s_or_b64 exec, exec, s[6:7]
	s_nop 0
	v_mfma_f32_16x16x4f32 a[0:3], v12, v13, a[0:3]
	v_lshrrev_b32_e32 v13, 8, v19
	s_movk_i32 s4, 0x7f
	v_cmp_gt_i16_sdwa s[6:7], v13, s4 src0_sel:BYTE_0 src1_sel:DWORD
	s_mov_b64 s[4:5], 0
                                        ; implicit-def: $sgpr10
	s_and_saveexec_b64 s[8:9], s[6:7]
	s_xor_b64 s[6:7], exec, s[8:9]
	s_cbranch_execz .LBB1_3049
; %bb.16891:
	s_getpc_b64 s[14:15]
.Lpost_getpc4349:
	s_add_u32 s14, s14, (.LBB1_7145-.Lpost_getpc4349)&4294967295
	s_addc_u32 s15, s15, (.LBB1_7145-.Lpost_getpc4349)>>32
	s_setpc_b64 s[14:15]
.LBB1_3049:
	s_or_saveexec_b64 s[6:7], s[6:7]
	v_mov_b32_e32 v12, s10
	s_xor_b64 exec, exec, s[6:7]
	s_cbranch_execz .LBB1_3050
; %bb.16893:
	s_getpc_b64 s[14:15]
.Lpost_getpc4350:
	s_add_u32 s14, s14, (.LBB1_7148-.Lpost_getpc4350)&4294967295
	s_addc_u32 s15, s15, (.LBB1_7148-.Lpost_getpc4350)>>32
	s_setpc_b64 s[14:15]
.LBB1_3050:
	s_or_b64 exec, exec, s[6:7]
	s_and_saveexec_b64 s[6:7], s[4:5]
	s_cbranch_execz .LBB1_3052
.LBB1_3051:
	v_bfe_u32 v12, v19, 8, 3
	v_ffbh_u32_e32 v16, v12
	v_min_u32_e32 v16, 32, v16
	v_lshrrev_b16_e32 v14, 3, v13
	v_subrev_u32_e32 v17, 28, v16
	v_and_b32_e32 v14, 15, v14
	v_lshlrev_b32_e32 v13, v17, v13
	v_sub_u32_e32 v16, 29, v16
	v_and_b32_e32 v13, 7, v13
	v_cmp_eq_u16_e32 vcc, 0, v14
	v_cndmask_b32_e32 v12, v12, v13, vcc
	v_cndmask_b32_e32 v13, v14, v16, vcc
	v_lshlrev_b32_e32 v14, 16, v19
	v_mov_b32_e32 v16, 0x3b800000
	v_lshlrev_b32_e32 v12, 20, v12
	v_and_b32_e32 v14, 0x80000000, v14
	v_lshl_add_u32 v13, v13, 23, v16
	v_or3_b32 v12, v14, v13, v12
.LBB1_3052:
	s_or_b64 exec, exec, s[6:7]
	v_lshrrev_b32_e32 v13, 8, v15
	s_movk_i32 s4, 0x7f
	v_cmp_gt_i16_sdwa s[6:7], v13, s4 src0_sel:BYTE_0 src1_sel:DWORD
	s_mov_b64 s[4:5], 0
                                        ; implicit-def: $sgpr10
	s_and_saveexec_b64 s[8:9], s[6:7]
	s_xor_b64 s[6:7], exec, s[8:9]
	s_cbranch_execz .LBB1_3053
; %bb.16895:
	s_getpc_b64 s[14:15]
.Lpost_getpc4351:
	s_add_u32 s14, s14, (.LBB1_7149-.Lpost_getpc4351)&4294967295
	s_addc_u32 s15, s15, (.LBB1_7149-.Lpost_getpc4351)>>32
	s_setpc_b64 s[14:15]
.LBB1_3053:
	s_or_saveexec_b64 s[6:7], s[6:7]
	v_mov_b32_e32 v14, s10
	s_xor_b64 exec, exec, s[6:7]
	s_cbranch_execz .LBB1_3054
; %bb.16897:
	s_getpc_b64 s[14:15]
.Lpost_getpc4352:
	s_add_u32 s14, s14, (.LBB1_7152-.Lpost_getpc4352)&4294967295
	s_addc_u32 s15, s15, (.LBB1_7152-.Lpost_getpc4352)>>32
	s_setpc_b64 s[14:15]
.LBB1_3054:
	s_or_b64 exec, exec, s[6:7]
	s_and_saveexec_b64 s[6:7], s[4:5]
	s_cbranch_execz .LBB1_3056
.LBB1_3055:
	v_bfe_u32 v14, v15, 8, 2
	v_ffbh_u32_e32 v17, v14
	v_min_u32_e32 v17, 32, v17
	v_lshrrev_b16_e32 v16, 2, v13
	v_subrev_u32_e32 v18, 29, v17
	v_and_b32_e32 v16, 31, v16
	v_lshlrev_b32_e32 v13, v18, v13
	v_sub_u32_e32 v17, 30, v17
	v_and_b32_e32 v13, 3, v13
	v_cmp_eq_u16_e32 vcc, 0, v16
	v_cndmask_b32_e32 v13, v14, v13, vcc
	v_cndmask_b32_e32 v14, v16, v17, vcc
	v_lshlrev_b32_e32 v16, 16, v15
	v_mov_b32_e32 v17, 0x37800000
	v_lshlrev_b32_e32 v13, 21, v13
	v_and_b32_e32 v16, 0x80000000, v16
	v_lshl_add_u32 v14, v14, 23, v17
	v_or3_b32 v14, v16, v14, v13
.LBB1_3056:
	s_or_b64 exec, exec, s[6:7]
	s_nop 0
	v_mfma_f32_16x16x4f32 a[0:3], v12, v14, a[0:3]
	s_movk_i32 s4, 0xff
	v_and_b32_sdwa v13, v19, s4 dst_sel:DWORD dst_unused:UNUSED_PAD src0_sel:WORD_1 src1_sel:DWORD
	s_movk_i32 s4, 0x7f
	v_cmp_lt_i16_e32 vcc, s4, v13
	s_mov_b64 s[4:5], 0
                                        ; implicit-def: $sgpr10
	s_and_saveexec_b64 s[6:7], vcc
	s_xor_b64 s[6:7], exec, s[6:7]
	s_cbranch_execz .LBB1_3057
; %bb.16899:
	s_getpc_b64 s[14:15]
.Lpost_getpc4353:
	s_add_u32 s14, s14, (.LBB1_7153-.Lpost_getpc4353)&4294967295
	s_addc_u32 s15, s15, (.LBB1_7153-.Lpost_getpc4353)>>32
	s_setpc_b64 s[14:15]
.LBB1_3057:
	s_or_saveexec_b64 s[6:7], s[6:7]
	v_mov_b32_e32 v12, s10
	s_xor_b64 exec, exec, s[6:7]
	s_cbranch_execz .LBB1_3058
; %bb.16901:
	s_getpc_b64 s[14:15]
.Lpost_getpc4354:
	s_add_u32 s14, s14, (.LBB1_7156-.Lpost_getpc4354)&4294967295
	s_addc_u32 s15, s15, (.LBB1_7156-.Lpost_getpc4354)>>32
	s_setpc_b64 s[14:15]
.LBB1_3058:
	s_or_b64 exec, exec, s[6:7]
	s_and_saveexec_b64 s[6:7], s[4:5]
	s_cbranch_execz .LBB1_3060
.LBB1_3059:
	v_bfe_u32 v12, v19, 16, 3
	v_ffbh_u32_e32 v16, v12
	v_min_u32_e32 v16, 32, v16
	v_lshrrev_b32_e32 v13, 19, v19
	v_subrev_u32_e32 v17, 28, v16
	v_and_b32_e32 v13, 15, v13
	v_lshlrev_b32_sdwa v17, v17, v19 dst_sel:DWORD dst_unused:UNUSED_PAD src0_sel:DWORD src1_sel:WORD_1
	v_bfe_u32 v14, v19, 19, 4
	v_sub_u32_e32 v16, 29, v16
	v_and_b32_e32 v17, 7, v17
	v_cmp_eq_u16_e32 vcc, 0, v13
	v_cndmask_b32_e32 v12, v12, v17, vcc
	v_cndmask_b32_e32 v13, v14, v16, vcc
	v_lshlrev_b32_e32 v14, 8, v19
	v_mov_b32_e32 v16, 0x3b800000
	v_lshlrev_b32_e32 v12, 20, v12
	v_and_b32_e32 v14, 0x80000000, v14
	v_lshl_add_u32 v13, v13, 23, v16
	v_or3_b32 v12, v14, v13, v12
.LBB1_3060:
	s_or_b64 exec, exec, s[6:7]
	s_movk_i32 s4, 0xff
	v_and_b32_sdwa v13, v15, s4 dst_sel:DWORD dst_unused:UNUSED_PAD src0_sel:WORD_1 src1_sel:DWORD
	s_movk_i32 s4, 0x7f
	v_cmp_lt_i16_e32 vcc, s4, v13
	s_mov_b64 s[4:5], 0
                                        ; implicit-def: $sgpr10
	s_and_saveexec_b64 s[6:7], vcc
	s_xor_b64 s[6:7], exec, s[6:7]
	s_cbranch_execz .LBB1_3061
; %bb.16903:
	s_getpc_b64 s[14:15]
.Lpost_getpc4355:
	s_add_u32 s14, s14, (.LBB1_7157-.Lpost_getpc4355)&4294967295
	s_addc_u32 s15, s15, (.LBB1_7157-.Lpost_getpc4355)>>32
	s_setpc_b64 s[14:15]
.LBB1_3061:
	s_or_saveexec_b64 s[6:7], s[6:7]
	v_mov_b32_e32 v14, s10
	s_xor_b64 exec, exec, s[6:7]
	s_cbranch_execz .LBB1_3062
; %bb.16905:
	s_getpc_b64 s[14:15]
.Lpost_getpc4356:
	s_add_u32 s14, s14, (.LBB1_7160-.Lpost_getpc4356)&4294967295
	s_addc_u32 s15, s15, (.LBB1_7160-.Lpost_getpc4356)>>32
	s_setpc_b64 s[14:15]
.LBB1_3062:
	s_or_b64 exec, exec, s[6:7]
	s_and_saveexec_b64 s[6:7], s[4:5]
	s_cbranch_execz .LBB1_3064
.LBB1_3063:
	v_bfe_u32 v13, v15, 16, 2
	v_ffbh_u32_e32 v17, v13
	v_min_u32_e32 v17, 32, v17
	v_lshrrev_b32_e32 v14, 18, v15
	v_subrev_u32_e32 v18, 29, v17
	v_and_b32_e32 v14, 31, v14
	v_lshlrev_b32_sdwa v18, v18, v15 dst_sel:DWORD dst_unused:UNUSED_PAD src0_sel:DWORD src1_sel:WORD_1
	v_bfe_u32 v16, v15, 18, 5
	v_sub_u32_e32 v17, 30, v17
	v_and_b32_e32 v18, 3, v18
	v_cmp_eq_u16_e32 vcc, 0, v14
	v_cndmask_b32_e32 v13, v13, v18, vcc
	v_cndmask_b32_e32 v14, v16, v17, vcc
	v_lshlrev_b32_e32 v16, 8, v15
	v_mov_b32_e32 v17, 0x37800000
	v_lshlrev_b32_e32 v13, 21, v13
	v_and_b32_e32 v16, 0x80000000, v16
	v_lshl_add_u32 v14, v14, 23, v17
	v_or3_b32 v14, v16, v14, v13
.LBB1_3064:
	s_or_b64 exec, exec, s[6:7]
	s_nop 0
	v_mfma_f32_16x16x4f32 a[0:3], v12, v14, a[0:3]
	s_movk_i32 s4, 0x7f
	v_cmp_gt_i16_sdwa s[6:7], v19, s4 src0_sel:BYTE_3 src1_sel:DWORD
	s_mov_b64 s[4:5], 0
                                        ; implicit-def: $sgpr10
	s_and_saveexec_b64 s[8:9], s[6:7]
	s_xor_b64 s[6:7], exec, s[8:9]
	s_cbranch_execz .LBB1_3065
; %bb.16907:
	s_getpc_b64 s[14:15]
.Lpost_getpc4357:
	s_add_u32 s14, s14, (.LBB1_7161-.Lpost_getpc4357)&4294967295
	s_addc_u32 s15, s15, (.LBB1_7161-.Lpost_getpc4357)>>32
	s_setpc_b64 s[14:15]
.LBB1_3065:
	s_or_saveexec_b64 s[6:7], s[6:7]
	v_mov_b32_e32 v12, s10
	s_xor_b64 exec, exec, s[6:7]
	s_cbranch_execz .LBB1_3066
; %bb.16909:
	s_getpc_b64 s[14:15]
.Lpost_getpc4358:
	s_add_u32 s14, s14, (.LBB1_7164-.Lpost_getpc4358)&4294967295
	s_addc_u32 s15, s15, (.LBB1_7164-.Lpost_getpc4358)>>32
	s_setpc_b64 s[14:15]
.LBB1_3066:
	s_or_b64 exec, exec, s[6:7]
	s_and_saveexec_b64 s[6:7], s[4:5]
	s_cbranch_execz .LBB1_3068
.LBB1_3067:
	v_bfe_u32 v12, v19, 24, 3
	v_ffbh_u32_e32 v17, v12
	v_min_u32_e32 v17, 32, v17
	v_lshrrev_b32_e32 v14, 27, v19
	v_subrev_u32_e32 v18, 28, v17
	v_and_b32_e32 v14, 15, v14
	v_lshlrev_b32_sdwa v18, v18, v19 dst_sel:DWORD dst_unused:UNUSED_PAD src0_sel:DWORD src1_sel:BYTE_3
	v_bfe_u32 v16, v19, 27, 4
	v_sub_u32_e32 v17, 29, v17
	v_and_b32_e32 v18, 7, v18
	v_cmp_eq_u16_e32 vcc, 0, v14
	v_cndmask_b32_e32 v12, v12, v18, vcc
	v_cndmask_b32_e32 v14, v16, v17, vcc
	v_mov_b32_e32 v16, 0x3b800000
	v_and_b32_e32 v13, 0x80000000, v19
	v_lshlrev_b32_e32 v12, 20, v12
	v_lshl_add_u32 v14, v14, 23, v16
	v_or3_b32 v12, v13, v14, v12
.LBB1_3068:
	s_or_b64 exec, exec, s[6:7]
	s_movk_i32 s4, 0x7f
	v_cmp_gt_i16_sdwa s[6:7], v15, s4 src0_sel:BYTE_3 src1_sel:DWORD
	s_mov_b64 s[4:5], 0
                                        ; implicit-def: $sgpr10
	s_and_saveexec_b64 s[8:9], s[6:7]
	s_xor_b64 s[6:7], exec, s[8:9]
	s_cbranch_execz .LBB1_3069
; %bb.16911:
	s_getpc_b64 s[14:15]
.Lpost_getpc4359:
	s_add_u32 s14, s14, (.LBB1_7165-.Lpost_getpc4359)&4294967295
	s_addc_u32 s15, s15, (.LBB1_7165-.Lpost_getpc4359)>>32
	s_setpc_b64 s[14:15]
.LBB1_3069:
	s_or_saveexec_b64 s[6:7], s[6:7]
	v_mov_b32_e32 v13, s10
	s_xor_b64 exec, exec, s[6:7]
	s_cbranch_execz .LBB1_3070
; %bb.16913:
	s_getpc_b64 s[14:15]
.Lpost_getpc4360:
	s_add_u32 s14, s14, (.LBB1_7168-.Lpost_getpc4360)&4294967295
	s_addc_u32 s15, s15, (.LBB1_7168-.Lpost_getpc4360)>>32
	s_setpc_b64 s[14:15]
.LBB1_3070:
	s_or_b64 exec, exec, s[6:7]
	s_and_saveexec_b64 s[6:7], s[4:5]
	s_cbranch_execz .LBB1_3072
.LBB1_3071:
	v_bfe_u32 v13, v15, 24, 2
	v_ffbh_u32_e32 v18, v13
	v_min_u32_e32 v18, 32, v18
	v_lshrrev_b32_e32 v16, 26, v15
	v_subrev_u32_e32 v19, 29, v18
	v_and_b32_e32 v14, 0x80000000, v15
	v_and_b32_e32 v16, 31, v16
	v_bfe_u32 v17, v15, 26, 5
	v_lshlrev_b32_sdwa v15, v19, v15 dst_sel:DWORD dst_unused:UNUSED_PAD src0_sel:DWORD src1_sel:BYTE_3
	v_sub_u32_e32 v18, 30, v18
	v_and_b32_e32 v15, 3, v15
	v_cmp_eq_u16_e32 vcc, 0, v16
	v_cndmask_b32_e32 v13, v13, v15, vcc
	v_cndmask_b32_e32 v15, v17, v18, vcc
	v_mov_b32_e32 v16, 0x37800000
	v_lshlrev_b32_e32 v13, 21, v13
	v_lshl_add_u32 v15, v15, 23, v16
	v_or3_b32 v13, v14, v15, v13
.LBB1_3072:
	s_or_b64 exec, exec, s[6:7]
	s_nop 0
	v_mfma_f32_16x16x4f32 a[0:3], v12, v13, a[0:3]
	v_mov_b32_e32 v16, 8
	s_movk_i32 s4, 0x7f
                                        ; implicit-def: $sgpr10
	s_nop 7
	s_nop 0
	flat_store_dwordx4 v[10:11], a[0:3] offset:368
	flat_load_dword v14, v[0:1] offset:512
	flat_load_dwordx2 v[12:13], v[2:3]
	s_waitcnt vmcnt(0) lgkmcnt(0)
	v_ashrrev_i32_e32 v15, 31, v14
	v_add_co_u32_e32 v12, vcc, v12, v14
	v_addc_co_u32_e32 v13, vcc, v13, v15, vcc
	flat_load_dwordx4 v[12:15], v[12:13] offset:3072
	s_waitcnt vmcnt(0) lgkmcnt(0)
	flat_store_dwordx4 v[4:5], v[12:15]
	flat_load_dword v14, v[0:1] offset:544
	s_nop 0
	flat_load_dwordx2 v[12:13], v[6:7]
	s_waitcnt vmcnt(0) lgkmcnt(0)
	v_ashrrev_i32_e32 v15, 31, v14
	v_add_co_u32_e32 v12, vcc, v12, v14
	v_addc_co_u32_e32 v13, vcc, v13, v15, vcc
	flat_load_dwordx4 v[12:15], v[12:13]
	s_waitcnt vmcnt(0) lgkmcnt(0)
	v_lshrrev_b32_sdwa v20, v16, v14 dst_sel:BYTE_1 dst_unused:UNUSED_PAD src0_sel:DWORD src1_sel:DWORD
	flat_store_dwordx4 v[8:9], v[12:15]
	flat_load_dwordx4 v[16:19], v[4:5]
	s_waitcnt vmcnt(0) lgkmcnt(0)
	v_cmp_gt_i16_sdwa s[6:7], v16, s4 src0_sel:BYTE_0 src1_sel:DWORD
	s_mov_b64 s[4:5], 0
	s_and_saveexec_b64 s[8:9], s[6:7]
	s_xor_b64 s[6:7], exec, s[8:9]
	s_cbranch_execz .LBB1_3073
; %bb.16915:
	s_getpc_b64 s[14:15]
.Lpost_getpc4361:
	s_add_u32 s14, s14, (.LBB1_7169-.Lpost_getpc4361)&4294967295
	s_addc_u32 s15, s15, (.LBB1_7169-.Lpost_getpc4361)>>32
	s_setpc_b64 s[14:15]
.LBB1_3073:
	s_or_saveexec_b64 s[6:7], s[6:7]
	v_mov_b32_e32 v21, s10
	s_xor_b64 exec, exec, s[6:7]
	s_cbranch_execz .LBB1_3074
; %bb.16917:
	s_getpc_b64 s[14:15]
.Lpost_getpc4362:
	s_add_u32 s14, s14, (.LBB1_7172-.Lpost_getpc4362)&4294967295
	s_addc_u32 s15, s15, (.LBB1_7172-.Lpost_getpc4362)>>32
	s_setpc_b64 s[14:15]
.LBB1_3074:
	s_or_b64 exec, exec, s[6:7]
	s_and_saveexec_b64 s[6:7], s[4:5]
	s_cbranch_execz .LBB1_3076
.LBB1_3075:
	v_and_b32_e32 v21, 7, v16
	v_ffbh_u32_e32 v23, v21
	v_min_u32_e32 v23, 32, v23
	v_lshrrev_b16_e32 v22, 3, v16
	v_subrev_u32_e32 v24, 28, v23
	v_and_b32_e32 v22, 15, v22
	v_lshlrev_b32_e32 v24, v24, v16
	v_sub_u32_e32 v23, 29, v23
	v_and_b32_e32 v24, 7, v24
	v_cmp_eq_u16_e32 vcc, 0, v22
	v_cndmask_b32_e32 v21, v21, v24, vcc
	v_cndmask_b32_e32 v22, v22, v23, vcc
	v_lshlrev_b32_e32 v23, 24, v16
	v_mov_b32_e32 v24, 0x3b800000
	v_lshlrev_b32_e32 v21, 20, v21
	v_and_b32_e32 v23, 0x80000000, v23
	v_lshl_add_u32 v22, v22, 23, v24
	v_or3_b32 v21, v23, v22, v21
.LBB1_3076:
	s_or_b64 exec, exec, s[6:7]
	s_movk_i32 s4, 0x7f
	v_cmp_gt_i16_sdwa s[6:7], v12, s4 src0_sel:BYTE_0 src1_sel:DWORD
	s_mov_b64 s[4:5], 0
                                        ; implicit-def: $sgpr10
	s_and_saveexec_b64 s[8:9], s[6:7]
	s_xor_b64 s[6:7], exec, s[8:9]
	s_cbranch_execz .LBB1_3077
; %bb.16919:
	s_getpc_b64 s[14:15]
.Lpost_getpc4363:
	s_add_u32 s14, s14, (.LBB1_7173-.Lpost_getpc4363)&4294967295
	s_addc_u32 s15, s15, (.LBB1_7173-.Lpost_getpc4363)>>32
	s_setpc_b64 s[14:15]
.LBB1_3077:
	s_or_saveexec_b64 s[6:7], s[6:7]
	v_mov_b32_e32 v22, s10
	s_xor_b64 exec, exec, s[6:7]
	s_cbranch_execz .LBB1_3078
; %bb.16921:
	s_getpc_b64 s[14:15]
.Lpost_getpc4364:
	s_add_u32 s14, s14, (.LBB1_7176-.Lpost_getpc4364)&4294967295
	s_addc_u32 s15, s15, (.LBB1_7176-.Lpost_getpc4364)>>32
	s_setpc_b64 s[14:15]
.LBB1_3078:
	s_or_b64 exec, exec, s[6:7]
	s_and_saveexec_b64 s[6:7], s[4:5]
	s_cbranch_execz .LBB1_3080
.LBB1_3079:
	v_and_b32_e32 v22, 3, v12
	v_ffbh_u32_e32 v24, v22
	v_min_u32_e32 v24, 32, v24
	v_lshrrev_b16_e32 v23, 2, v12
	v_subrev_u32_e32 v25, 29, v24
	v_and_b32_e32 v23, 31, v23
	v_lshlrev_b32_e32 v25, v25, v12
	v_sub_u32_e32 v24, 30, v24
	v_and_b32_e32 v25, 3, v25
	v_cmp_eq_u16_e32 vcc, 0, v23
	v_cndmask_b32_e32 v22, v22, v25, vcc
	v_cndmask_b32_e32 v23, v23, v24, vcc
	v_lshlrev_b32_e32 v24, 24, v12
	v_mov_b32_e32 v25, 0x37800000
	v_lshlrev_b32_e32 v22, 21, v22
	v_and_b32_e32 v24, 0x80000000, v24
	v_lshl_add_u32 v23, v23, 23, v25
	v_or3_b32 v22, v24, v23, v22
.LBB1_3080:
	s_or_b64 exec, exec, s[6:7]
	flat_load_dwordx4 a[0:3], v[10:11] offset:384
	s_movk_i32 s4, 0x7f
                                        ; implicit-def: $sgpr10
	s_waitcnt vmcnt(0) lgkmcnt(0)
	v_mfma_f32_16x16x4f32 a[0:3], v21, v22, a[0:3]
	v_lshrrev_b32_e32 v22, 8, v16
	v_cmp_gt_i16_sdwa s[6:7], v22, s4 src0_sel:BYTE_0 src1_sel:DWORD
	s_mov_b64 s[4:5], 0
	s_and_saveexec_b64 s[8:9], s[6:7]
	s_xor_b64 s[6:7], exec, s[8:9]
	s_cbranch_execz .LBB1_3081
; %bb.16923:
	s_getpc_b64 s[14:15]
.Lpost_getpc4365:
	s_add_u32 s14, s14, (.LBB1_7177-.Lpost_getpc4365)&4294967295
	s_addc_u32 s15, s15, (.LBB1_7177-.Lpost_getpc4365)>>32
	s_setpc_b64 s[14:15]
.LBB1_3081:
	s_or_saveexec_b64 s[6:7], s[6:7]
	v_mov_b32_e32 v21, s10
	s_xor_b64 exec, exec, s[6:7]
	s_cbranch_execz .LBB1_3082
; %bb.16925:
	s_getpc_b64 s[14:15]
.Lpost_getpc4366:
	s_add_u32 s14, s14, (.LBB1_7180-.Lpost_getpc4366)&4294967295
	s_addc_u32 s15, s15, (.LBB1_7180-.Lpost_getpc4366)>>32
	s_setpc_b64 s[14:15]
.LBB1_3082:
	s_or_b64 exec, exec, s[6:7]
	s_and_saveexec_b64 s[6:7], s[4:5]
	s_cbranch_execz .LBB1_3084
.LBB1_3083:
	v_bfe_u32 v21, v16, 8, 3
	v_ffbh_u32_e32 v24, v21
	v_min_u32_e32 v24, 32, v24
	v_lshrrev_b16_e32 v23, 3, v22
	v_subrev_u32_e32 v25, 28, v24
	v_and_b32_e32 v23, 15, v23
	v_lshlrev_b32_e32 v22, v25, v22
	v_sub_u32_e32 v24, 29, v24
	v_and_b32_e32 v22, 7, v22
	v_cmp_eq_u16_e32 vcc, 0, v23
	v_cndmask_b32_e32 v21, v21, v22, vcc
	v_cndmask_b32_e32 v22, v23, v24, vcc
	v_lshlrev_b32_e32 v23, 16, v16
	v_mov_b32_e32 v24, 0x3b800000
	v_lshlrev_b32_e32 v21, 20, v21
	v_and_b32_e32 v23, 0x80000000, v23
	v_lshl_add_u32 v22, v22, 23, v24
	v_or3_b32 v21, v23, v22, v21
.LBB1_3084:
	s_or_b64 exec, exec, s[6:7]
	v_lshrrev_b32_e32 v22, 8, v12
	s_movk_i32 s4, 0x7f
	v_cmp_gt_i16_sdwa s[6:7], v22, s4 src0_sel:BYTE_0 src1_sel:DWORD
	s_mov_b64 s[4:5], 0
                                        ; implicit-def: $sgpr10
	s_and_saveexec_b64 s[8:9], s[6:7]
	s_xor_b64 s[6:7], exec, s[8:9]
	s_cbranch_execz .LBB1_3085
; %bb.16927:
	s_getpc_b64 s[14:15]
.Lpost_getpc4367:
	s_add_u32 s14, s14, (.LBB1_7181-.Lpost_getpc4367)&4294967295
	s_addc_u32 s15, s15, (.LBB1_7181-.Lpost_getpc4367)>>32
	s_setpc_b64 s[14:15]
.LBB1_3085:
	s_or_saveexec_b64 s[6:7], s[6:7]
	v_mov_b32_e32 v23, s10
	s_xor_b64 exec, exec, s[6:7]
	s_cbranch_execz .LBB1_3086
; %bb.16929:
	s_getpc_b64 s[14:15]
.Lpost_getpc4368:
	s_add_u32 s14, s14, (.LBB1_7184-.Lpost_getpc4368)&4294967295
	s_addc_u32 s15, s15, (.LBB1_7184-.Lpost_getpc4368)>>32
	s_setpc_b64 s[14:15]
.LBB1_3086:
	s_or_b64 exec, exec, s[6:7]
	s_and_saveexec_b64 s[6:7], s[4:5]
	s_cbranch_execz .LBB1_3088
.LBB1_3087:
	v_bfe_u32 v23, v12, 8, 2
	v_ffbh_u32_e32 v25, v23
	v_min_u32_e32 v25, 32, v25
	v_lshrrev_b16_e32 v24, 2, v22
	v_subrev_u32_e32 v26, 29, v25
	v_and_b32_e32 v24, 31, v24
	v_lshlrev_b32_e32 v22, v26, v22
	v_sub_u32_e32 v25, 30, v25
	v_and_b32_e32 v22, 3, v22
	v_cmp_eq_u16_e32 vcc, 0, v24
	v_cndmask_b32_e32 v22, v23, v22, vcc
	v_cndmask_b32_e32 v23, v24, v25, vcc
	v_lshlrev_b32_e32 v24, 16, v12
	v_mov_b32_e32 v25, 0x37800000
	v_lshlrev_b32_e32 v22, 21, v22
	v_and_b32_e32 v24, 0x80000000, v24
	v_lshl_add_u32 v23, v23, 23, v25
	v_or3_b32 v23, v24, v23, v22
.LBB1_3088:
	s_or_b64 exec, exec, s[6:7]
	s_nop 0
	v_mfma_f32_16x16x4f32 a[0:3], v21, v23, a[0:3]
	s_movk_i32 s4, 0xff
	v_and_b32_sdwa v22, v16, s4 dst_sel:DWORD dst_unused:UNUSED_PAD src0_sel:WORD_1 src1_sel:DWORD
	s_movk_i32 s4, 0x7f
	v_cmp_lt_i16_e32 vcc, s4, v22
	s_mov_b64 s[4:5], 0
                                        ; implicit-def: $sgpr10
	s_and_saveexec_b64 s[6:7], vcc
	s_xor_b64 s[6:7], exec, s[6:7]
	s_cbranch_execz .LBB1_3089
; %bb.16931:
	s_getpc_b64 s[14:15]
.Lpost_getpc4369:
	s_add_u32 s14, s14, (.LBB1_7185-.Lpost_getpc4369)&4294967295
	s_addc_u32 s15, s15, (.LBB1_7185-.Lpost_getpc4369)>>32
	s_setpc_b64 s[14:15]
.LBB1_3089:
	s_or_saveexec_b64 s[6:7], s[6:7]
	v_mov_b32_e32 v21, s10
	s_xor_b64 exec, exec, s[6:7]
	s_cbranch_execz .LBB1_3090
; %bb.16933:
	s_getpc_b64 s[14:15]
.Lpost_getpc4370:
	s_add_u32 s14, s14, (.LBB1_7188-.Lpost_getpc4370)&4294967295
	s_addc_u32 s15, s15, (.LBB1_7188-.Lpost_getpc4370)>>32
	s_setpc_b64 s[14:15]
.LBB1_3090:
	s_or_b64 exec, exec, s[6:7]
	s_and_saveexec_b64 s[6:7], s[4:5]
	s_cbranch_execz .LBB1_3092
.LBB1_3091:
	v_bfe_u32 v21, v16, 16, 3
	v_ffbh_u32_e32 v24, v21
	v_min_u32_e32 v24, 32, v24
	v_lshrrev_b32_e32 v22, 19, v16
	v_subrev_u32_e32 v25, 28, v24
	v_and_b32_e32 v22, 15, v22
	v_lshlrev_b32_sdwa v25, v25, v16 dst_sel:DWORD dst_unused:UNUSED_PAD src0_sel:DWORD src1_sel:WORD_1
	v_bfe_u32 v23, v16, 19, 4
	v_sub_u32_e32 v24, 29, v24
	v_and_b32_e32 v25, 7, v25
	v_cmp_eq_u16_e32 vcc, 0, v22
	v_cndmask_b32_e32 v21, v21, v25, vcc
	v_cndmask_b32_e32 v22, v23, v24, vcc
	v_lshlrev_b32_e32 v23, 8, v16
	v_mov_b32_e32 v24, 0x3b800000
	v_lshlrev_b32_e32 v21, 20, v21
	v_and_b32_e32 v23, 0x80000000, v23
	v_lshl_add_u32 v22, v22, 23, v24
	v_or3_b32 v21, v23, v22, v21
.LBB1_3092:
	s_or_b64 exec, exec, s[6:7]
	s_movk_i32 s4, 0xff
	v_and_b32_sdwa v22, v12, s4 dst_sel:DWORD dst_unused:UNUSED_PAD src0_sel:WORD_1 src1_sel:DWORD
	s_movk_i32 s4, 0x7f
	v_cmp_lt_i16_e32 vcc, s4, v22
	s_mov_b64 s[4:5], 0
                                        ; implicit-def: $sgpr10
	s_and_saveexec_b64 s[6:7], vcc
	s_xor_b64 s[6:7], exec, s[6:7]
	s_cbranch_execz .LBB1_3093
; %bb.16935:
	s_getpc_b64 s[14:15]
.Lpost_getpc4371:
	s_add_u32 s14, s14, (.LBB1_7189-.Lpost_getpc4371)&4294967295
	s_addc_u32 s15, s15, (.LBB1_7189-.Lpost_getpc4371)>>32
	s_setpc_b64 s[14:15]
.LBB1_3093:
	s_or_saveexec_b64 s[6:7], s[6:7]
	v_mov_b32_e32 v23, s10
	s_xor_b64 exec, exec, s[6:7]
	s_cbranch_execz .LBB1_3094
; %bb.16937:
	s_getpc_b64 s[14:15]
.Lpost_getpc4372:
	s_add_u32 s14, s14, (.LBB1_7192-.Lpost_getpc4372)&4294967295
	s_addc_u32 s15, s15, (.LBB1_7192-.Lpost_getpc4372)>>32
	s_setpc_b64 s[14:15]
.LBB1_3094:
	s_or_b64 exec, exec, s[6:7]
	s_and_saveexec_b64 s[6:7], s[4:5]
	s_cbranch_execz .LBB1_3096
.LBB1_3095:
	v_bfe_u32 v22, v12, 16, 2
	v_ffbh_u32_e32 v25, v22
	v_min_u32_e32 v25, 32, v25
	v_lshrrev_b32_e32 v23, 18, v12
	v_subrev_u32_e32 v26, 29, v25
	v_and_b32_e32 v23, 31, v23
	v_lshlrev_b32_sdwa v26, v26, v12 dst_sel:DWORD dst_unused:UNUSED_PAD src0_sel:DWORD src1_sel:WORD_1
	v_bfe_u32 v24, v12, 18, 5
	v_sub_u32_e32 v25, 30, v25
	v_and_b32_e32 v26, 3, v26
	v_cmp_eq_u16_e32 vcc, 0, v23
	v_cndmask_b32_e32 v22, v22, v26, vcc
	v_cndmask_b32_e32 v23, v24, v25, vcc
	v_lshlrev_b32_e32 v24, 8, v12
	v_mov_b32_e32 v25, 0x37800000
	v_lshlrev_b32_e32 v22, 21, v22
	v_and_b32_e32 v24, 0x80000000, v24
	v_lshl_add_u32 v23, v23, 23, v25
	v_or3_b32 v23, v24, v23, v22
.LBB1_3096:
	s_or_b64 exec, exec, s[6:7]
	s_nop 0
	v_mfma_f32_16x16x4f32 a[0:3], v21, v23, a[0:3]
	s_movk_i32 s4, 0x7f
	v_cmp_gt_i16_sdwa s[6:7], v16, s4 src0_sel:BYTE_3 src1_sel:DWORD
	s_mov_b64 s[4:5], 0
                                        ; implicit-def: $sgpr10
	s_and_saveexec_b64 s[8:9], s[6:7]
	s_xor_b64 s[6:7], exec, s[8:9]
	s_cbranch_execz .LBB1_3097
; %bb.16939:
	s_getpc_b64 s[14:15]
.Lpost_getpc4373:
	s_add_u32 s14, s14, (.LBB1_7193-.Lpost_getpc4373)&4294967295
	s_addc_u32 s15, s15, (.LBB1_7193-.Lpost_getpc4373)>>32
	s_setpc_b64 s[14:15]
.LBB1_3097:
	s_or_saveexec_b64 s[6:7], s[6:7]
	v_mov_b32_e32 v21, s10
	s_xor_b64 exec, exec, s[6:7]
	s_cbranch_execz .LBB1_3098
; %bb.16941:
	s_getpc_b64 s[14:15]
.Lpost_getpc4374:
	s_add_u32 s14, s14, (.LBB1_7196-.Lpost_getpc4374)&4294967295
	s_addc_u32 s15, s15, (.LBB1_7196-.Lpost_getpc4374)>>32
	s_setpc_b64 s[14:15]
.LBB1_3098:
	s_or_b64 exec, exec, s[6:7]
	s_and_saveexec_b64 s[6:7], s[4:5]
	s_cbranch_execz .LBB1_3100
.LBB1_3099:
	v_bfe_u32 v21, v16, 24, 3
	v_ffbh_u32_e32 v25, v21
	v_min_u32_e32 v25, 32, v25
	v_lshrrev_b32_e32 v23, 27, v16
	v_subrev_u32_e32 v26, 28, v25
	v_and_b32_e32 v22, 0x80000000, v16
	v_and_b32_e32 v23, 15, v23
	v_bfe_u32 v24, v16, 27, 4
	v_lshlrev_b32_sdwa v16, v26, v16 dst_sel:DWORD dst_unused:UNUSED_PAD src0_sel:DWORD src1_sel:BYTE_3
	v_sub_u32_e32 v25, 29, v25
	v_and_b32_e32 v16, 7, v16
	v_cmp_eq_u16_e32 vcc, 0, v23
	v_cndmask_b32_e32 v16, v21, v16, vcc
	v_cndmask_b32_e32 v21, v24, v25, vcc
	v_mov_b32_e32 v23, 0x3b800000
	v_lshlrev_b32_e32 v16, 20, v16
	v_lshl_add_u32 v21, v21, 23, v23
	v_or3_b32 v21, v22, v21, v16
.LBB1_3100:
	s_or_b64 exec, exec, s[6:7]
	s_movk_i32 s4, 0x7f
	v_cmp_gt_i16_sdwa s[6:7], v12, s4 src0_sel:BYTE_3 src1_sel:DWORD
	s_mov_b64 s[4:5], 0
                                        ; implicit-def: $sgpr10
	s_and_saveexec_b64 s[8:9], s[6:7]
	s_xor_b64 s[6:7], exec, s[8:9]
	s_cbranch_execz .LBB1_3101
; %bb.16943:
	s_getpc_b64 s[14:15]
.Lpost_getpc4375:
	s_add_u32 s14, s14, (.LBB1_7197-.Lpost_getpc4375)&4294967295
	s_addc_u32 s15, s15, (.LBB1_7197-.Lpost_getpc4375)>>32
	s_setpc_b64 s[14:15]
.LBB1_3101:
	s_or_saveexec_b64 s[6:7], s[6:7]
	v_mov_b32_e32 v16, s10
	s_xor_b64 exec, exec, s[6:7]
	s_cbranch_execz .LBB1_3102
; %bb.16945:
	s_getpc_b64 s[14:15]
.Lpost_getpc4376:
	s_add_u32 s14, s14, (.LBB1_7200-.Lpost_getpc4376)&4294967295
	s_addc_u32 s15, s15, (.LBB1_7200-.Lpost_getpc4376)>>32
	s_setpc_b64 s[14:15]
.LBB1_3102:
	s_or_b64 exec, exec, s[6:7]
	s_and_saveexec_b64 s[6:7], s[4:5]
	s_cbranch_execz .LBB1_3104
.LBB1_3103:
	v_bfe_u32 v16, v12, 24, 2
	v_ffbh_u32_e32 v25, v16
	v_min_u32_e32 v25, 32, v25
	v_lshrrev_b32_e32 v23, 26, v12
	v_subrev_u32_e32 v26, 29, v25
	v_and_b32_e32 v22, 0x80000000, v12
	v_and_b32_e32 v23, 31, v23
	v_bfe_u32 v24, v12, 26, 5
	v_lshlrev_b32_sdwa v12, v26, v12 dst_sel:DWORD dst_unused:UNUSED_PAD src0_sel:DWORD src1_sel:BYTE_3
	v_sub_u32_e32 v25, 30, v25
	v_and_b32_e32 v12, 3, v12
	v_cmp_eq_u16_e32 vcc, 0, v23
	v_cndmask_b32_e32 v12, v16, v12, vcc
	v_cndmask_b32_e32 v16, v24, v25, vcc
	v_mov_b32_e32 v23, 0x37800000
	v_lshlrev_b32_e32 v12, 21, v12
	v_lshl_add_u32 v16, v16, 23, v23
	v_or3_b32 v16, v22, v16, v12
.LBB1_3104:
	s_or_b64 exec, exec, s[6:7]
	s_nop 0
	v_mfma_f32_16x16x4f32 a[0:3], v21, v16, a[0:3]
	s_movk_i32 s4, 0x7f
	v_cmp_gt_i16_sdwa s[6:7], v17, s4 src0_sel:BYTE_0 src1_sel:DWORD
	s_mov_b64 s[4:5], 0
                                        ; implicit-def: $sgpr10
	s_and_saveexec_b64 s[8:9], s[6:7]
	s_xor_b64 s[6:7], exec, s[8:9]
	s_cbranch_execz .LBB1_3105
; %bb.16947:
	s_getpc_b64 s[14:15]
.Lpost_getpc4377:
	s_add_u32 s14, s14, (.LBB1_7201-.Lpost_getpc4377)&4294967295
	s_addc_u32 s15, s15, (.LBB1_7201-.Lpost_getpc4377)>>32
	s_setpc_b64 s[14:15]
.LBB1_3105:
	s_or_saveexec_b64 s[6:7], s[6:7]
	v_mov_b32_e32 v12, s10
	s_xor_b64 exec, exec, s[6:7]
	s_cbranch_execz .LBB1_3106
; %bb.16949:
	s_getpc_b64 s[14:15]
.Lpost_getpc4378:
	s_add_u32 s14, s14, (.LBB1_7204-.Lpost_getpc4378)&4294967295
	s_addc_u32 s15, s15, (.LBB1_7204-.Lpost_getpc4378)>>32
	s_setpc_b64 s[14:15]
.LBB1_3106:
	s_or_b64 exec, exec, s[6:7]
	s_and_saveexec_b64 s[6:7], s[4:5]
	s_cbranch_execz .LBB1_3108
.LBB1_3107:
	v_and_b32_e32 v12, 7, v17
	v_ffbh_u32_e32 v21, v12
	v_min_u32_e32 v21, 32, v21
	v_lshrrev_b16_e32 v16, 3, v17
	v_subrev_u32_e32 v22, 28, v21
	v_and_b32_e32 v16, 15, v16
	v_lshlrev_b32_e32 v22, v22, v17
	v_sub_u32_e32 v21, 29, v21
	v_and_b32_e32 v22, 7, v22
	v_cmp_eq_u16_e32 vcc, 0, v16
	v_cndmask_b32_e32 v12, v12, v22, vcc
	v_cndmask_b32_e32 v16, v16, v21, vcc
	v_lshlrev_b32_e32 v21, 24, v17
	v_mov_b32_e32 v22, 0x3b800000
	v_lshlrev_b32_e32 v12, 20, v12
	v_and_b32_e32 v21, 0x80000000, v21
	v_lshl_add_u32 v16, v16, 23, v22
	v_or3_b32 v12, v21, v16, v12
.LBB1_3108:
	s_or_b64 exec, exec, s[6:7]
	s_movk_i32 s4, 0x7f
	v_cmp_gt_i16_sdwa s[6:7], v13, s4 src0_sel:BYTE_0 src1_sel:DWORD
	s_mov_b64 s[4:5], 0
                                        ; implicit-def: $sgpr10
	s_and_saveexec_b64 s[8:9], s[6:7]
	s_xor_b64 s[6:7], exec, s[8:9]
	s_cbranch_execz .LBB1_3109
; %bb.16951:
	s_getpc_b64 s[14:15]
.Lpost_getpc4379:
	s_add_u32 s14, s14, (.LBB1_7205-.Lpost_getpc4379)&4294967295
	s_addc_u32 s15, s15, (.LBB1_7205-.Lpost_getpc4379)>>32
	s_setpc_b64 s[14:15]
.LBB1_3109:
	s_or_saveexec_b64 s[6:7], s[6:7]
	v_mov_b32_e32 v16, s10
	s_xor_b64 exec, exec, s[6:7]
	s_cbranch_execz .LBB1_3110
; %bb.16953:
	s_getpc_b64 s[14:15]
.Lpost_getpc4380:
	s_add_u32 s14, s14, (.LBB1_7208-.Lpost_getpc4380)&4294967295
	s_addc_u32 s15, s15, (.LBB1_7208-.Lpost_getpc4380)>>32
	s_setpc_b64 s[14:15]
.LBB1_3110:
	s_or_b64 exec, exec, s[6:7]
	s_and_saveexec_b64 s[6:7], s[4:5]
	s_cbranch_execz .LBB1_3112
.LBB1_3111:
	v_and_b32_e32 v16, 3, v13
	v_ffbh_u32_e32 v22, v16
	v_min_u32_e32 v22, 32, v22
	v_lshrrev_b16_e32 v21, 2, v13
	v_subrev_u32_e32 v23, 29, v22
	v_and_b32_e32 v21, 31, v21
	v_lshlrev_b32_e32 v23, v23, v13
	v_sub_u32_e32 v22, 30, v22
	v_and_b32_e32 v23, 3, v23
	v_cmp_eq_u16_e32 vcc, 0, v21
	v_cndmask_b32_e32 v16, v16, v23, vcc
	v_cndmask_b32_e32 v21, v21, v22, vcc
	v_lshlrev_b32_e32 v22, 24, v13
	v_mov_b32_e32 v23, 0x37800000
	v_lshlrev_b32_e32 v16, 21, v16
	v_and_b32_e32 v22, 0x80000000, v22
	v_lshl_add_u32 v21, v21, 23, v23
	v_or3_b32 v16, v22, v21, v16
.LBB1_3112:
	s_or_b64 exec, exec, s[6:7]
	s_nop 0
	v_mfma_f32_16x16x4f32 a[0:3], v12, v16, a[0:3]
	v_lshrrev_b32_e32 v16, 8, v17
	s_movk_i32 s4, 0x7f
	v_cmp_gt_i16_sdwa s[6:7], v16, s4 src0_sel:BYTE_0 src1_sel:DWORD
	s_mov_b64 s[4:5], 0
                                        ; implicit-def: $sgpr10
	s_and_saveexec_b64 s[8:9], s[6:7]
	s_xor_b64 s[6:7], exec, s[8:9]
	s_cbranch_execz .LBB1_3113
; %bb.16955:
	s_getpc_b64 s[14:15]
.Lpost_getpc4381:
	s_add_u32 s14, s14, (.LBB1_7209-.Lpost_getpc4381)&4294967295
	s_addc_u32 s15, s15, (.LBB1_7209-.Lpost_getpc4381)>>32
	s_setpc_b64 s[14:15]
.LBB1_3113:
	s_or_saveexec_b64 s[6:7], s[6:7]
	v_mov_b32_e32 v12, s10
	s_xor_b64 exec, exec, s[6:7]
	s_cbranch_execz .LBB1_3114
; %bb.16957:
	s_getpc_b64 s[14:15]
.Lpost_getpc4382:
	s_add_u32 s14, s14, (.LBB1_7212-.Lpost_getpc4382)&4294967295
	s_addc_u32 s15, s15, (.LBB1_7212-.Lpost_getpc4382)>>32
	s_setpc_b64 s[14:15]
.LBB1_3114:
	s_or_b64 exec, exec, s[6:7]
	s_and_saveexec_b64 s[6:7], s[4:5]
	s_cbranch_execz .LBB1_3116
.LBB1_3115:
	v_bfe_u32 v12, v17, 8, 3
	v_ffbh_u32_e32 v22, v12
	v_min_u32_e32 v22, 32, v22
	v_lshrrev_b16_e32 v21, 3, v16
	v_subrev_u32_e32 v23, 28, v22
	v_and_b32_e32 v21, 15, v21
	v_lshlrev_b32_e32 v16, v23, v16
	v_sub_u32_e32 v22, 29, v22
	v_and_b32_e32 v16, 7, v16
	v_cmp_eq_u16_e32 vcc, 0, v21
	v_cndmask_b32_e32 v12, v12, v16, vcc
	v_cndmask_b32_e32 v16, v21, v22, vcc
	v_lshlrev_b32_e32 v21, 16, v17
	v_mov_b32_e32 v22, 0x3b800000
	v_lshlrev_b32_e32 v12, 20, v12
	v_and_b32_e32 v21, 0x80000000, v21
	v_lshl_add_u32 v16, v16, 23, v22
	v_or3_b32 v12, v21, v16, v12
.LBB1_3116:
	s_or_b64 exec, exec, s[6:7]
	v_lshrrev_b32_e32 v16, 8, v13
	s_movk_i32 s4, 0x7f
	v_cmp_gt_i16_sdwa s[6:7], v16, s4 src0_sel:BYTE_0 src1_sel:DWORD
	s_mov_b64 s[4:5], 0
                                        ; implicit-def: $sgpr10
	s_and_saveexec_b64 s[8:9], s[6:7]
	s_xor_b64 s[6:7], exec, s[8:9]
	s_cbranch_execz .LBB1_3117
; %bb.16959:
	s_getpc_b64 s[14:15]
.Lpost_getpc4383:
	s_add_u32 s14, s14, (.LBB1_7213-.Lpost_getpc4383)&4294967295
	s_addc_u32 s15, s15, (.LBB1_7213-.Lpost_getpc4383)>>32
	s_setpc_b64 s[14:15]
.LBB1_3117:
	s_or_saveexec_b64 s[6:7], s[6:7]
	v_mov_b32_e32 v21, s10
	s_xor_b64 exec, exec, s[6:7]
	s_cbranch_execz .LBB1_3118
; %bb.16961:
	s_getpc_b64 s[14:15]
.Lpost_getpc4384:
	s_add_u32 s14, s14, (.LBB1_7216-.Lpost_getpc4384)&4294967295
	s_addc_u32 s15, s15, (.LBB1_7216-.Lpost_getpc4384)>>32
	s_setpc_b64 s[14:15]
.LBB1_3118:
	s_or_b64 exec, exec, s[6:7]
	s_and_saveexec_b64 s[6:7], s[4:5]
	s_cbranch_execz .LBB1_3120
.LBB1_3119:
	v_bfe_u32 v21, v13, 8, 2
	v_ffbh_u32_e32 v23, v21
	v_min_u32_e32 v23, 32, v23
	v_lshrrev_b16_e32 v22, 2, v16
	v_subrev_u32_e32 v24, 29, v23
	v_and_b32_e32 v22, 31, v22
	v_lshlrev_b32_e32 v16, v24, v16
	v_sub_u32_e32 v23, 30, v23
	v_and_b32_e32 v16, 3, v16
	v_cmp_eq_u16_e32 vcc, 0, v22
	v_cndmask_b32_e32 v16, v21, v16, vcc
	v_cndmask_b32_e32 v21, v22, v23, vcc
	v_lshlrev_b32_e32 v22, 16, v13
	v_mov_b32_e32 v23, 0x37800000
	v_lshlrev_b32_e32 v16, 21, v16
	v_and_b32_e32 v22, 0x80000000, v22
	v_lshl_add_u32 v21, v21, 23, v23
	v_or3_b32 v21, v22, v21, v16
.LBB1_3120:
	s_or_b64 exec, exec, s[6:7]
	s_nop 0
	v_mfma_f32_16x16x4f32 a[0:3], v12, v21, a[0:3]
	s_movk_i32 s4, 0xff
	v_and_b32_sdwa v16, v17, s4 dst_sel:DWORD dst_unused:UNUSED_PAD src0_sel:WORD_1 src1_sel:DWORD
	s_movk_i32 s4, 0x7f
	v_cmp_lt_i16_e32 vcc, s4, v16
	s_mov_b64 s[4:5], 0
                                        ; implicit-def: $sgpr10
	s_and_saveexec_b64 s[6:7], vcc
	s_xor_b64 s[6:7], exec, s[6:7]
	s_cbranch_execz .LBB1_3121
; %bb.16963:
	s_getpc_b64 s[14:15]
.Lpost_getpc4385:
	s_add_u32 s14, s14, (.LBB1_7217-.Lpost_getpc4385)&4294967295
	s_addc_u32 s15, s15, (.LBB1_7217-.Lpost_getpc4385)>>32
	s_setpc_b64 s[14:15]
.LBB1_3121:
	s_or_saveexec_b64 s[6:7], s[6:7]
	v_mov_b32_e32 v12, s10
	s_xor_b64 exec, exec, s[6:7]
	s_cbranch_execz .LBB1_3122
; %bb.16965:
	s_getpc_b64 s[14:15]
.Lpost_getpc4386:
	s_add_u32 s14, s14, (.LBB1_7220-.Lpost_getpc4386)&4294967295
	s_addc_u32 s15, s15, (.LBB1_7220-.Lpost_getpc4386)>>32
	s_setpc_b64 s[14:15]
.LBB1_3122:
	s_or_b64 exec, exec, s[6:7]
	s_and_saveexec_b64 s[6:7], s[4:5]
	s_cbranch_execz .LBB1_3124
.LBB1_3123:
	v_bfe_u32 v12, v17, 16, 3
	v_ffbh_u32_e32 v22, v12
	v_min_u32_e32 v22, 32, v22
	v_lshrrev_b32_e32 v16, 19, v17
	v_subrev_u32_e32 v23, 28, v22
	v_and_b32_e32 v16, 15, v16
	v_lshlrev_b32_sdwa v23, v23, v17 dst_sel:DWORD dst_unused:UNUSED_PAD src0_sel:DWORD src1_sel:WORD_1
	v_bfe_u32 v21, v17, 19, 4
	v_sub_u32_e32 v22, 29, v22
	v_and_b32_e32 v23, 7, v23
	v_cmp_eq_u16_e32 vcc, 0, v16
	v_cndmask_b32_e32 v12, v12, v23, vcc
	v_cndmask_b32_e32 v16, v21, v22, vcc
	v_lshlrev_b32_e32 v21, 8, v17
	v_mov_b32_e32 v22, 0x3b800000
	v_lshlrev_b32_e32 v12, 20, v12
	v_and_b32_e32 v21, 0x80000000, v21
	v_lshl_add_u32 v16, v16, 23, v22
	v_or3_b32 v12, v21, v16, v12
.LBB1_3124:
	s_or_b64 exec, exec, s[6:7]
	s_movk_i32 s4, 0xff
	v_and_b32_sdwa v16, v13, s4 dst_sel:DWORD dst_unused:UNUSED_PAD src0_sel:WORD_1 src1_sel:DWORD
	s_movk_i32 s4, 0x7f
	v_cmp_lt_i16_e32 vcc, s4, v16
	s_mov_b64 s[4:5], 0
                                        ; implicit-def: $sgpr10
	s_and_saveexec_b64 s[6:7], vcc
	s_xor_b64 s[6:7], exec, s[6:7]
	s_cbranch_execz .LBB1_3125
; %bb.16967:
	s_getpc_b64 s[14:15]
.Lpost_getpc4387:
	s_add_u32 s14, s14, (.LBB1_7221-.Lpost_getpc4387)&4294967295
	s_addc_u32 s15, s15, (.LBB1_7221-.Lpost_getpc4387)>>32
	s_setpc_b64 s[14:15]
.LBB1_3125:
	s_or_saveexec_b64 s[6:7], s[6:7]
	v_mov_b32_e32 v21, s10
	s_xor_b64 exec, exec, s[6:7]
	s_cbranch_execz .LBB1_3126
; %bb.16969:
	s_getpc_b64 s[14:15]
.Lpost_getpc4388:
	s_add_u32 s14, s14, (.LBB1_7224-.Lpost_getpc4388)&4294967295
	s_addc_u32 s15, s15, (.LBB1_7224-.Lpost_getpc4388)>>32
	s_setpc_b64 s[14:15]
.LBB1_3126:
	s_or_b64 exec, exec, s[6:7]
	s_and_saveexec_b64 s[6:7], s[4:5]
	s_cbranch_execz .LBB1_3128
.LBB1_3127:
	v_bfe_u32 v16, v13, 16, 2
	v_ffbh_u32_e32 v23, v16
	v_min_u32_e32 v23, 32, v23
	v_lshrrev_b32_e32 v21, 18, v13
	v_subrev_u32_e32 v24, 29, v23
	v_and_b32_e32 v21, 31, v21
	v_lshlrev_b32_sdwa v24, v24, v13 dst_sel:DWORD dst_unused:UNUSED_PAD src0_sel:DWORD src1_sel:WORD_1
	v_bfe_u32 v22, v13, 18, 5
	v_sub_u32_e32 v23, 30, v23
	v_and_b32_e32 v24, 3, v24
	v_cmp_eq_u16_e32 vcc, 0, v21
	v_cndmask_b32_e32 v16, v16, v24, vcc
	v_cndmask_b32_e32 v21, v22, v23, vcc
	v_lshlrev_b32_e32 v22, 8, v13
	v_mov_b32_e32 v23, 0x37800000
	v_lshlrev_b32_e32 v16, 21, v16
	v_and_b32_e32 v22, 0x80000000, v22
	v_lshl_add_u32 v21, v21, 23, v23
	v_or3_b32 v21, v22, v21, v16
.LBB1_3128:
	s_or_b64 exec, exec, s[6:7]
	s_nop 0
	v_mfma_f32_16x16x4f32 a[0:3], v12, v21, a[0:3]
	s_movk_i32 s4, 0x7f
	v_cmp_gt_i16_sdwa s[6:7], v17, s4 src0_sel:BYTE_3 src1_sel:DWORD
	s_mov_b64 s[4:5], 0
                                        ; implicit-def: $sgpr10
	s_and_saveexec_b64 s[8:9], s[6:7]
	s_xor_b64 s[6:7], exec, s[8:9]
	s_cbranch_execz .LBB1_3129
; %bb.16971:
	s_getpc_b64 s[14:15]
.Lpost_getpc4389:
	s_add_u32 s14, s14, (.LBB1_7225-.Lpost_getpc4389)&4294967295
	s_addc_u32 s15, s15, (.LBB1_7225-.Lpost_getpc4389)>>32
	s_setpc_b64 s[14:15]
.LBB1_3129:
	s_or_saveexec_b64 s[6:7], s[6:7]
	v_mov_b32_e32 v12, s10
	s_xor_b64 exec, exec, s[6:7]
	s_cbranch_execz .LBB1_3130
; %bb.16973:
	s_getpc_b64 s[14:15]
.Lpost_getpc4390:
	s_add_u32 s14, s14, (.LBB1_7228-.Lpost_getpc4390)&4294967295
	s_addc_u32 s15, s15, (.LBB1_7228-.Lpost_getpc4390)>>32
	s_setpc_b64 s[14:15]
.LBB1_3130:
	s_or_b64 exec, exec, s[6:7]
	s_and_saveexec_b64 s[6:7], s[4:5]
	s_cbranch_execz .LBB1_3132
.LBB1_3131:
	v_bfe_u32 v12, v17, 24, 3
	v_ffbh_u32_e32 v23, v12
	v_min_u32_e32 v23, 32, v23
	v_lshrrev_b32_e32 v21, 27, v17
	v_subrev_u32_e32 v24, 28, v23
	v_and_b32_e32 v16, 0x80000000, v17
	v_and_b32_e32 v21, 15, v21
	v_bfe_u32 v22, v17, 27, 4
	v_lshlrev_b32_sdwa v17, v24, v17 dst_sel:DWORD dst_unused:UNUSED_PAD src0_sel:DWORD src1_sel:BYTE_3
	v_sub_u32_e32 v23, 29, v23
	v_and_b32_e32 v17, 7, v17
	v_cmp_eq_u16_e32 vcc, 0, v21
	v_cndmask_b32_e32 v12, v12, v17, vcc
	v_cndmask_b32_e32 v17, v22, v23, vcc
	v_mov_b32_e32 v21, 0x3b800000
	v_lshlrev_b32_e32 v12, 20, v12
	v_lshl_add_u32 v17, v17, 23, v21
	v_or3_b32 v12, v16, v17, v12
.LBB1_3132:
	s_or_b64 exec, exec, s[6:7]
	s_movk_i32 s4, 0x7f
	v_cmp_gt_i16_sdwa s[6:7], v13, s4 src0_sel:BYTE_3 src1_sel:DWORD
	s_mov_b64 s[4:5], 0
                                        ; implicit-def: $sgpr10
	s_and_saveexec_b64 s[8:9], s[6:7]
	s_xor_b64 s[6:7], exec, s[8:9]
	s_cbranch_execz .LBB1_3133
; %bb.16975:
	s_getpc_b64 s[14:15]
.Lpost_getpc4391:
	s_add_u32 s14, s14, (.LBB1_7229-.Lpost_getpc4391)&4294967295
	s_addc_u32 s15, s15, (.LBB1_7229-.Lpost_getpc4391)>>32
	s_setpc_b64 s[14:15]
.LBB1_3133:
	s_or_saveexec_b64 s[6:7], s[6:7]
	v_mov_b32_e32 v16, s10
	s_xor_b64 exec, exec, s[6:7]
	s_cbranch_execz .LBB1_3134
; %bb.16977:
	s_getpc_b64 s[14:15]
.Lpost_getpc4392:
	s_add_u32 s14, s14, (.LBB1_7232-.Lpost_getpc4392)&4294967295
	s_addc_u32 s15, s15, (.LBB1_7232-.Lpost_getpc4392)>>32
	s_setpc_b64 s[14:15]
.LBB1_3134:
	s_or_b64 exec, exec, s[6:7]
	s_and_saveexec_b64 s[6:7], s[4:5]
	s_cbranch_execz .LBB1_3136
.LBB1_3135:
	v_bfe_u32 v16, v13, 24, 2
	v_ffbh_u32_e32 v23, v16
	v_min_u32_e32 v23, 32, v23
	v_lshrrev_b32_e32 v21, 26, v13
	v_subrev_u32_e32 v24, 29, v23
	v_and_b32_e32 v17, 0x80000000, v13
	v_and_b32_e32 v21, 31, v21
	v_bfe_u32 v22, v13, 26, 5
	v_lshlrev_b32_sdwa v13, v24, v13 dst_sel:DWORD dst_unused:UNUSED_PAD src0_sel:DWORD src1_sel:BYTE_3
	v_sub_u32_e32 v23, 30, v23
	v_and_b32_e32 v13, 3, v13
	v_cmp_eq_u16_e32 vcc, 0, v21
	v_cndmask_b32_e32 v13, v16, v13, vcc
	v_cndmask_b32_e32 v16, v22, v23, vcc
	v_mov_b32_e32 v21, 0x37800000
	v_lshlrev_b32_e32 v13, 21, v13
	v_lshl_add_u32 v16, v16, 23, v21
	v_or3_b32 v16, v17, v16, v13
.LBB1_3136:
	s_or_b64 exec, exec, s[6:7]
	s_nop 0
	v_mfma_f32_16x16x4f32 a[0:3], v12, v16, a[0:3]
	s_movk_i32 s4, 0x7f
	v_cmp_gt_i16_sdwa s[6:7], v18, s4 src0_sel:BYTE_0 src1_sel:DWORD
	s_mov_b64 s[4:5], 0
                                        ; implicit-def: $sgpr10
	s_and_saveexec_b64 s[8:9], s[6:7]
	s_xor_b64 s[6:7], exec, s[8:9]
	s_cbranch_execz .LBB1_3137
; %bb.16979:
	s_getpc_b64 s[14:15]
.Lpost_getpc4393:
	s_add_u32 s14, s14, (.LBB1_7233-.Lpost_getpc4393)&4294967295
	s_addc_u32 s15, s15, (.LBB1_7233-.Lpost_getpc4393)>>32
	s_setpc_b64 s[14:15]
.LBB1_3137:
	s_or_saveexec_b64 s[6:7], s[6:7]
	v_mov_b32_e32 v13, s10
	s_xor_b64 exec, exec, s[6:7]
	s_cbranch_execz .LBB1_3138
; %bb.16981:
	s_getpc_b64 s[14:15]
.Lpost_getpc4394:
	s_add_u32 s14, s14, (.LBB1_7236-.Lpost_getpc4394)&4294967295
	s_addc_u32 s15, s15, (.LBB1_7236-.Lpost_getpc4394)>>32
	s_setpc_b64 s[14:15]
.LBB1_3138:
	s_or_b64 exec, exec, s[6:7]
	s_and_saveexec_b64 s[6:7], s[4:5]
	s_cbranch_execz .LBB1_3140
.LBB1_3139:
	v_and_b32_e32 v12, 7, v18
	v_ffbh_u32_e32 v16, v12
	v_min_u32_e32 v16, 32, v16
	v_lshrrev_b16_e32 v13, 3, v18
	v_subrev_u32_e32 v17, 28, v16
	v_and_b32_e32 v13, 15, v13
	v_lshlrev_b32_e32 v17, v17, v18
	v_sub_u32_e32 v16, 29, v16
	v_and_b32_e32 v17, 7, v17
	v_cmp_eq_u16_e32 vcc, 0, v13
	v_cndmask_b32_e32 v12, v12, v17, vcc
	v_cndmask_b32_e32 v13, v13, v16, vcc
	v_lshlrev_b32_e32 v16, 24, v18
	v_mov_b32_e32 v17, 0x3b800000
	v_lshlrev_b32_e32 v12, 20, v12
	v_and_b32_e32 v16, 0x80000000, v16
	v_lshl_add_u32 v13, v13, 23, v17
	v_or3_b32 v13, v16, v13, v12
.LBB1_3140:
	s_or_b64 exec, exec, s[6:7]
	s_movk_i32 s4, 0xff
	v_mov_b32_e32 v12, 8
	v_or_b32_sdwa v16, v14, v20 dst_sel:DWORD dst_unused:UNUSED_PAD src0_sel:BYTE_0 src1_sel:DWORD
	v_lshlrev_b16_sdwa v12, v12, v14 dst_sel:DWORD dst_unused:UNUSED_PAD src0_sel:DWORD src1_sel:BYTE_3
	v_and_b32_sdwa v14, v14, s4 dst_sel:DWORD dst_unused:UNUSED_PAD src0_sel:WORD_1 src1_sel:DWORD
	s_movk_i32 s4, 0x7f
	v_or_b32_sdwa v12, v14, v12 dst_sel:WORD_1 dst_unused:UNUSED_PAD src0_sel:DWORD src1_sel:DWORD
	v_cmp_gt_i16_sdwa s[6:7], v16, s4 src0_sel:BYTE_0 src1_sel:DWORD
	s_mov_b64 s[4:5], 0
                                        ; implicit-def: $sgpr10
	s_and_saveexec_b64 s[8:9], s[6:7]
	s_xor_b64 s[6:7], exec, s[8:9]
	s_cbranch_execz .LBB1_3141
; %bb.16983:
	s_getpc_b64 s[14:15]
.Lpost_getpc4395:
	s_add_u32 s14, s14, (.LBB1_7237-.Lpost_getpc4395)&4294967295
	s_addc_u32 s15, s15, (.LBB1_7237-.Lpost_getpc4395)>>32
	s_setpc_b64 s[14:15]
.LBB1_3141:
	s_or_saveexec_b64 s[6:7], s[6:7]
	v_mov_b32_e32 v14, s10
	s_xor_b64 exec, exec, s[6:7]
	s_cbranch_execz .LBB1_3142
; %bb.16985:
	s_getpc_b64 s[14:15]
.Lpost_getpc4396:
	s_add_u32 s14, s14, (.LBB1_7240-.Lpost_getpc4396)&4294967295
	s_addc_u32 s15, s15, (.LBB1_7240-.Lpost_getpc4396)>>32
	s_setpc_b64 s[14:15]
.LBB1_3142:
	s_or_b64 exec, exec, s[6:7]
	v_or_b32_sdwa v12, v16, v12 dst_sel:DWORD dst_unused:UNUSED_PAD src0_sel:WORD_0 src1_sel:DWORD
	s_and_saveexec_b64 s[6:7], s[4:5]
	s_cbranch_execz .LBB1_3144
.LBB1_3143:
	v_and_b32_e32 v14, 3, v12
	v_ffbh_u32_e32 v17, v14
	v_min_u32_e32 v17, 32, v17
	v_lshrrev_b16_e32 v16, 2, v16
	v_subrev_u32_e32 v20, 29, v17
	v_and_b32_e32 v16, 31, v16
	v_lshlrev_b32_e32 v20, v20, v12
	v_sub_u32_e32 v17, 30, v17
	v_and_b32_e32 v20, 3, v20
	v_cmp_eq_u16_e32 vcc, 0, v16
	v_cndmask_b32_e32 v14, v14, v20, vcc
	v_cndmask_b32_e32 v16, v16, v17, vcc
	v_lshlrev_b32_e32 v17, 24, v12
	v_mov_b32_e32 v20, 0x37800000
	v_lshlrev_b32_e32 v14, 21, v14
	v_and_b32_e32 v17, 0x80000000, v17
	v_lshl_add_u32 v16, v16, 23, v20
	v_or3_b32 v14, v17, v16, v14
.LBB1_3144:
	s_or_b64 exec, exec, s[6:7]
	s_nop 0
	v_mfma_f32_16x16x4f32 a[0:3], v13, v14, a[0:3]
	v_lshrrev_b32_e32 v14, 8, v18
	s_movk_i32 s4, 0x7f
	v_cmp_gt_i16_sdwa s[6:7], v14, s4 src0_sel:BYTE_0 src1_sel:DWORD
	s_mov_b64 s[4:5], 0
                                        ; implicit-def: $sgpr10
	s_and_saveexec_b64 s[8:9], s[6:7]
	s_xor_b64 s[6:7], exec, s[8:9]
	s_cbranch_execz .LBB1_3145
; %bb.16987:
	s_getpc_b64 s[14:15]
.Lpost_getpc4397:
	s_add_u32 s14, s14, (.LBB1_7241-.Lpost_getpc4397)&4294967295
	s_addc_u32 s15, s15, (.LBB1_7241-.Lpost_getpc4397)>>32
	s_setpc_b64 s[14:15]
.LBB1_3145:
	s_or_saveexec_b64 s[6:7], s[6:7]
	v_mov_b32_e32 v13, s10
	s_xor_b64 exec, exec, s[6:7]
	s_cbranch_execz .LBB1_3146
; %bb.16989:
	s_getpc_b64 s[14:15]
.Lpost_getpc4398:
	s_add_u32 s14, s14, (.LBB1_7244-.Lpost_getpc4398)&4294967295
	s_addc_u32 s15, s15, (.LBB1_7244-.Lpost_getpc4398)>>32
	s_setpc_b64 s[14:15]
.LBB1_3146:
	s_or_b64 exec, exec, s[6:7]
	s_and_saveexec_b64 s[6:7], s[4:5]
	s_cbranch_execz .LBB1_3148
.LBB1_3147:
	v_bfe_u32 v13, v18, 8, 3
	v_ffbh_u32_e32 v17, v13
	v_min_u32_e32 v17, 32, v17
	v_lshrrev_b16_e32 v16, 3, v14
	v_subrev_u32_e32 v20, 28, v17
	v_and_b32_e32 v16, 15, v16
	v_lshlrev_b32_e32 v14, v20, v14
	v_sub_u32_e32 v17, 29, v17
	v_and_b32_e32 v14, 7, v14
	v_cmp_eq_u16_e32 vcc, 0, v16
	v_cndmask_b32_e32 v13, v13, v14, vcc
	v_cndmask_b32_e32 v14, v16, v17, vcc
	v_lshlrev_b32_e32 v16, 16, v18
	v_mov_b32_e32 v17, 0x3b800000
	v_lshlrev_b32_e32 v13, 20, v13
	v_and_b32_e32 v16, 0x80000000, v16
	v_lshl_add_u32 v14, v14, 23, v17
	v_or3_b32 v13, v16, v14, v13
.LBB1_3148:
	s_or_b64 exec, exec, s[6:7]
	v_lshrrev_b32_e32 v14, 8, v12
	s_movk_i32 s4, 0x7f
	v_cmp_gt_i16_sdwa s[6:7], v14, s4 src0_sel:BYTE_0 src1_sel:DWORD
	s_mov_b64 s[4:5], 0
                                        ; implicit-def: $sgpr10
	s_and_saveexec_b64 s[8:9], s[6:7]
	s_xor_b64 s[6:7], exec, s[8:9]
	s_cbranch_execz .LBB1_3149
; %bb.16991:
	s_getpc_b64 s[14:15]
.Lpost_getpc4399:
	s_add_u32 s14, s14, (.LBB1_7245-.Lpost_getpc4399)&4294967295
	s_addc_u32 s15, s15, (.LBB1_7245-.Lpost_getpc4399)>>32
	s_setpc_b64 s[14:15]
.LBB1_3149:
	s_or_saveexec_b64 s[6:7], s[6:7]
	v_mov_b32_e32 v16, s10
	s_xor_b64 exec, exec, s[6:7]
	s_cbranch_execz .LBB1_3150
; %bb.16993:
	s_getpc_b64 s[14:15]
.Lpost_getpc4400:
	s_add_u32 s14, s14, (.LBB1_7248-.Lpost_getpc4400)&4294967295
	s_addc_u32 s15, s15, (.LBB1_7248-.Lpost_getpc4400)>>32
	s_setpc_b64 s[14:15]
.LBB1_3150:
	s_or_b64 exec, exec, s[6:7]
	s_and_saveexec_b64 s[6:7], s[4:5]
	s_cbranch_execz .LBB1_3152
.LBB1_3151:
	v_bfe_u32 v16, v12, 8, 2
	v_ffbh_u32_e32 v20, v16
	v_min_u32_e32 v20, 32, v20
	v_lshrrev_b16_e32 v17, 2, v14
	v_subrev_u32_e32 v21, 29, v20
	v_and_b32_e32 v17, 31, v17
	v_lshlrev_b32_e32 v14, v21, v14
	v_sub_u32_e32 v20, 30, v20
	v_and_b32_e32 v14, 3, v14
	v_cmp_eq_u16_e32 vcc, 0, v17
	v_cndmask_b32_e32 v14, v16, v14, vcc
	v_cndmask_b32_e32 v16, v17, v20, vcc
	v_lshlrev_b32_e32 v17, 16, v12
	v_mov_b32_e32 v20, 0x37800000
	v_lshlrev_b32_e32 v14, 21, v14
	v_and_b32_e32 v17, 0x80000000, v17
	v_lshl_add_u32 v16, v16, 23, v20
	v_or3_b32 v16, v17, v16, v14
.LBB1_3152:
	s_or_b64 exec, exec, s[6:7]
	s_nop 0
	v_mfma_f32_16x16x4f32 a[0:3], v13, v16, a[0:3]
	s_movk_i32 s4, 0xff
	v_and_b32_sdwa v14, v18, s4 dst_sel:DWORD dst_unused:UNUSED_PAD src0_sel:WORD_1 src1_sel:DWORD
	s_movk_i32 s4, 0x7f
	v_cmp_lt_i16_e32 vcc, s4, v14
	s_mov_b64 s[4:5], 0
                                        ; implicit-def: $sgpr10
	s_and_saveexec_b64 s[6:7], vcc
	s_xor_b64 s[6:7], exec, s[6:7]
	s_cbranch_execz .LBB1_3153
; %bb.16995:
	s_getpc_b64 s[14:15]
.Lpost_getpc4401:
	s_add_u32 s14, s14, (.LBB1_7249-.Lpost_getpc4401)&4294967295
	s_addc_u32 s15, s15, (.LBB1_7249-.Lpost_getpc4401)>>32
	s_setpc_b64 s[14:15]
.LBB1_3153:
	s_or_saveexec_b64 s[6:7], s[6:7]
	v_mov_b32_e32 v13, s10
	s_xor_b64 exec, exec, s[6:7]
	s_cbranch_execz .LBB1_3154
; %bb.16997:
	s_getpc_b64 s[14:15]
.Lpost_getpc4402:
	s_add_u32 s14, s14, (.LBB1_7252-.Lpost_getpc4402)&4294967295
	s_addc_u32 s15, s15, (.LBB1_7252-.Lpost_getpc4402)>>32
	s_setpc_b64 s[14:15]
.LBB1_3154:
	s_or_b64 exec, exec, s[6:7]
	s_and_saveexec_b64 s[6:7], s[4:5]
	s_cbranch_execz .LBB1_3156
.LBB1_3155:
	v_bfe_u32 v13, v18, 16, 3
	v_ffbh_u32_e32 v17, v13
	v_min_u32_e32 v17, 32, v17
	v_lshrrev_b32_e32 v14, 19, v18
	v_subrev_u32_e32 v20, 28, v17
	v_and_b32_e32 v14, 15, v14
	v_lshlrev_b32_sdwa v20, v20, v18 dst_sel:DWORD dst_unused:UNUSED_PAD src0_sel:DWORD src1_sel:WORD_1
	v_bfe_u32 v16, v18, 19, 4
	v_sub_u32_e32 v17, 29, v17
	v_and_b32_e32 v20, 7, v20
	v_cmp_eq_u16_e32 vcc, 0, v14
	v_cndmask_b32_e32 v13, v13, v20, vcc
	v_cndmask_b32_e32 v14, v16, v17, vcc
	v_lshlrev_b32_e32 v16, 8, v18
	v_mov_b32_e32 v17, 0x3b800000
	v_lshlrev_b32_e32 v13, 20, v13
	v_and_b32_e32 v16, 0x80000000, v16
	v_lshl_add_u32 v14, v14, 23, v17
	v_or3_b32 v13, v16, v14, v13
.LBB1_3156:
	s_or_b64 exec, exec, s[6:7]
	s_movk_i32 s4, 0xff
	v_and_b32_sdwa v14, v12, s4 dst_sel:DWORD dst_unused:UNUSED_PAD src0_sel:WORD_1 src1_sel:DWORD
	s_movk_i32 s4, 0x7f
	v_cmp_lt_i16_e32 vcc, s4, v14
	s_mov_b64 s[4:5], 0
                                        ; implicit-def: $sgpr10
	s_and_saveexec_b64 s[6:7], vcc
	s_xor_b64 s[6:7], exec, s[6:7]
	s_cbranch_execz .LBB1_3157
; %bb.16999:
	s_getpc_b64 s[14:15]
.Lpost_getpc4403:
	s_add_u32 s14, s14, (.LBB1_7253-.Lpost_getpc4403)&4294967295
	s_addc_u32 s15, s15, (.LBB1_7253-.Lpost_getpc4403)>>32
	s_setpc_b64 s[14:15]
.LBB1_3157:
	s_or_saveexec_b64 s[6:7], s[6:7]
	v_mov_b32_e32 v16, s10
	s_xor_b64 exec, exec, s[6:7]
	s_cbranch_execz .LBB1_3158
; %bb.17001:
	s_getpc_b64 s[14:15]
.Lpost_getpc4404:
	s_add_u32 s14, s14, (.LBB1_7256-.Lpost_getpc4404)&4294967295
	s_addc_u32 s15, s15, (.LBB1_7256-.Lpost_getpc4404)>>32
	s_setpc_b64 s[14:15]
.LBB1_3158:
	s_or_b64 exec, exec, s[6:7]
	s_and_saveexec_b64 s[6:7], s[4:5]
	s_cbranch_execz .LBB1_3160
.LBB1_3159:
	v_bfe_u32 v14, v12, 16, 2
	v_ffbh_u32_e32 v20, v14
	v_min_u32_e32 v20, 32, v20
	v_lshrrev_b32_e32 v16, 18, v12
	v_subrev_u32_e32 v21, 29, v20
	v_and_b32_e32 v16, 31, v16
	v_lshlrev_b32_sdwa v21, v21, v12 dst_sel:DWORD dst_unused:UNUSED_PAD src0_sel:DWORD src1_sel:WORD_1
	v_bfe_u32 v17, v12, 18, 5
	v_sub_u32_e32 v20, 30, v20
	v_and_b32_e32 v21, 3, v21
	v_cmp_eq_u16_e32 vcc, 0, v16
	v_cndmask_b32_e32 v14, v14, v21, vcc
	v_cndmask_b32_e32 v16, v17, v20, vcc
	v_lshlrev_b32_e32 v17, 8, v12
	v_mov_b32_e32 v20, 0x37800000
	v_lshlrev_b32_e32 v14, 21, v14
	v_and_b32_e32 v17, 0x80000000, v17
	v_lshl_add_u32 v16, v16, 23, v20
	v_or3_b32 v16, v17, v16, v14
.LBB1_3160:
	s_or_b64 exec, exec, s[6:7]
	s_nop 0
	v_mfma_f32_16x16x4f32 a[0:3], v13, v16, a[0:3]
	s_movk_i32 s4, 0x7f
	v_cmp_gt_i16_sdwa s[6:7], v18, s4 src0_sel:BYTE_3 src1_sel:DWORD
	s_mov_b64 s[4:5], 0
                                        ; implicit-def: $sgpr10
	s_and_saveexec_b64 s[8:9], s[6:7]
	s_xor_b64 s[6:7], exec, s[8:9]
	s_cbranch_execz .LBB1_3161
; %bb.17003:
	s_getpc_b64 s[14:15]
.Lpost_getpc4405:
	s_add_u32 s14, s14, (.LBB1_7257-.Lpost_getpc4405)&4294967295
	s_addc_u32 s15, s15, (.LBB1_7257-.Lpost_getpc4405)>>32
	s_setpc_b64 s[14:15]
.LBB1_3161:
	s_or_saveexec_b64 s[6:7], s[6:7]
	v_mov_b32_e32 v13, s10
	s_xor_b64 exec, exec, s[6:7]
	s_cbranch_execz .LBB1_3162
; %bb.17005:
	s_getpc_b64 s[14:15]
.Lpost_getpc4406:
	s_add_u32 s14, s14, (.LBB1_7260-.Lpost_getpc4406)&4294967295
	s_addc_u32 s15, s15, (.LBB1_7260-.Lpost_getpc4406)>>32
	s_setpc_b64 s[14:15]
.LBB1_3162:
	s_or_b64 exec, exec, s[6:7]
	s_and_saveexec_b64 s[6:7], s[4:5]
	s_cbranch_execz .LBB1_3164
.LBB1_3163:
	v_bfe_u32 v13, v18, 24, 3
	v_ffbh_u32_e32 v20, v13
	v_min_u32_e32 v20, 32, v20
	v_lshrrev_b32_e32 v16, 27, v18
	v_subrev_u32_e32 v21, 28, v20
	v_and_b32_e32 v14, 0x80000000, v18
	v_and_b32_e32 v16, 15, v16
	v_bfe_u32 v17, v18, 27, 4
	v_lshlrev_b32_sdwa v18, v21, v18 dst_sel:DWORD dst_unused:UNUSED_PAD src0_sel:DWORD src1_sel:BYTE_3
	v_sub_u32_e32 v20, 29, v20
	v_and_b32_e32 v18, 7, v18
	v_cmp_eq_u16_e32 vcc, 0, v16
	v_cndmask_b32_e32 v13, v13, v18, vcc
	v_cndmask_b32_e32 v16, v17, v20, vcc
	v_mov_b32_e32 v17, 0x3b800000
	v_lshlrev_b32_e32 v13, 20, v13
	v_lshl_add_u32 v16, v16, 23, v17
	v_or3_b32 v13, v14, v16, v13
.LBB1_3164:
	s_or_b64 exec, exec, s[6:7]
	s_movk_i32 s4, 0x7f
	v_cmp_gt_i16_sdwa s[6:7], v12, s4 src0_sel:BYTE_3 src1_sel:DWORD
	s_mov_b64 s[4:5], 0
                                        ; implicit-def: $sgpr10
	s_and_saveexec_b64 s[8:9], s[6:7]
	s_xor_b64 s[6:7], exec, s[8:9]
	s_cbranch_execz .LBB1_3165
; %bb.17007:
	s_getpc_b64 s[14:15]
.Lpost_getpc4407:
	s_add_u32 s14, s14, (.LBB1_7261-.Lpost_getpc4407)&4294967295
	s_addc_u32 s15, s15, (.LBB1_7261-.Lpost_getpc4407)>>32
	s_setpc_b64 s[14:15]
.LBB1_3165:
	s_or_saveexec_b64 s[6:7], s[6:7]
	v_mov_b32_e32 v14, s10
	s_xor_b64 exec, exec, s[6:7]
	s_cbranch_execz .LBB1_3166
; %bb.17009:
	s_getpc_b64 s[14:15]
.Lpost_getpc4408:
	s_add_u32 s14, s14, (.LBB1_7264-.Lpost_getpc4408)&4294967295
	s_addc_u32 s15, s15, (.LBB1_7264-.Lpost_getpc4408)>>32
	s_setpc_b64 s[14:15]
.LBB1_3166:
	s_or_b64 exec, exec, s[6:7]
	s_and_saveexec_b64 s[6:7], s[4:5]
	s_cbranch_execz .LBB1_3168
.LBB1_3167:
	v_bfe_u32 v14, v12, 24, 2
	v_ffbh_u32_e32 v20, v14
	v_min_u32_e32 v20, 32, v20
	v_lshrrev_b32_e32 v17, 26, v12
	v_subrev_u32_e32 v21, 29, v20
	v_and_b32_e32 v16, 0x80000000, v12
	v_and_b32_e32 v17, 31, v17
	v_bfe_u32 v18, v12, 26, 5
	v_lshlrev_b32_sdwa v12, v21, v12 dst_sel:DWORD dst_unused:UNUSED_PAD src0_sel:DWORD src1_sel:BYTE_3
	v_sub_u32_e32 v20, 30, v20
	v_and_b32_e32 v12, 3, v12
	v_cmp_eq_u16_e32 vcc, 0, v17
	v_cndmask_b32_e32 v12, v14, v12, vcc
	v_cndmask_b32_e32 v14, v18, v20, vcc
	v_mov_b32_e32 v17, 0x37800000
	v_lshlrev_b32_e32 v12, 21, v12
	v_lshl_add_u32 v14, v14, 23, v17
	v_or3_b32 v14, v16, v14, v12
.LBB1_3168:
	s_or_b64 exec, exec, s[6:7]
	s_nop 0
	v_mfma_f32_16x16x4f32 a[0:3], v13, v14, a[0:3]
	s_movk_i32 s4, 0x7f
	v_cmp_gt_i16_sdwa s[6:7], v19, s4 src0_sel:BYTE_0 src1_sel:DWORD
	s_mov_b64 s[4:5], 0
                                        ; implicit-def: $sgpr10
	s_and_saveexec_b64 s[8:9], s[6:7]
	s_xor_b64 s[6:7], exec, s[8:9]
	s_cbranch_execz .LBB1_3169
; %bb.17011:
	s_getpc_b64 s[14:15]
.Lpost_getpc4409:
	s_add_u32 s14, s14, (.LBB1_7265-.Lpost_getpc4409)&4294967295
	s_addc_u32 s15, s15, (.LBB1_7265-.Lpost_getpc4409)>>32
	s_setpc_b64 s[14:15]
.LBB1_3169:
	s_or_saveexec_b64 s[6:7], s[6:7]
	v_mov_b32_e32 v12, s10
	s_xor_b64 exec, exec, s[6:7]
	s_cbranch_execz .LBB1_3170
; %bb.17013:
	s_getpc_b64 s[14:15]
.Lpost_getpc4410:
	s_add_u32 s14, s14, (.LBB1_7268-.Lpost_getpc4410)&4294967295
	s_addc_u32 s15, s15, (.LBB1_7268-.Lpost_getpc4410)>>32
	s_setpc_b64 s[14:15]
.LBB1_3170:
	s_or_b64 exec, exec, s[6:7]
	s_and_saveexec_b64 s[6:7], s[4:5]
	s_cbranch_execz .LBB1_3172
.LBB1_3171:
	v_mov_b32_e32 v12, 8
	v_and_b32_e32 v13, 7, v19
	v_lshrrev_b32_sdwa v12, v12, v19 dst_sel:BYTE_1 dst_unused:UNUSED_PAD src0_sel:DWORD src1_sel:DWORD
	v_ffbh_u32_e32 v14, v13
	v_or_b32_sdwa v12, v19, v12 dst_sel:DWORD dst_unused:UNUSED_PAD src0_sel:BYTE_0 src1_sel:DWORD
	v_min_u32_e32 v14, 32, v14
	v_lshrrev_b16_e32 v12, 3, v12
	v_subrev_u32_e32 v16, 28, v14
	v_and_b32_e32 v12, 15, v12
	v_lshlrev_b32_e32 v16, v16, v19
	v_sub_u32_e32 v14, 29, v14
	v_and_b32_e32 v16, 7, v16
	v_cmp_eq_u16_e32 vcc, 0, v12
	v_cndmask_b32_e32 v13, v13, v16, vcc
	v_cndmask_b32_e32 v12, v12, v14, vcc
	v_lshlrev_b32_e32 v14, 24, v19
	v_mov_b32_e32 v16, 0x3b800000
	v_lshlrev_b32_e32 v13, 20, v13
	v_and_b32_e32 v14, 0x80000000, v14
	v_lshl_add_u32 v12, v12, 23, v16
	v_or3_b32 v12, v14, v12, v13
.LBB1_3172:
	s_or_b64 exec, exec, s[6:7]
	s_movk_i32 s4, 0x7f
	v_cmp_gt_i16_sdwa s[6:7], v15, s4 src0_sel:BYTE_0 src1_sel:DWORD
	s_mov_b64 s[4:5], 0
                                        ; implicit-def: $sgpr10
	s_and_saveexec_b64 s[8:9], s[6:7]
	s_xor_b64 s[6:7], exec, s[8:9]
	s_cbranch_execz .LBB1_3173
; %bb.17015:
	s_getpc_b64 s[14:15]
.Lpost_getpc4411:
	s_add_u32 s14, s14, (.LBB1_7269-.Lpost_getpc4411)&4294967295
	s_addc_u32 s15, s15, (.LBB1_7269-.Lpost_getpc4411)>>32
	s_setpc_b64 s[14:15]
.LBB1_3173:
	s_or_saveexec_b64 s[6:7], s[6:7]
	v_mov_b32_e32 v13, s10
	s_xor_b64 exec, exec, s[6:7]
	s_cbranch_execz .LBB1_3174
; %bb.17017:
	s_getpc_b64 s[14:15]
.Lpost_getpc4412:
	s_add_u32 s14, s14, (.LBB1_7272-.Lpost_getpc4412)&4294967295
	s_addc_u32 s15, s15, (.LBB1_7272-.Lpost_getpc4412)>>32
	s_setpc_b64 s[14:15]
.LBB1_3174:
	s_or_b64 exec, exec, s[6:7]
	s_and_saveexec_b64 s[6:7], s[4:5]
	s_cbranch_execz .LBB1_3176
.LBB1_3175:
	v_and_b32_e32 v13, 3, v15
	v_ffbh_u32_e32 v16, v13
	v_min_u32_e32 v16, 32, v16
	v_lshrrev_b16_e32 v14, 2, v15
	v_subrev_u32_e32 v17, 29, v16
	v_and_b32_e32 v14, 31, v14
	v_lshlrev_b32_e32 v17, v17, v15
	v_sub_u32_e32 v16, 30, v16
	v_and_b32_e32 v17, 3, v17
	v_cmp_eq_u16_e32 vcc, 0, v14
	v_cndmask_b32_e32 v13, v13, v17, vcc
	v_cndmask_b32_e32 v14, v14, v16, vcc
	v_lshlrev_b32_e32 v16, 24, v15
	v_mov_b32_e32 v17, 0x37800000
	v_lshlrev_b32_e32 v13, 21, v13
	v_and_b32_e32 v16, 0x80000000, v16
	v_lshl_add_u32 v14, v14, 23, v17
	v_or3_b32 v13, v16, v14, v13
.LBB1_3176:
	s_or_b64 exec, exec, s[6:7]
	s_nop 0
	v_mfma_f32_16x16x4f32 a[0:3], v12, v13, a[0:3]
	v_lshrrev_b32_e32 v13, 8, v19
	s_movk_i32 s4, 0x7f
	v_cmp_gt_i16_sdwa s[6:7], v13, s4 src0_sel:BYTE_0 src1_sel:DWORD
	s_mov_b64 s[4:5], 0
                                        ; implicit-def: $sgpr10
	s_and_saveexec_b64 s[8:9], s[6:7]
	s_xor_b64 s[6:7], exec, s[8:9]
	s_cbranch_execz .LBB1_3177
; %bb.17019:
	s_getpc_b64 s[14:15]
.Lpost_getpc4413:
	s_add_u32 s14, s14, (.LBB1_7273-.Lpost_getpc4413)&4294967295
	s_addc_u32 s15, s15, (.LBB1_7273-.Lpost_getpc4413)>>32
	s_setpc_b64 s[14:15]
.LBB1_3177:
	s_or_saveexec_b64 s[6:7], s[6:7]
	v_mov_b32_e32 v12, s10
	s_xor_b64 exec, exec, s[6:7]
	s_cbranch_execz .LBB1_3178
; %bb.17021:
	s_getpc_b64 s[14:15]
.Lpost_getpc4414:
	s_add_u32 s14, s14, (.LBB1_7276-.Lpost_getpc4414)&4294967295
	s_addc_u32 s15, s15, (.LBB1_7276-.Lpost_getpc4414)>>32
	s_setpc_b64 s[14:15]
.LBB1_3178:
	s_or_b64 exec, exec, s[6:7]
	s_and_saveexec_b64 s[6:7], s[4:5]
	s_cbranch_execz .LBB1_3180
.LBB1_3179:
	v_bfe_u32 v12, v19, 8, 3
	v_ffbh_u32_e32 v16, v12
	v_min_u32_e32 v16, 32, v16
	v_lshrrev_b16_e32 v14, 3, v13
	v_subrev_u32_e32 v17, 28, v16
	v_and_b32_e32 v14, 15, v14
	v_lshlrev_b32_e32 v13, v17, v13
	v_sub_u32_e32 v16, 29, v16
	v_and_b32_e32 v13, 7, v13
	v_cmp_eq_u16_e32 vcc, 0, v14
	v_cndmask_b32_e32 v12, v12, v13, vcc
	v_cndmask_b32_e32 v13, v14, v16, vcc
	v_lshlrev_b32_e32 v14, 16, v19
	v_mov_b32_e32 v16, 0x3b800000
	v_lshlrev_b32_e32 v12, 20, v12
	v_and_b32_e32 v14, 0x80000000, v14
	v_lshl_add_u32 v13, v13, 23, v16
	v_or3_b32 v12, v14, v13, v12
.LBB1_3180:
	s_or_b64 exec, exec, s[6:7]
	v_lshrrev_b32_e32 v13, 8, v15
	s_movk_i32 s4, 0x7f
	v_cmp_gt_i16_sdwa s[6:7], v13, s4 src0_sel:BYTE_0 src1_sel:DWORD
	s_mov_b64 s[4:5], 0
                                        ; implicit-def: $sgpr10
	s_and_saveexec_b64 s[8:9], s[6:7]
	s_xor_b64 s[6:7], exec, s[8:9]
	s_cbranch_execz .LBB1_3181
; %bb.17023:
	s_getpc_b64 s[14:15]
.Lpost_getpc4415:
	s_add_u32 s14, s14, (.LBB1_7277-.Lpost_getpc4415)&4294967295
	s_addc_u32 s15, s15, (.LBB1_7277-.Lpost_getpc4415)>>32
	s_setpc_b64 s[14:15]
.LBB1_3181:
	s_or_saveexec_b64 s[6:7], s[6:7]
	v_mov_b32_e32 v14, s10
	s_xor_b64 exec, exec, s[6:7]
	s_cbranch_execz .LBB1_3182
; %bb.17025:
	s_getpc_b64 s[14:15]
.Lpost_getpc4416:
	s_add_u32 s14, s14, (.LBB1_7280-.Lpost_getpc4416)&4294967295
	s_addc_u32 s15, s15, (.LBB1_7280-.Lpost_getpc4416)>>32
	s_setpc_b64 s[14:15]
.LBB1_3182:
	s_or_b64 exec, exec, s[6:7]
	s_and_saveexec_b64 s[6:7], s[4:5]
	s_cbranch_execz .LBB1_3184
.LBB1_3183:
	v_bfe_u32 v14, v15, 8, 2
	v_ffbh_u32_e32 v17, v14
	v_min_u32_e32 v17, 32, v17
	v_lshrrev_b16_e32 v16, 2, v13
	v_subrev_u32_e32 v18, 29, v17
	v_and_b32_e32 v16, 31, v16
	v_lshlrev_b32_e32 v13, v18, v13
	v_sub_u32_e32 v17, 30, v17
	v_and_b32_e32 v13, 3, v13
	v_cmp_eq_u16_e32 vcc, 0, v16
	v_cndmask_b32_e32 v13, v14, v13, vcc
	v_cndmask_b32_e32 v14, v16, v17, vcc
	v_lshlrev_b32_e32 v16, 16, v15
	v_mov_b32_e32 v17, 0x37800000
	v_lshlrev_b32_e32 v13, 21, v13
	v_and_b32_e32 v16, 0x80000000, v16
	v_lshl_add_u32 v14, v14, 23, v17
	v_or3_b32 v14, v16, v14, v13
.LBB1_3184:
	s_or_b64 exec, exec, s[6:7]
	s_nop 0
	v_mfma_f32_16x16x4f32 a[0:3], v12, v14, a[0:3]
	s_movk_i32 s4, 0xff
	v_and_b32_sdwa v13, v19, s4 dst_sel:DWORD dst_unused:UNUSED_PAD src0_sel:WORD_1 src1_sel:DWORD
	s_movk_i32 s4, 0x7f
	v_cmp_lt_i16_e32 vcc, s4, v13
	s_mov_b64 s[4:5], 0
                                        ; implicit-def: $sgpr10
	s_and_saveexec_b64 s[6:7], vcc
	s_xor_b64 s[6:7], exec, s[6:7]
	s_cbranch_execz .LBB1_3185
; %bb.17027:
	s_getpc_b64 s[14:15]
.Lpost_getpc4417:
	s_add_u32 s14, s14, (.LBB1_7281-.Lpost_getpc4417)&4294967295
	s_addc_u32 s15, s15, (.LBB1_7281-.Lpost_getpc4417)>>32
	s_setpc_b64 s[14:15]
.LBB1_3185:
	s_or_saveexec_b64 s[6:7], s[6:7]
	v_mov_b32_e32 v12, s10
	s_xor_b64 exec, exec, s[6:7]
	s_cbranch_execz .LBB1_3186
; %bb.17029:
	s_getpc_b64 s[14:15]
.Lpost_getpc4418:
	s_add_u32 s14, s14, (.LBB1_7284-.Lpost_getpc4418)&4294967295
	s_addc_u32 s15, s15, (.LBB1_7284-.Lpost_getpc4418)>>32
	s_setpc_b64 s[14:15]
.LBB1_3186:
	s_or_b64 exec, exec, s[6:7]
	s_and_saveexec_b64 s[6:7], s[4:5]
	s_cbranch_execz .LBB1_3188
.LBB1_3187:
	v_bfe_u32 v12, v19, 16, 3
	v_ffbh_u32_e32 v16, v12
	v_min_u32_e32 v16, 32, v16
	v_lshrrev_b32_e32 v13, 19, v19
	v_subrev_u32_e32 v17, 28, v16
	v_and_b32_e32 v13, 15, v13
	v_lshlrev_b32_sdwa v17, v17, v19 dst_sel:DWORD dst_unused:UNUSED_PAD src0_sel:DWORD src1_sel:WORD_1
	v_bfe_u32 v14, v19, 19, 4
	v_sub_u32_e32 v16, 29, v16
	v_and_b32_e32 v17, 7, v17
	v_cmp_eq_u16_e32 vcc, 0, v13
	v_cndmask_b32_e32 v12, v12, v17, vcc
	v_cndmask_b32_e32 v13, v14, v16, vcc
	v_lshlrev_b32_e32 v14, 8, v19
	v_mov_b32_e32 v16, 0x3b800000
	v_lshlrev_b32_e32 v12, 20, v12
	v_and_b32_e32 v14, 0x80000000, v14
	v_lshl_add_u32 v13, v13, 23, v16
	v_or3_b32 v12, v14, v13, v12
.LBB1_3188:
	s_or_b64 exec, exec, s[6:7]
	s_movk_i32 s4, 0xff
	v_and_b32_sdwa v13, v15, s4 dst_sel:DWORD dst_unused:UNUSED_PAD src0_sel:WORD_1 src1_sel:DWORD
	s_movk_i32 s4, 0x7f
	v_cmp_lt_i16_e32 vcc, s4, v13
	s_mov_b64 s[4:5], 0
                                        ; implicit-def: $sgpr10
	s_and_saveexec_b64 s[6:7], vcc
	s_xor_b64 s[6:7], exec, s[6:7]
	s_cbranch_execz .LBB1_3189
; %bb.17031:
	s_getpc_b64 s[14:15]
.Lpost_getpc4419:
	s_add_u32 s14, s14, (.LBB1_7285-.Lpost_getpc4419)&4294967295
	s_addc_u32 s15, s15, (.LBB1_7285-.Lpost_getpc4419)>>32
	s_setpc_b64 s[14:15]
.LBB1_3189:
	s_or_saveexec_b64 s[6:7], s[6:7]
	v_mov_b32_e32 v14, s10
	s_xor_b64 exec, exec, s[6:7]
	s_cbranch_execz .LBB1_3190
; %bb.17033:
	s_getpc_b64 s[14:15]
.Lpost_getpc4420:
	s_add_u32 s14, s14, (.LBB1_7288-.Lpost_getpc4420)&4294967295
	s_addc_u32 s15, s15, (.LBB1_7288-.Lpost_getpc4420)>>32
	s_setpc_b64 s[14:15]
.LBB1_3190:
	s_or_b64 exec, exec, s[6:7]
	s_and_saveexec_b64 s[6:7], s[4:5]
	s_cbranch_execz .LBB1_3192
.LBB1_3191:
	v_bfe_u32 v13, v15, 16, 2
	v_ffbh_u32_e32 v17, v13
	v_min_u32_e32 v17, 32, v17
	v_lshrrev_b32_e32 v14, 18, v15
	v_subrev_u32_e32 v18, 29, v17
	v_and_b32_e32 v14, 31, v14
	v_lshlrev_b32_sdwa v18, v18, v15 dst_sel:DWORD dst_unused:UNUSED_PAD src0_sel:DWORD src1_sel:WORD_1
	v_bfe_u32 v16, v15, 18, 5
	v_sub_u32_e32 v17, 30, v17
	v_and_b32_e32 v18, 3, v18
	v_cmp_eq_u16_e32 vcc, 0, v14
	v_cndmask_b32_e32 v13, v13, v18, vcc
	v_cndmask_b32_e32 v14, v16, v17, vcc
	v_lshlrev_b32_e32 v16, 8, v15
	v_mov_b32_e32 v17, 0x37800000
	v_lshlrev_b32_e32 v13, 21, v13
	v_and_b32_e32 v16, 0x80000000, v16
	v_lshl_add_u32 v14, v14, 23, v17
	v_or3_b32 v14, v16, v14, v13
.LBB1_3192:
	s_or_b64 exec, exec, s[6:7]
	s_nop 0
	v_mfma_f32_16x16x4f32 a[0:3], v12, v14, a[0:3]
	s_movk_i32 s4, 0x7f
	v_cmp_gt_i16_sdwa s[6:7], v19, s4 src0_sel:BYTE_3 src1_sel:DWORD
	s_mov_b64 s[4:5], 0
                                        ; implicit-def: $sgpr10
	s_and_saveexec_b64 s[8:9], s[6:7]
	s_xor_b64 s[6:7], exec, s[8:9]
	s_cbranch_execz .LBB1_3193
; %bb.17035:
	s_getpc_b64 s[14:15]
.Lpost_getpc4421:
	s_add_u32 s14, s14, (.LBB1_7289-.Lpost_getpc4421)&4294967295
	s_addc_u32 s15, s15, (.LBB1_7289-.Lpost_getpc4421)>>32
	s_setpc_b64 s[14:15]
.LBB1_3193:
	s_or_saveexec_b64 s[6:7], s[6:7]
	v_mov_b32_e32 v12, s10
	s_xor_b64 exec, exec, s[6:7]
	s_cbranch_execz .LBB1_3194
; %bb.17037:
	s_getpc_b64 s[14:15]
.Lpost_getpc4422:
	s_add_u32 s14, s14, (.LBB1_7292-.Lpost_getpc4422)&4294967295
	s_addc_u32 s15, s15, (.LBB1_7292-.Lpost_getpc4422)>>32
	s_setpc_b64 s[14:15]
.LBB1_3194:
	s_or_b64 exec, exec, s[6:7]
	s_and_saveexec_b64 s[6:7], s[4:5]
	s_cbranch_execz .LBB1_3196
.LBB1_3195:
	v_bfe_u32 v12, v19, 24, 3
	v_ffbh_u32_e32 v17, v12
	v_min_u32_e32 v17, 32, v17
	v_lshrrev_b32_e32 v14, 27, v19
	v_subrev_u32_e32 v18, 28, v17
	v_and_b32_e32 v14, 15, v14
	v_lshlrev_b32_sdwa v18, v18, v19 dst_sel:DWORD dst_unused:UNUSED_PAD src0_sel:DWORD src1_sel:BYTE_3
	v_bfe_u32 v16, v19, 27, 4
	v_sub_u32_e32 v17, 29, v17
	v_and_b32_e32 v18, 7, v18
	v_cmp_eq_u16_e32 vcc, 0, v14
	v_cndmask_b32_e32 v12, v12, v18, vcc
	v_cndmask_b32_e32 v14, v16, v17, vcc
	v_mov_b32_e32 v16, 0x3b800000
	v_and_b32_e32 v13, 0x80000000, v19
	v_lshlrev_b32_e32 v12, 20, v12
	v_lshl_add_u32 v14, v14, 23, v16
	v_or3_b32 v12, v13, v14, v12
.LBB1_3196:
	s_or_b64 exec, exec, s[6:7]
	s_movk_i32 s4, 0x7f
	v_cmp_gt_i16_sdwa s[6:7], v15, s4 src0_sel:BYTE_3 src1_sel:DWORD
	s_mov_b64 s[4:5], 0
                                        ; implicit-def: $sgpr10
	s_and_saveexec_b64 s[8:9], s[6:7]
	s_xor_b64 s[6:7], exec, s[8:9]
	s_cbranch_execz .LBB1_3197
; %bb.17039:
	s_getpc_b64 s[14:15]
.Lpost_getpc4423:
	s_add_u32 s14, s14, (.LBB1_7293-.Lpost_getpc4423)&4294967295
	s_addc_u32 s15, s15, (.LBB1_7293-.Lpost_getpc4423)>>32
	s_setpc_b64 s[14:15]
.LBB1_3197:
	s_or_saveexec_b64 s[6:7], s[6:7]
	v_mov_b32_e32 v13, s10
	s_xor_b64 exec, exec, s[6:7]
	s_cbranch_execz .LBB1_3198
; %bb.17041:
	s_getpc_b64 s[14:15]
.Lpost_getpc4424:
	s_add_u32 s14, s14, (.LBB1_7296-.Lpost_getpc4424)&4294967295
	s_addc_u32 s15, s15, (.LBB1_7296-.Lpost_getpc4424)>>32
	s_setpc_b64 s[14:15]
.LBB1_3198:
	s_or_b64 exec, exec, s[6:7]
	s_and_saveexec_b64 s[6:7], s[4:5]
	s_cbranch_execz .LBB1_3200
.LBB1_3199:
	v_bfe_u32 v13, v15, 24, 2
	v_ffbh_u32_e32 v18, v13
	v_min_u32_e32 v18, 32, v18
	v_lshrrev_b32_e32 v16, 26, v15
	v_subrev_u32_e32 v19, 29, v18
	v_and_b32_e32 v14, 0x80000000, v15
	v_and_b32_e32 v16, 31, v16
	v_bfe_u32 v17, v15, 26, 5
	v_lshlrev_b32_sdwa v15, v19, v15 dst_sel:DWORD dst_unused:UNUSED_PAD src0_sel:DWORD src1_sel:BYTE_3
	v_sub_u32_e32 v18, 30, v18
	v_and_b32_e32 v15, 3, v15
	v_cmp_eq_u16_e32 vcc, 0, v16
	v_cndmask_b32_e32 v13, v13, v15, vcc
	v_cndmask_b32_e32 v15, v17, v18, vcc
	v_mov_b32_e32 v16, 0x37800000
	v_lshlrev_b32_e32 v13, 21, v13
	v_lshl_add_u32 v15, v15, 23, v16
	v_or3_b32 v13, v14, v15, v13
.LBB1_3200:
	s_or_b64 exec, exec, s[6:7]
	s_nop 0
	v_mfma_f32_16x16x4f32 a[0:3], v12, v13, a[0:3]
	v_mov_b32_e32 v16, 8
	s_movk_i32 s4, 0x7f
                                        ; implicit-def: $sgpr10
	s_nop 7
	s_nop 0
	flat_store_dwordx4 v[10:11], a[0:3] offset:384
	flat_load_dword v14, v[0:1] offset:544
	flat_load_dwordx2 v[12:13], v[6:7]
	s_waitcnt vmcnt(0) lgkmcnt(0)
	v_ashrrev_i32_e32 v15, 31, v14
	v_add_co_u32_e32 v12, vcc, v12, v14
	v_addc_co_u32_e32 v13, vcc, v13, v15, vcc
	flat_load_dwordx4 v[12:15], v[12:13] offset:512
	s_waitcnt vmcnt(0) lgkmcnt(0)
	v_lshrrev_b32_sdwa v20, v16, v14 dst_sel:BYTE_1 dst_unused:UNUSED_PAD src0_sel:DWORD src1_sel:DWORD
	flat_store_dwordx4 v[8:9], v[12:15]
	flat_load_dwordx4 v[16:19], v[4:5]
	s_waitcnt vmcnt(0) lgkmcnt(0)
	v_cmp_gt_i16_sdwa s[6:7], v16, s4 src0_sel:BYTE_0 src1_sel:DWORD
	s_mov_b64 s[4:5], 0
	s_and_saveexec_b64 s[8:9], s[6:7]
	s_xor_b64 s[6:7], exec, s[8:9]
	s_cbranch_execz .LBB1_3201
; %bb.17043:
	s_getpc_b64 s[14:15]
.Lpost_getpc4425:
	s_add_u32 s14, s14, (.LBB1_7297-.Lpost_getpc4425)&4294967295
	s_addc_u32 s15, s15, (.LBB1_7297-.Lpost_getpc4425)>>32
	s_setpc_b64 s[14:15]
.LBB1_3201:
	s_or_saveexec_b64 s[6:7], s[6:7]
	v_mov_b32_e32 v21, s10
	s_xor_b64 exec, exec, s[6:7]
	s_cbranch_execz .LBB1_3202
; %bb.17045:
	s_getpc_b64 s[14:15]
.Lpost_getpc4426:
	s_add_u32 s14, s14, (.LBB1_7300-.Lpost_getpc4426)&4294967295
	s_addc_u32 s15, s15, (.LBB1_7300-.Lpost_getpc4426)>>32
	s_setpc_b64 s[14:15]
.LBB1_3202:
	s_or_b64 exec, exec, s[6:7]
	s_and_saveexec_b64 s[6:7], s[4:5]
	s_cbranch_execz .LBB1_3204
.LBB1_3203:
	v_and_b32_e32 v21, 7, v16
	v_ffbh_u32_e32 v23, v21
	v_min_u32_e32 v23, 32, v23
	v_lshrrev_b16_e32 v22, 3, v16
	v_subrev_u32_e32 v24, 28, v23
	v_and_b32_e32 v22, 15, v22
	v_lshlrev_b32_e32 v24, v24, v16
	v_sub_u32_e32 v23, 29, v23
	v_and_b32_e32 v24, 7, v24
	v_cmp_eq_u16_e32 vcc, 0, v22
	v_cndmask_b32_e32 v21, v21, v24, vcc
	v_cndmask_b32_e32 v22, v22, v23, vcc
	v_lshlrev_b32_e32 v23, 24, v16
	v_mov_b32_e32 v24, 0x3b800000
	v_lshlrev_b32_e32 v21, 20, v21
	v_and_b32_e32 v23, 0x80000000, v23
	v_lshl_add_u32 v22, v22, 23, v24
	v_or3_b32 v21, v23, v22, v21
.LBB1_3204:
	s_or_b64 exec, exec, s[6:7]
	s_movk_i32 s4, 0x7f
	v_cmp_gt_i16_sdwa s[6:7], v12, s4 src0_sel:BYTE_0 src1_sel:DWORD
	s_mov_b64 s[4:5], 0
                                        ; implicit-def: $sgpr10
	s_and_saveexec_b64 s[8:9], s[6:7]
	s_xor_b64 s[6:7], exec, s[8:9]
	s_cbranch_execz .LBB1_3205
; %bb.17047:
	s_getpc_b64 s[14:15]
.Lpost_getpc4427:
	s_add_u32 s14, s14, (.LBB1_7301-.Lpost_getpc4427)&4294967295
	s_addc_u32 s15, s15, (.LBB1_7301-.Lpost_getpc4427)>>32
	s_setpc_b64 s[14:15]
.LBB1_3205:
	s_or_saveexec_b64 s[6:7], s[6:7]
	v_mov_b32_e32 v22, s10
	s_xor_b64 exec, exec, s[6:7]
	s_cbranch_execz .LBB1_3206
; %bb.17049:
	s_getpc_b64 s[14:15]
.Lpost_getpc4428:
	s_add_u32 s14, s14, (.LBB1_7304-.Lpost_getpc4428)&4294967295
	s_addc_u32 s15, s15, (.LBB1_7304-.Lpost_getpc4428)>>32
	s_setpc_b64 s[14:15]
.LBB1_3206:
	s_or_b64 exec, exec, s[6:7]
	s_and_saveexec_b64 s[6:7], s[4:5]
	s_cbranch_execz .LBB1_3208
.LBB1_3207:
	v_and_b32_e32 v22, 3, v12
	v_ffbh_u32_e32 v24, v22
	v_min_u32_e32 v24, 32, v24
	v_lshrrev_b16_e32 v23, 2, v12
	v_subrev_u32_e32 v25, 29, v24
	v_and_b32_e32 v23, 31, v23
	v_lshlrev_b32_e32 v25, v25, v12
	v_sub_u32_e32 v24, 30, v24
	v_and_b32_e32 v25, 3, v25
	v_cmp_eq_u16_e32 vcc, 0, v23
	v_cndmask_b32_e32 v22, v22, v25, vcc
	v_cndmask_b32_e32 v23, v23, v24, vcc
	v_lshlrev_b32_e32 v24, 24, v12
	v_mov_b32_e32 v25, 0x37800000
	v_lshlrev_b32_e32 v22, 21, v22
	v_and_b32_e32 v24, 0x80000000, v24
	v_lshl_add_u32 v23, v23, 23, v25
	v_or3_b32 v22, v24, v23, v22
.LBB1_3208:
	s_or_b64 exec, exec, s[6:7]
	flat_load_dwordx4 a[0:3], v[10:11] offset:400
	s_movk_i32 s4, 0x7f
                                        ; implicit-def: $sgpr10
	s_waitcnt vmcnt(0) lgkmcnt(0)
	v_mfma_f32_16x16x4f32 a[0:3], v21, v22, a[0:3]
	v_lshrrev_b32_e32 v22, 8, v16
	v_cmp_gt_i16_sdwa s[6:7], v22, s4 src0_sel:BYTE_0 src1_sel:DWORD
	s_mov_b64 s[4:5], 0
	s_and_saveexec_b64 s[8:9], s[6:7]
	s_xor_b64 s[6:7], exec, s[8:9]
	s_cbranch_execz .LBB1_3209
; %bb.17051:
	s_getpc_b64 s[14:15]
.Lpost_getpc4429:
	s_add_u32 s14, s14, (.LBB1_7305-.Lpost_getpc4429)&4294967295
	s_addc_u32 s15, s15, (.LBB1_7305-.Lpost_getpc4429)>>32
	s_setpc_b64 s[14:15]
.LBB1_3209:
	s_or_saveexec_b64 s[6:7], s[6:7]
	v_mov_b32_e32 v21, s10
	s_xor_b64 exec, exec, s[6:7]
	s_cbranch_execz .LBB1_3210
; %bb.17053:
	s_getpc_b64 s[14:15]
.Lpost_getpc4430:
	s_add_u32 s14, s14, (.LBB1_7308-.Lpost_getpc4430)&4294967295
	s_addc_u32 s15, s15, (.LBB1_7308-.Lpost_getpc4430)>>32
	s_setpc_b64 s[14:15]
.LBB1_3210:
	s_or_b64 exec, exec, s[6:7]
	s_and_saveexec_b64 s[6:7], s[4:5]
	s_cbranch_execz .LBB1_3212
.LBB1_3211:
	v_bfe_u32 v21, v16, 8, 3
	v_ffbh_u32_e32 v24, v21
	v_min_u32_e32 v24, 32, v24
	v_lshrrev_b16_e32 v23, 3, v22
	v_subrev_u32_e32 v25, 28, v24
	v_and_b32_e32 v23, 15, v23
	v_lshlrev_b32_e32 v22, v25, v22
	v_sub_u32_e32 v24, 29, v24
	v_and_b32_e32 v22, 7, v22
	v_cmp_eq_u16_e32 vcc, 0, v23
	v_cndmask_b32_e32 v21, v21, v22, vcc
	v_cndmask_b32_e32 v22, v23, v24, vcc
	v_lshlrev_b32_e32 v23, 16, v16
	v_mov_b32_e32 v24, 0x3b800000
	v_lshlrev_b32_e32 v21, 20, v21
	v_and_b32_e32 v23, 0x80000000, v23
	v_lshl_add_u32 v22, v22, 23, v24
	v_or3_b32 v21, v23, v22, v21
.LBB1_3212:
	s_or_b64 exec, exec, s[6:7]
	v_lshrrev_b32_e32 v22, 8, v12
	s_movk_i32 s4, 0x7f
	v_cmp_gt_i16_sdwa s[6:7], v22, s4 src0_sel:BYTE_0 src1_sel:DWORD
	s_mov_b64 s[4:5], 0
                                        ; implicit-def: $sgpr10
	s_and_saveexec_b64 s[8:9], s[6:7]
	s_xor_b64 s[6:7], exec, s[8:9]
	s_cbranch_execz .LBB1_3213
; %bb.17055:
	s_getpc_b64 s[14:15]
.Lpost_getpc4431:
	s_add_u32 s14, s14, (.LBB1_7309-.Lpost_getpc4431)&4294967295
	s_addc_u32 s15, s15, (.LBB1_7309-.Lpost_getpc4431)>>32
	s_setpc_b64 s[14:15]
.LBB1_3213:
	s_or_saveexec_b64 s[6:7], s[6:7]
	v_mov_b32_e32 v23, s10
	s_xor_b64 exec, exec, s[6:7]
	s_cbranch_execz .LBB1_3214
; %bb.17057:
	s_getpc_b64 s[14:15]
.Lpost_getpc4432:
	s_add_u32 s14, s14, (.LBB1_7312-.Lpost_getpc4432)&4294967295
	s_addc_u32 s15, s15, (.LBB1_7312-.Lpost_getpc4432)>>32
	s_setpc_b64 s[14:15]
.LBB1_3214:
	s_or_b64 exec, exec, s[6:7]
	s_and_saveexec_b64 s[6:7], s[4:5]
	s_cbranch_execz .LBB1_3216
.LBB1_3215:
	v_bfe_u32 v23, v12, 8, 2
	v_ffbh_u32_e32 v25, v23
	v_min_u32_e32 v25, 32, v25
	v_lshrrev_b16_e32 v24, 2, v22
	v_subrev_u32_e32 v26, 29, v25
	v_and_b32_e32 v24, 31, v24
	v_lshlrev_b32_e32 v22, v26, v22
	v_sub_u32_e32 v25, 30, v25
	v_and_b32_e32 v22, 3, v22
	v_cmp_eq_u16_e32 vcc, 0, v24
	v_cndmask_b32_e32 v22, v23, v22, vcc
	v_cndmask_b32_e32 v23, v24, v25, vcc
	v_lshlrev_b32_e32 v24, 16, v12
	v_mov_b32_e32 v25, 0x37800000
	v_lshlrev_b32_e32 v22, 21, v22
	v_and_b32_e32 v24, 0x80000000, v24
	v_lshl_add_u32 v23, v23, 23, v25
	v_or3_b32 v23, v24, v23, v22
.LBB1_3216:
	s_or_b64 exec, exec, s[6:7]
	s_nop 0
	v_mfma_f32_16x16x4f32 a[0:3], v21, v23, a[0:3]
	s_movk_i32 s4, 0xff
	v_and_b32_sdwa v22, v16, s4 dst_sel:DWORD dst_unused:UNUSED_PAD src0_sel:WORD_1 src1_sel:DWORD
	s_movk_i32 s4, 0x7f
	v_cmp_lt_i16_e32 vcc, s4, v22
	s_mov_b64 s[4:5], 0
                                        ; implicit-def: $sgpr10
	s_and_saveexec_b64 s[6:7], vcc
	s_xor_b64 s[6:7], exec, s[6:7]
	s_cbranch_execz .LBB1_3217
; %bb.17059:
	s_getpc_b64 s[14:15]
.Lpost_getpc4433:
	s_add_u32 s14, s14, (.LBB1_7313-.Lpost_getpc4433)&4294967295
	s_addc_u32 s15, s15, (.LBB1_7313-.Lpost_getpc4433)>>32
	s_setpc_b64 s[14:15]
.LBB1_3217:
	s_or_saveexec_b64 s[6:7], s[6:7]
	v_mov_b32_e32 v21, s10
	s_xor_b64 exec, exec, s[6:7]
	s_cbranch_execz .LBB1_3218
; %bb.17061:
	s_getpc_b64 s[14:15]
.Lpost_getpc4434:
	s_add_u32 s14, s14, (.LBB1_7316-.Lpost_getpc4434)&4294967295
	s_addc_u32 s15, s15, (.LBB1_7316-.Lpost_getpc4434)>>32
	s_setpc_b64 s[14:15]
.LBB1_3218:
	s_or_b64 exec, exec, s[6:7]
	s_and_saveexec_b64 s[6:7], s[4:5]
	s_cbranch_execz .LBB1_3220
.LBB1_3219:
	v_bfe_u32 v21, v16, 16, 3
	v_ffbh_u32_e32 v24, v21
	v_min_u32_e32 v24, 32, v24
	v_lshrrev_b32_e32 v22, 19, v16
	v_subrev_u32_e32 v25, 28, v24
	v_and_b32_e32 v22, 15, v22
	v_lshlrev_b32_sdwa v25, v25, v16 dst_sel:DWORD dst_unused:UNUSED_PAD src0_sel:DWORD src1_sel:WORD_1
	v_bfe_u32 v23, v16, 19, 4
	v_sub_u32_e32 v24, 29, v24
	v_and_b32_e32 v25, 7, v25
	v_cmp_eq_u16_e32 vcc, 0, v22
	v_cndmask_b32_e32 v21, v21, v25, vcc
	v_cndmask_b32_e32 v22, v23, v24, vcc
	v_lshlrev_b32_e32 v23, 8, v16
	v_mov_b32_e32 v24, 0x3b800000
	v_lshlrev_b32_e32 v21, 20, v21
	v_and_b32_e32 v23, 0x80000000, v23
	v_lshl_add_u32 v22, v22, 23, v24
	v_or3_b32 v21, v23, v22, v21
.LBB1_3220:
	s_or_b64 exec, exec, s[6:7]
	s_movk_i32 s4, 0xff
	v_and_b32_sdwa v22, v12, s4 dst_sel:DWORD dst_unused:UNUSED_PAD src0_sel:WORD_1 src1_sel:DWORD
	s_movk_i32 s4, 0x7f
	v_cmp_lt_i16_e32 vcc, s4, v22
	s_mov_b64 s[4:5], 0
                                        ; implicit-def: $sgpr10
	s_and_saveexec_b64 s[6:7], vcc
	s_xor_b64 s[6:7], exec, s[6:7]
	s_cbranch_execz .LBB1_3221
; %bb.17063:
	s_getpc_b64 s[14:15]
.Lpost_getpc4435:
	s_add_u32 s14, s14, (.LBB1_7317-.Lpost_getpc4435)&4294967295
	s_addc_u32 s15, s15, (.LBB1_7317-.Lpost_getpc4435)>>32
	s_setpc_b64 s[14:15]
.LBB1_3221:
	s_or_saveexec_b64 s[6:7], s[6:7]
	v_mov_b32_e32 v23, s10
	s_xor_b64 exec, exec, s[6:7]
	s_cbranch_execz .LBB1_3222
; %bb.17065:
	s_getpc_b64 s[14:15]
.Lpost_getpc4436:
	s_add_u32 s14, s14, (.LBB1_7320-.Lpost_getpc4436)&4294967295
	s_addc_u32 s15, s15, (.LBB1_7320-.Lpost_getpc4436)>>32
	s_setpc_b64 s[14:15]
.LBB1_3222:
	s_or_b64 exec, exec, s[6:7]
	s_and_saveexec_b64 s[6:7], s[4:5]
	s_cbranch_execz .LBB1_3224
.LBB1_3223:
	v_bfe_u32 v22, v12, 16, 2
	v_ffbh_u32_e32 v25, v22
	v_min_u32_e32 v25, 32, v25
	v_lshrrev_b32_e32 v23, 18, v12
	v_subrev_u32_e32 v26, 29, v25
	v_and_b32_e32 v23, 31, v23
	v_lshlrev_b32_sdwa v26, v26, v12 dst_sel:DWORD dst_unused:UNUSED_PAD src0_sel:DWORD src1_sel:WORD_1
	v_bfe_u32 v24, v12, 18, 5
	v_sub_u32_e32 v25, 30, v25
	v_and_b32_e32 v26, 3, v26
	v_cmp_eq_u16_e32 vcc, 0, v23
	v_cndmask_b32_e32 v22, v22, v26, vcc
	v_cndmask_b32_e32 v23, v24, v25, vcc
	v_lshlrev_b32_e32 v24, 8, v12
	v_mov_b32_e32 v25, 0x37800000
	v_lshlrev_b32_e32 v22, 21, v22
	v_and_b32_e32 v24, 0x80000000, v24
	v_lshl_add_u32 v23, v23, 23, v25
	v_or3_b32 v23, v24, v23, v22
.LBB1_3224:
	s_or_b64 exec, exec, s[6:7]
	s_nop 0
	v_mfma_f32_16x16x4f32 a[0:3], v21, v23, a[0:3]
	s_movk_i32 s4, 0x7f
	v_cmp_gt_i16_sdwa s[6:7], v16, s4 src0_sel:BYTE_3 src1_sel:DWORD
	s_mov_b64 s[4:5], 0
                                        ; implicit-def: $sgpr10
	s_and_saveexec_b64 s[8:9], s[6:7]
	s_xor_b64 s[6:7], exec, s[8:9]
	s_cbranch_execz .LBB1_3225
; %bb.17067:
	s_getpc_b64 s[14:15]
.Lpost_getpc4437:
	s_add_u32 s14, s14, (.LBB1_7321-.Lpost_getpc4437)&4294967295
	s_addc_u32 s15, s15, (.LBB1_7321-.Lpost_getpc4437)>>32
	s_setpc_b64 s[14:15]
.LBB1_3225:
	s_or_saveexec_b64 s[6:7], s[6:7]
	v_mov_b32_e32 v21, s10
	s_xor_b64 exec, exec, s[6:7]
	s_cbranch_execz .LBB1_3226
; %bb.17069:
	s_getpc_b64 s[14:15]
.Lpost_getpc4438:
	s_add_u32 s14, s14, (.LBB1_7324-.Lpost_getpc4438)&4294967295
	s_addc_u32 s15, s15, (.LBB1_7324-.Lpost_getpc4438)>>32
	s_setpc_b64 s[14:15]
.LBB1_3226:
	s_or_b64 exec, exec, s[6:7]
	s_and_saveexec_b64 s[6:7], s[4:5]
	s_cbranch_execz .LBB1_3228
.LBB1_3227:
	v_bfe_u32 v21, v16, 24, 3
	v_ffbh_u32_e32 v25, v21
	v_min_u32_e32 v25, 32, v25
	v_lshrrev_b32_e32 v23, 27, v16
	v_subrev_u32_e32 v26, 28, v25
	v_and_b32_e32 v22, 0x80000000, v16
	v_and_b32_e32 v23, 15, v23
	v_bfe_u32 v24, v16, 27, 4
	v_lshlrev_b32_sdwa v16, v26, v16 dst_sel:DWORD dst_unused:UNUSED_PAD src0_sel:DWORD src1_sel:BYTE_3
	v_sub_u32_e32 v25, 29, v25
	v_and_b32_e32 v16, 7, v16
	v_cmp_eq_u16_e32 vcc, 0, v23
	v_cndmask_b32_e32 v16, v21, v16, vcc
	v_cndmask_b32_e32 v21, v24, v25, vcc
	v_mov_b32_e32 v23, 0x3b800000
	v_lshlrev_b32_e32 v16, 20, v16
	v_lshl_add_u32 v21, v21, 23, v23
	v_or3_b32 v21, v22, v21, v16
.LBB1_3228:
	s_or_b64 exec, exec, s[6:7]
	s_movk_i32 s4, 0x7f
	v_cmp_gt_i16_sdwa s[6:7], v12, s4 src0_sel:BYTE_3 src1_sel:DWORD
	s_mov_b64 s[4:5], 0
                                        ; implicit-def: $sgpr10
	s_and_saveexec_b64 s[8:9], s[6:7]
	s_xor_b64 s[6:7], exec, s[8:9]
	s_cbranch_execz .LBB1_3229
; %bb.17071:
	s_getpc_b64 s[14:15]
.Lpost_getpc4439:
	s_add_u32 s14, s14, (.LBB1_7325-.Lpost_getpc4439)&4294967295
	s_addc_u32 s15, s15, (.LBB1_7325-.Lpost_getpc4439)>>32
	s_setpc_b64 s[14:15]
.LBB1_3229:
	s_or_saveexec_b64 s[6:7], s[6:7]
	v_mov_b32_e32 v16, s10
	s_xor_b64 exec, exec, s[6:7]
	s_cbranch_execz .LBB1_3230
; %bb.17073:
	s_getpc_b64 s[14:15]
.Lpost_getpc4440:
	s_add_u32 s14, s14, (.LBB1_7328-.Lpost_getpc4440)&4294967295
	s_addc_u32 s15, s15, (.LBB1_7328-.Lpost_getpc4440)>>32
	s_setpc_b64 s[14:15]
.LBB1_3230:
	s_or_b64 exec, exec, s[6:7]
	s_and_saveexec_b64 s[6:7], s[4:5]
	s_cbranch_execz .LBB1_3232
.LBB1_3231:
	v_bfe_u32 v16, v12, 24, 2
	v_ffbh_u32_e32 v25, v16
	v_min_u32_e32 v25, 32, v25
	v_lshrrev_b32_e32 v23, 26, v12
	v_subrev_u32_e32 v26, 29, v25
	v_and_b32_e32 v22, 0x80000000, v12
	v_and_b32_e32 v23, 31, v23
	v_bfe_u32 v24, v12, 26, 5
	v_lshlrev_b32_sdwa v12, v26, v12 dst_sel:DWORD dst_unused:UNUSED_PAD src0_sel:DWORD src1_sel:BYTE_3
	v_sub_u32_e32 v25, 30, v25
	v_and_b32_e32 v12, 3, v12
	v_cmp_eq_u16_e32 vcc, 0, v23
	v_cndmask_b32_e32 v12, v16, v12, vcc
	v_cndmask_b32_e32 v16, v24, v25, vcc
	v_mov_b32_e32 v23, 0x37800000
	v_lshlrev_b32_e32 v12, 21, v12
	v_lshl_add_u32 v16, v16, 23, v23
	v_or3_b32 v16, v22, v16, v12
.LBB1_3232:
	s_or_b64 exec, exec, s[6:7]
	s_nop 0
	v_mfma_f32_16x16x4f32 a[0:3], v21, v16, a[0:3]
	s_movk_i32 s4, 0x7f
	v_cmp_gt_i16_sdwa s[6:7], v17, s4 src0_sel:BYTE_0 src1_sel:DWORD
	s_mov_b64 s[4:5], 0
                                        ; implicit-def: $sgpr10
	s_and_saveexec_b64 s[8:9], s[6:7]
	s_xor_b64 s[6:7], exec, s[8:9]
	s_cbranch_execz .LBB1_3233
; %bb.17075:
	s_getpc_b64 s[14:15]
.Lpost_getpc4441:
	s_add_u32 s14, s14, (.LBB1_7329-.Lpost_getpc4441)&4294967295
	s_addc_u32 s15, s15, (.LBB1_7329-.Lpost_getpc4441)>>32
	s_setpc_b64 s[14:15]
.LBB1_3233:
	s_or_saveexec_b64 s[6:7], s[6:7]
	v_mov_b32_e32 v12, s10
	s_xor_b64 exec, exec, s[6:7]
	s_cbranch_execz .LBB1_3234
; %bb.17077:
	s_getpc_b64 s[14:15]
.Lpost_getpc4442:
	s_add_u32 s14, s14, (.LBB1_7332-.Lpost_getpc4442)&4294967295
	s_addc_u32 s15, s15, (.LBB1_7332-.Lpost_getpc4442)>>32
	s_setpc_b64 s[14:15]
.LBB1_3234:
	s_or_b64 exec, exec, s[6:7]
	s_and_saveexec_b64 s[6:7], s[4:5]
	s_cbranch_execz .LBB1_3236
.LBB1_3235:
	v_and_b32_e32 v12, 7, v17
	v_ffbh_u32_e32 v21, v12
	v_min_u32_e32 v21, 32, v21
	v_lshrrev_b16_e32 v16, 3, v17
	v_subrev_u32_e32 v22, 28, v21
	v_and_b32_e32 v16, 15, v16
	v_lshlrev_b32_e32 v22, v22, v17
	v_sub_u32_e32 v21, 29, v21
	v_and_b32_e32 v22, 7, v22
	v_cmp_eq_u16_e32 vcc, 0, v16
	v_cndmask_b32_e32 v12, v12, v22, vcc
	v_cndmask_b32_e32 v16, v16, v21, vcc
	v_lshlrev_b32_e32 v21, 24, v17
	v_mov_b32_e32 v22, 0x3b800000
	v_lshlrev_b32_e32 v12, 20, v12
	v_and_b32_e32 v21, 0x80000000, v21
	v_lshl_add_u32 v16, v16, 23, v22
	v_or3_b32 v12, v21, v16, v12
.LBB1_3236:
	s_or_b64 exec, exec, s[6:7]
	s_movk_i32 s4, 0x7f
	v_cmp_gt_i16_sdwa s[6:7], v13, s4 src0_sel:BYTE_0 src1_sel:DWORD
	s_mov_b64 s[4:5], 0
                                        ; implicit-def: $sgpr10
	s_and_saveexec_b64 s[8:9], s[6:7]
	s_xor_b64 s[6:7], exec, s[8:9]
	s_cbranch_execz .LBB1_3237
; %bb.17079:
	s_getpc_b64 s[14:15]
.Lpost_getpc4443:
	s_add_u32 s14, s14, (.LBB1_7333-.Lpost_getpc4443)&4294967295
	s_addc_u32 s15, s15, (.LBB1_7333-.Lpost_getpc4443)>>32
	s_setpc_b64 s[14:15]
.LBB1_3237:
	s_or_saveexec_b64 s[6:7], s[6:7]
	v_mov_b32_e32 v16, s10
	s_xor_b64 exec, exec, s[6:7]
	s_cbranch_execz .LBB1_3238
; %bb.17081:
	s_getpc_b64 s[14:15]
.Lpost_getpc4444:
	s_add_u32 s14, s14, (.LBB1_7336-.Lpost_getpc4444)&4294967295
	s_addc_u32 s15, s15, (.LBB1_7336-.Lpost_getpc4444)>>32
	s_setpc_b64 s[14:15]
.LBB1_3238:
	s_or_b64 exec, exec, s[6:7]
	s_and_saveexec_b64 s[6:7], s[4:5]
	s_cbranch_execz .LBB1_3240
.LBB1_3239:
	v_and_b32_e32 v16, 3, v13
	v_ffbh_u32_e32 v22, v16
	v_min_u32_e32 v22, 32, v22
	v_lshrrev_b16_e32 v21, 2, v13
	v_subrev_u32_e32 v23, 29, v22
	v_and_b32_e32 v21, 31, v21
	v_lshlrev_b32_e32 v23, v23, v13
	v_sub_u32_e32 v22, 30, v22
	v_and_b32_e32 v23, 3, v23
	v_cmp_eq_u16_e32 vcc, 0, v21
	v_cndmask_b32_e32 v16, v16, v23, vcc
	v_cndmask_b32_e32 v21, v21, v22, vcc
	v_lshlrev_b32_e32 v22, 24, v13
	v_mov_b32_e32 v23, 0x37800000
	v_lshlrev_b32_e32 v16, 21, v16
	v_and_b32_e32 v22, 0x80000000, v22
	v_lshl_add_u32 v21, v21, 23, v23
	v_or3_b32 v16, v22, v21, v16
.LBB1_3240:
	s_or_b64 exec, exec, s[6:7]
	s_nop 0
	v_mfma_f32_16x16x4f32 a[0:3], v12, v16, a[0:3]
	v_lshrrev_b32_e32 v16, 8, v17
	s_movk_i32 s4, 0x7f
	v_cmp_gt_i16_sdwa s[6:7], v16, s4 src0_sel:BYTE_0 src1_sel:DWORD
	s_mov_b64 s[4:5], 0
                                        ; implicit-def: $sgpr10
	s_and_saveexec_b64 s[8:9], s[6:7]
	s_xor_b64 s[6:7], exec, s[8:9]
	s_cbranch_execz .LBB1_3241
; %bb.17083:
	s_getpc_b64 s[14:15]
.Lpost_getpc4445:
	s_add_u32 s14, s14, (.LBB1_7337-.Lpost_getpc4445)&4294967295
	s_addc_u32 s15, s15, (.LBB1_7337-.Lpost_getpc4445)>>32
	s_setpc_b64 s[14:15]
.LBB1_3241:
	s_or_saveexec_b64 s[6:7], s[6:7]
	v_mov_b32_e32 v12, s10
	s_xor_b64 exec, exec, s[6:7]
	s_cbranch_execz .LBB1_3242
; %bb.17085:
	s_getpc_b64 s[14:15]
.Lpost_getpc4446:
	s_add_u32 s14, s14, (.LBB1_7340-.Lpost_getpc4446)&4294967295
	s_addc_u32 s15, s15, (.LBB1_7340-.Lpost_getpc4446)>>32
	s_setpc_b64 s[14:15]
.LBB1_3242:
	s_or_b64 exec, exec, s[6:7]
	s_and_saveexec_b64 s[6:7], s[4:5]
	s_cbranch_execz .LBB1_3244
.LBB1_3243:
	v_bfe_u32 v12, v17, 8, 3
	v_ffbh_u32_e32 v22, v12
	v_min_u32_e32 v22, 32, v22
	v_lshrrev_b16_e32 v21, 3, v16
	v_subrev_u32_e32 v23, 28, v22
	v_and_b32_e32 v21, 15, v21
	v_lshlrev_b32_e32 v16, v23, v16
	v_sub_u32_e32 v22, 29, v22
	v_and_b32_e32 v16, 7, v16
	v_cmp_eq_u16_e32 vcc, 0, v21
	v_cndmask_b32_e32 v12, v12, v16, vcc
	v_cndmask_b32_e32 v16, v21, v22, vcc
	v_lshlrev_b32_e32 v21, 16, v17
	v_mov_b32_e32 v22, 0x3b800000
	v_lshlrev_b32_e32 v12, 20, v12
	v_and_b32_e32 v21, 0x80000000, v21
	v_lshl_add_u32 v16, v16, 23, v22
	v_or3_b32 v12, v21, v16, v12
.LBB1_3244:
	s_or_b64 exec, exec, s[6:7]
	v_lshrrev_b32_e32 v16, 8, v13
	s_movk_i32 s4, 0x7f
	v_cmp_gt_i16_sdwa s[6:7], v16, s4 src0_sel:BYTE_0 src1_sel:DWORD
	s_mov_b64 s[4:5], 0
                                        ; implicit-def: $sgpr10
	s_and_saveexec_b64 s[8:9], s[6:7]
	s_xor_b64 s[6:7], exec, s[8:9]
	s_cbranch_execz .LBB1_3245
; %bb.17087:
	s_getpc_b64 s[14:15]
.Lpost_getpc4447:
	s_add_u32 s14, s14, (.LBB1_7341-.Lpost_getpc4447)&4294967295
	s_addc_u32 s15, s15, (.LBB1_7341-.Lpost_getpc4447)>>32
	s_setpc_b64 s[14:15]
.LBB1_3245:
	s_or_saveexec_b64 s[6:7], s[6:7]
	v_mov_b32_e32 v21, s10
	s_xor_b64 exec, exec, s[6:7]
	s_cbranch_execz .LBB1_3246
; %bb.17089:
	s_getpc_b64 s[14:15]
.Lpost_getpc4448:
	s_add_u32 s14, s14, (.LBB1_7344-.Lpost_getpc4448)&4294967295
	s_addc_u32 s15, s15, (.LBB1_7344-.Lpost_getpc4448)>>32
	s_setpc_b64 s[14:15]
.LBB1_3246:
	s_or_b64 exec, exec, s[6:7]
	s_and_saveexec_b64 s[6:7], s[4:5]
	s_cbranch_execz .LBB1_3248
.LBB1_3247:
	v_bfe_u32 v21, v13, 8, 2
	v_ffbh_u32_e32 v23, v21
	v_min_u32_e32 v23, 32, v23
	v_lshrrev_b16_e32 v22, 2, v16
	v_subrev_u32_e32 v24, 29, v23
	v_and_b32_e32 v22, 31, v22
	v_lshlrev_b32_e32 v16, v24, v16
	v_sub_u32_e32 v23, 30, v23
	v_and_b32_e32 v16, 3, v16
	v_cmp_eq_u16_e32 vcc, 0, v22
	v_cndmask_b32_e32 v16, v21, v16, vcc
	v_cndmask_b32_e32 v21, v22, v23, vcc
	v_lshlrev_b32_e32 v22, 16, v13
	v_mov_b32_e32 v23, 0x37800000
	v_lshlrev_b32_e32 v16, 21, v16
	v_and_b32_e32 v22, 0x80000000, v22
	v_lshl_add_u32 v21, v21, 23, v23
	v_or3_b32 v21, v22, v21, v16
.LBB1_3248:
	s_or_b64 exec, exec, s[6:7]
	s_nop 0
	v_mfma_f32_16x16x4f32 a[0:3], v12, v21, a[0:3]
	s_movk_i32 s4, 0xff
	v_and_b32_sdwa v16, v17, s4 dst_sel:DWORD dst_unused:UNUSED_PAD src0_sel:WORD_1 src1_sel:DWORD
	s_movk_i32 s4, 0x7f
	v_cmp_lt_i16_e32 vcc, s4, v16
	s_mov_b64 s[4:5], 0
                                        ; implicit-def: $sgpr10
	s_and_saveexec_b64 s[6:7], vcc
	s_xor_b64 s[6:7], exec, s[6:7]
	s_cbranch_execz .LBB1_3249
; %bb.17091:
	s_getpc_b64 s[14:15]
.Lpost_getpc4449:
	s_add_u32 s14, s14, (.LBB1_7345-.Lpost_getpc4449)&4294967295
	s_addc_u32 s15, s15, (.LBB1_7345-.Lpost_getpc4449)>>32
	s_setpc_b64 s[14:15]
.LBB1_3249:
	s_or_saveexec_b64 s[6:7], s[6:7]
	v_mov_b32_e32 v12, s10
	s_xor_b64 exec, exec, s[6:7]
	s_cbranch_execz .LBB1_3250
; %bb.17093:
	s_getpc_b64 s[14:15]
.Lpost_getpc4450:
	s_add_u32 s14, s14, (.LBB1_7348-.Lpost_getpc4450)&4294967295
	s_addc_u32 s15, s15, (.LBB1_7348-.Lpost_getpc4450)>>32
	s_setpc_b64 s[14:15]
.LBB1_3250:
	s_or_b64 exec, exec, s[6:7]
	s_and_saveexec_b64 s[6:7], s[4:5]
	s_cbranch_execz .LBB1_3252
.LBB1_3251:
	v_bfe_u32 v12, v17, 16, 3
	v_ffbh_u32_e32 v22, v12
	v_min_u32_e32 v22, 32, v22
	v_lshrrev_b32_e32 v16, 19, v17
	v_subrev_u32_e32 v23, 28, v22
	v_and_b32_e32 v16, 15, v16
	v_lshlrev_b32_sdwa v23, v23, v17 dst_sel:DWORD dst_unused:UNUSED_PAD src0_sel:DWORD src1_sel:WORD_1
	v_bfe_u32 v21, v17, 19, 4
	v_sub_u32_e32 v22, 29, v22
	v_and_b32_e32 v23, 7, v23
	v_cmp_eq_u16_e32 vcc, 0, v16
	v_cndmask_b32_e32 v12, v12, v23, vcc
	v_cndmask_b32_e32 v16, v21, v22, vcc
	v_lshlrev_b32_e32 v21, 8, v17
	v_mov_b32_e32 v22, 0x3b800000
	v_lshlrev_b32_e32 v12, 20, v12
	v_and_b32_e32 v21, 0x80000000, v21
	v_lshl_add_u32 v16, v16, 23, v22
	v_or3_b32 v12, v21, v16, v12
.LBB1_3252:
	s_or_b64 exec, exec, s[6:7]
	s_movk_i32 s4, 0xff
	v_and_b32_sdwa v16, v13, s4 dst_sel:DWORD dst_unused:UNUSED_PAD src0_sel:WORD_1 src1_sel:DWORD
	s_movk_i32 s4, 0x7f
	v_cmp_lt_i16_e32 vcc, s4, v16
	s_mov_b64 s[4:5], 0
                                        ; implicit-def: $sgpr10
	s_and_saveexec_b64 s[6:7], vcc
	s_xor_b64 s[6:7], exec, s[6:7]
	s_cbranch_execz .LBB1_3253
; %bb.17095:
	s_getpc_b64 s[14:15]
.Lpost_getpc4451:
	s_add_u32 s14, s14, (.LBB1_7349-.Lpost_getpc4451)&4294967295
	s_addc_u32 s15, s15, (.LBB1_7349-.Lpost_getpc4451)>>32
	s_setpc_b64 s[14:15]
.LBB1_3253:
	s_or_saveexec_b64 s[6:7], s[6:7]
	v_mov_b32_e32 v21, s10
	s_xor_b64 exec, exec, s[6:7]
	s_cbranch_execz .LBB1_3254
; %bb.17097:
	s_getpc_b64 s[14:15]
.Lpost_getpc4452:
	s_add_u32 s14, s14, (.LBB1_7352-.Lpost_getpc4452)&4294967295
	s_addc_u32 s15, s15, (.LBB1_7352-.Lpost_getpc4452)>>32
	s_setpc_b64 s[14:15]
.LBB1_3254:
	s_or_b64 exec, exec, s[6:7]
	s_and_saveexec_b64 s[6:7], s[4:5]
	s_cbranch_execz .LBB1_3256
.LBB1_3255:
	v_bfe_u32 v16, v13, 16, 2
	v_ffbh_u32_e32 v23, v16
	v_min_u32_e32 v23, 32, v23
	v_lshrrev_b32_e32 v21, 18, v13
	v_subrev_u32_e32 v24, 29, v23
	v_and_b32_e32 v21, 31, v21
	v_lshlrev_b32_sdwa v24, v24, v13 dst_sel:DWORD dst_unused:UNUSED_PAD src0_sel:DWORD src1_sel:WORD_1
	v_bfe_u32 v22, v13, 18, 5
	v_sub_u32_e32 v23, 30, v23
	v_and_b32_e32 v24, 3, v24
	v_cmp_eq_u16_e32 vcc, 0, v21
	v_cndmask_b32_e32 v16, v16, v24, vcc
	v_cndmask_b32_e32 v21, v22, v23, vcc
	v_lshlrev_b32_e32 v22, 8, v13
	v_mov_b32_e32 v23, 0x37800000
	v_lshlrev_b32_e32 v16, 21, v16
	v_and_b32_e32 v22, 0x80000000, v22
	v_lshl_add_u32 v21, v21, 23, v23
	v_or3_b32 v21, v22, v21, v16
.LBB1_3256:
	s_or_b64 exec, exec, s[6:7]
	s_nop 0
	v_mfma_f32_16x16x4f32 a[0:3], v12, v21, a[0:3]
	s_movk_i32 s4, 0x7f
	v_cmp_gt_i16_sdwa s[6:7], v17, s4 src0_sel:BYTE_3 src1_sel:DWORD
	s_mov_b64 s[4:5], 0
                                        ; implicit-def: $sgpr10
	s_and_saveexec_b64 s[8:9], s[6:7]
	s_xor_b64 s[6:7], exec, s[8:9]
	s_cbranch_execz .LBB1_3257
; %bb.17099:
	s_getpc_b64 s[14:15]
.Lpost_getpc4453:
	s_add_u32 s14, s14, (.LBB1_7353-.Lpost_getpc4453)&4294967295
	s_addc_u32 s15, s15, (.LBB1_7353-.Lpost_getpc4453)>>32
	s_setpc_b64 s[14:15]
.LBB1_3257:
	s_or_saveexec_b64 s[6:7], s[6:7]
	v_mov_b32_e32 v12, s10
	s_xor_b64 exec, exec, s[6:7]
	s_cbranch_execz .LBB1_3258
; %bb.17101:
	s_getpc_b64 s[14:15]
.Lpost_getpc4454:
	s_add_u32 s14, s14, (.LBB1_7356-.Lpost_getpc4454)&4294967295
	s_addc_u32 s15, s15, (.LBB1_7356-.Lpost_getpc4454)>>32
	s_setpc_b64 s[14:15]
.LBB1_3258:
	s_or_b64 exec, exec, s[6:7]
	s_and_saveexec_b64 s[6:7], s[4:5]
	s_cbranch_execz .LBB1_3260
.LBB1_3259:
	v_bfe_u32 v12, v17, 24, 3
	v_ffbh_u32_e32 v23, v12
	v_min_u32_e32 v23, 32, v23
	v_lshrrev_b32_e32 v21, 27, v17
	v_subrev_u32_e32 v24, 28, v23
	v_and_b32_e32 v16, 0x80000000, v17
	v_and_b32_e32 v21, 15, v21
	v_bfe_u32 v22, v17, 27, 4
	v_lshlrev_b32_sdwa v17, v24, v17 dst_sel:DWORD dst_unused:UNUSED_PAD src0_sel:DWORD src1_sel:BYTE_3
	v_sub_u32_e32 v23, 29, v23
	v_and_b32_e32 v17, 7, v17
	v_cmp_eq_u16_e32 vcc, 0, v21
	v_cndmask_b32_e32 v12, v12, v17, vcc
	v_cndmask_b32_e32 v17, v22, v23, vcc
	v_mov_b32_e32 v21, 0x3b800000
	v_lshlrev_b32_e32 v12, 20, v12
	v_lshl_add_u32 v17, v17, 23, v21
	v_or3_b32 v12, v16, v17, v12
.LBB1_3260:
	s_or_b64 exec, exec, s[6:7]
	s_movk_i32 s4, 0x7f
	v_cmp_gt_i16_sdwa s[6:7], v13, s4 src0_sel:BYTE_3 src1_sel:DWORD
	s_mov_b64 s[4:5], 0
                                        ; implicit-def: $sgpr10
	s_and_saveexec_b64 s[8:9], s[6:7]
	s_xor_b64 s[6:7], exec, s[8:9]
	s_cbranch_execz .LBB1_3261
; %bb.17103:
	s_getpc_b64 s[14:15]
.Lpost_getpc4455:
	s_add_u32 s14, s14, (.LBB1_7357-.Lpost_getpc4455)&4294967295
	s_addc_u32 s15, s15, (.LBB1_7357-.Lpost_getpc4455)>>32
	s_setpc_b64 s[14:15]
.LBB1_3261:
	s_or_saveexec_b64 s[6:7], s[6:7]
	v_mov_b32_e32 v16, s10
	s_xor_b64 exec, exec, s[6:7]
	s_cbranch_execz .LBB1_3262
; %bb.17105:
	s_getpc_b64 s[14:15]
.Lpost_getpc4456:
	s_add_u32 s14, s14, (.LBB1_7360-.Lpost_getpc4456)&4294967295
	s_addc_u32 s15, s15, (.LBB1_7360-.Lpost_getpc4456)>>32
	s_setpc_b64 s[14:15]
.LBB1_3262:
	s_or_b64 exec, exec, s[6:7]
	s_and_saveexec_b64 s[6:7], s[4:5]
	s_cbranch_execz .LBB1_3264
.LBB1_3263:
	v_bfe_u32 v16, v13, 24, 2
	v_ffbh_u32_e32 v23, v16
	v_min_u32_e32 v23, 32, v23
	v_lshrrev_b32_e32 v21, 26, v13
	v_subrev_u32_e32 v24, 29, v23
	v_and_b32_e32 v17, 0x80000000, v13
	v_and_b32_e32 v21, 31, v21
	v_bfe_u32 v22, v13, 26, 5
	v_lshlrev_b32_sdwa v13, v24, v13 dst_sel:DWORD dst_unused:UNUSED_PAD src0_sel:DWORD src1_sel:BYTE_3
	v_sub_u32_e32 v23, 30, v23
	v_and_b32_e32 v13, 3, v13
	v_cmp_eq_u16_e32 vcc, 0, v21
	v_cndmask_b32_e32 v13, v16, v13, vcc
	v_cndmask_b32_e32 v16, v22, v23, vcc
	v_mov_b32_e32 v21, 0x37800000
	v_lshlrev_b32_e32 v13, 21, v13
	v_lshl_add_u32 v16, v16, 23, v21
	v_or3_b32 v16, v17, v16, v13
.LBB1_3264:
	s_or_b64 exec, exec, s[6:7]
	s_nop 0
	v_mfma_f32_16x16x4f32 a[0:3], v12, v16, a[0:3]
	s_movk_i32 s4, 0x7f
	v_cmp_gt_i16_sdwa s[6:7], v18, s4 src0_sel:BYTE_0 src1_sel:DWORD
	s_mov_b64 s[4:5], 0
                                        ; implicit-def: $sgpr10
	s_and_saveexec_b64 s[8:9], s[6:7]
	s_xor_b64 s[6:7], exec, s[8:9]
	s_cbranch_execz .LBB1_3265
; %bb.17107:
	s_getpc_b64 s[14:15]
.Lpost_getpc4457:
	s_add_u32 s14, s14, (.LBB1_7361-.Lpost_getpc4457)&4294967295
	s_addc_u32 s15, s15, (.LBB1_7361-.Lpost_getpc4457)>>32
	s_setpc_b64 s[14:15]
.LBB1_3265:
	s_or_saveexec_b64 s[6:7], s[6:7]
	v_mov_b32_e32 v13, s10
	s_xor_b64 exec, exec, s[6:7]
	s_cbranch_execz .LBB1_3266
; %bb.17109:
	s_getpc_b64 s[14:15]
.Lpost_getpc4458:
	s_add_u32 s14, s14, (.LBB1_7364-.Lpost_getpc4458)&4294967295
	s_addc_u32 s15, s15, (.LBB1_7364-.Lpost_getpc4458)>>32
	s_setpc_b64 s[14:15]
.LBB1_3266:
	s_or_b64 exec, exec, s[6:7]
	s_and_saveexec_b64 s[6:7], s[4:5]
	s_cbranch_execz .LBB1_3268
.LBB1_3267:
	v_and_b32_e32 v12, 7, v18
	v_ffbh_u32_e32 v16, v12
	v_min_u32_e32 v16, 32, v16
	v_lshrrev_b16_e32 v13, 3, v18
	v_subrev_u32_e32 v17, 28, v16
	v_and_b32_e32 v13, 15, v13
	v_lshlrev_b32_e32 v17, v17, v18
	v_sub_u32_e32 v16, 29, v16
	v_and_b32_e32 v17, 7, v17
	v_cmp_eq_u16_e32 vcc, 0, v13
	v_cndmask_b32_e32 v12, v12, v17, vcc
	v_cndmask_b32_e32 v13, v13, v16, vcc
	v_lshlrev_b32_e32 v16, 24, v18
	v_mov_b32_e32 v17, 0x3b800000
	v_lshlrev_b32_e32 v12, 20, v12
	v_and_b32_e32 v16, 0x80000000, v16
	v_lshl_add_u32 v13, v13, 23, v17
	v_or3_b32 v13, v16, v13, v12
.LBB1_3268:
	s_or_b64 exec, exec, s[6:7]
	s_movk_i32 s4, 0xff
	v_mov_b32_e32 v12, 8
	v_or_b32_sdwa v16, v14, v20 dst_sel:DWORD dst_unused:UNUSED_PAD src0_sel:BYTE_0 src1_sel:DWORD
	v_lshlrev_b16_sdwa v12, v12, v14 dst_sel:DWORD dst_unused:UNUSED_PAD src0_sel:DWORD src1_sel:BYTE_3
	v_and_b32_sdwa v14, v14, s4 dst_sel:DWORD dst_unused:UNUSED_PAD src0_sel:WORD_1 src1_sel:DWORD
	s_movk_i32 s4, 0x7f
	v_or_b32_sdwa v12, v14, v12 dst_sel:WORD_1 dst_unused:UNUSED_PAD src0_sel:DWORD src1_sel:DWORD
	v_cmp_gt_i16_sdwa s[6:7], v16, s4 src0_sel:BYTE_0 src1_sel:DWORD
	s_mov_b64 s[4:5], 0
                                        ; implicit-def: $sgpr10
	s_and_saveexec_b64 s[8:9], s[6:7]
	s_xor_b64 s[6:7], exec, s[8:9]
	s_cbranch_execz .LBB1_3269
; %bb.17111:
	s_getpc_b64 s[14:15]
.Lpost_getpc4459:
	s_add_u32 s14, s14, (.LBB1_7365-.Lpost_getpc4459)&4294967295
	s_addc_u32 s15, s15, (.LBB1_7365-.Lpost_getpc4459)>>32
	s_setpc_b64 s[14:15]
.LBB1_3269:
	s_or_saveexec_b64 s[6:7], s[6:7]
	v_mov_b32_e32 v14, s10
	s_xor_b64 exec, exec, s[6:7]
	s_cbranch_execz .LBB1_3270
; %bb.17113:
	s_getpc_b64 s[14:15]
.Lpost_getpc4460:
	s_add_u32 s14, s14, (.LBB1_7368-.Lpost_getpc4460)&4294967295
	s_addc_u32 s15, s15, (.LBB1_7368-.Lpost_getpc4460)>>32
	s_setpc_b64 s[14:15]
.LBB1_3270:
	s_or_b64 exec, exec, s[6:7]
	v_or_b32_sdwa v12, v16, v12 dst_sel:DWORD dst_unused:UNUSED_PAD src0_sel:WORD_0 src1_sel:DWORD
	s_and_saveexec_b64 s[6:7], s[4:5]
	s_cbranch_execz .LBB1_3272
.LBB1_3271:
	v_and_b32_e32 v14, 3, v12
	v_ffbh_u32_e32 v17, v14
	v_min_u32_e32 v17, 32, v17
	v_lshrrev_b16_e32 v16, 2, v16
	v_subrev_u32_e32 v20, 29, v17
	v_and_b32_e32 v16, 31, v16
	v_lshlrev_b32_e32 v20, v20, v12
	v_sub_u32_e32 v17, 30, v17
	v_and_b32_e32 v20, 3, v20
	v_cmp_eq_u16_e32 vcc, 0, v16
	v_cndmask_b32_e32 v14, v14, v20, vcc
	v_cndmask_b32_e32 v16, v16, v17, vcc
	v_lshlrev_b32_e32 v17, 24, v12
	v_mov_b32_e32 v20, 0x37800000
	v_lshlrev_b32_e32 v14, 21, v14
	v_and_b32_e32 v17, 0x80000000, v17
	v_lshl_add_u32 v16, v16, 23, v20
	v_or3_b32 v14, v17, v16, v14
.LBB1_3272:
	s_or_b64 exec, exec, s[6:7]
	s_nop 0
	v_mfma_f32_16x16x4f32 a[0:3], v13, v14, a[0:3]
	v_lshrrev_b32_e32 v14, 8, v18
	s_movk_i32 s4, 0x7f
	v_cmp_gt_i16_sdwa s[6:7], v14, s4 src0_sel:BYTE_0 src1_sel:DWORD
	s_mov_b64 s[4:5], 0
                                        ; implicit-def: $sgpr10
	s_and_saveexec_b64 s[8:9], s[6:7]
	s_xor_b64 s[6:7], exec, s[8:9]
	s_cbranch_execz .LBB1_3273
; %bb.17115:
	s_getpc_b64 s[14:15]
.Lpost_getpc4461:
	s_add_u32 s14, s14, (.LBB1_7369-.Lpost_getpc4461)&4294967295
	s_addc_u32 s15, s15, (.LBB1_7369-.Lpost_getpc4461)>>32
	s_setpc_b64 s[14:15]
.LBB1_3273:
	s_or_saveexec_b64 s[6:7], s[6:7]
	v_mov_b32_e32 v13, s10
	s_xor_b64 exec, exec, s[6:7]
	s_cbranch_execz .LBB1_3274
; %bb.17117:
	s_getpc_b64 s[14:15]
.Lpost_getpc4462:
	s_add_u32 s14, s14, (.LBB1_7372-.Lpost_getpc4462)&4294967295
	s_addc_u32 s15, s15, (.LBB1_7372-.Lpost_getpc4462)>>32
	s_setpc_b64 s[14:15]
.LBB1_3274:
	s_or_b64 exec, exec, s[6:7]
	s_and_saveexec_b64 s[6:7], s[4:5]
	s_cbranch_execz .LBB1_3276
.LBB1_3275:
	v_bfe_u32 v13, v18, 8, 3
	v_ffbh_u32_e32 v17, v13
	v_min_u32_e32 v17, 32, v17
	v_lshrrev_b16_e32 v16, 3, v14
	v_subrev_u32_e32 v20, 28, v17
	v_and_b32_e32 v16, 15, v16
	v_lshlrev_b32_e32 v14, v20, v14
	v_sub_u32_e32 v17, 29, v17
	v_and_b32_e32 v14, 7, v14
	v_cmp_eq_u16_e32 vcc, 0, v16
	v_cndmask_b32_e32 v13, v13, v14, vcc
	v_cndmask_b32_e32 v14, v16, v17, vcc
	v_lshlrev_b32_e32 v16, 16, v18
	v_mov_b32_e32 v17, 0x3b800000
	v_lshlrev_b32_e32 v13, 20, v13
	v_and_b32_e32 v16, 0x80000000, v16
	v_lshl_add_u32 v14, v14, 23, v17
	v_or3_b32 v13, v16, v14, v13
.LBB1_3276:
	s_or_b64 exec, exec, s[6:7]
	v_lshrrev_b32_e32 v14, 8, v12
	s_movk_i32 s4, 0x7f
	v_cmp_gt_i16_sdwa s[6:7], v14, s4 src0_sel:BYTE_0 src1_sel:DWORD
	s_mov_b64 s[4:5], 0
                                        ; implicit-def: $sgpr10
	s_and_saveexec_b64 s[8:9], s[6:7]
	s_xor_b64 s[6:7], exec, s[8:9]
	s_cbranch_execz .LBB1_3277
; %bb.17119:
	s_getpc_b64 s[14:15]
.Lpost_getpc4463:
	s_add_u32 s14, s14, (.LBB1_7373-.Lpost_getpc4463)&4294967295
	s_addc_u32 s15, s15, (.LBB1_7373-.Lpost_getpc4463)>>32
	s_setpc_b64 s[14:15]
.LBB1_3277:
	s_or_saveexec_b64 s[6:7], s[6:7]
	v_mov_b32_e32 v16, s10
	s_xor_b64 exec, exec, s[6:7]
	s_cbranch_execz .LBB1_3278
; %bb.17121:
	s_getpc_b64 s[14:15]
.Lpost_getpc4464:
	s_add_u32 s14, s14, (.LBB1_7376-.Lpost_getpc4464)&4294967295
	s_addc_u32 s15, s15, (.LBB1_7376-.Lpost_getpc4464)>>32
	s_setpc_b64 s[14:15]
.LBB1_3278:
	s_or_b64 exec, exec, s[6:7]
	s_and_saveexec_b64 s[6:7], s[4:5]
	s_cbranch_execz .LBB1_3280
.LBB1_3279:
	v_bfe_u32 v16, v12, 8, 2
	v_ffbh_u32_e32 v20, v16
	v_min_u32_e32 v20, 32, v20
	v_lshrrev_b16_e32 v17, 2, v14
	v_subrev_u32_e32 v21, 29, v20
	v_and_b32_e32 v17, 31, v17
	v_lshlrev_b32_e32 v14, v21, v14
	v_sub_u32_e32 v20, 30, v20
	v_and_b32_e32 v14, 3, v14
	v_cmp_eq_u16_e32 vcc, 0, v17
	v_cndmask_b32_e32 v14, v16, v14, vcc
	v_cndmask_b32_e32 v16, v17, v20, vcc
	v_lshlrev_b32_e32 v17, 16, v12
	v_mov_b32_e32 v20, 0x37800000
	v_lshlrev_b32_e32 v14, 21, v14
	v_and_b32_e32 v17, 0x80000000, v17
	v_lshl_add_u32 v16, v16, 23, v20
	v_or3_b32 v16, v17, v16, v14
.LBB1_3280:
	s_or_b64 exec, exec, s[6:7]
	s_nop 0
	v_mfma_f32_16x16x4f32 a[0:3], v13, v16, a[0:3]
	s_movk_i32 s4, 0xff
	v_and_b32_sdwa v14, v18, s4 dst_sel:DWORD dst_unused:UNUSED_PAD src0_sel:WORD_1 src1_sel:DWORD
	s_movk_i32 s4, 0x7f
	v_cmp_lt_i16_e32 vcc, s4, v14
	s_mov_b64 s[4:5], 0
                                        ; implicit-def: $sgpr10
	s_and_saveexec_b64 s[6:7], vcc
	s_xor_b64 s[6:7], exec, s[6:7]
	s_cbranch_execz .LBB1_3281
; %bb.17123:
	s_getpc_b64 s[14:15]
.Lpost_getpc4465:
	s_add_u32 s14, s14, (.LBB1_7377-.Lpost_getpc4465)&4294967295
	s_addc_u32 s15, s15, (.LBB1_7377-.Lpost_getpc4465)>>32
	s_setpc_b64 s[14:15]
.LBB1_3281:
	s_or_saveexec_b64 s[6:7], s[6:7]
	v_mov_b32_e32 v13, s10
	s_xor_b64 exec, exec, s[6:7]
	s_cbranch_execz .LBB1_3282
; %bb.17125:
	s_getpc_b64 s[14:15]
.Lpost_getpc4466:
	s_add_u32 s14, s14, (.LBB1_7380-.Lpost_getpc4466)&4294967295
	s_addc_u32 s15, s15, (.LBB1_7380-.Lpost_getpc4466)>>32
	s_setpc_b64 s[14:15]
.LBB1_3282:
	s_or_b64 exec, exec, s[6:7]
	s_and_saveexec_b64 s[6:7], s[4:5]
	s_cbranch_execz .LBB1_3284
.LBB1_3283:
	v_bfe_u32 v13, v18, 16, 3
	v_ffbh_u32_e32 v17, v13
	v_min_u32_e32 v17, 32, v17
	v_lshrrev_b32_e32 v14, 19, v18
	v_subrev_u32_e32 v20, 28, v17
	v_and_b32_e32 v14, 15, v14
	v_lshlrev_b32_sdwa v20, v20, v18 dst_sel:DWORD dst_unused:UNUSED_PAD src0_sel:DWORD src1_sel:WORD_1
	v_bfe_u32 v16, v18, 19, 4
	v_sub_u32_e32 v17, 29, v17
	v_and_b32_e32 v20, 7, v20
	v_cmp_eq_u16_e32 vcc, 0, v14
	v_cndmask_b32_e32 v13, v13, v20, vcc
	v_cndmask_b32_e32 v14, v16, v17, vcc
	v_lshlrev_b32_e32 v16, 8, v18
	v_mov_b32_e32 v17, 0x3b800000
	v_lshlrev_b32_e32 v13, 20, v13
	v_and_b32_e32 v16, 0x80000000, v16
	v_lshl_add_u32 v14, v14, 23, v17
	v_or3_b32 v13, v16, v14, v13
.LBB1_3284:
	s_or_b64 exec, exec, s[6:7]
	s_movk_i32 s4, 0xff
	v_and_b32_sdwa v14, v12, s4 dst_sel:DWORD dst_unused:UNUSED_PAD src0_sel:WORD_1 src1_sel:DWORD
	s_movk_i32 s4, 0x7f
	v_cmp_lt_i16_e32 vcc, s4, v14
	s_mov_b64 s[4:5], 0
                                        ; implicit-def: $sgpr10
	s_and_saveexec_b64 s[6:7], vcc
	s_xor_b64 s[6:7], exec, s[6:7]
	s_cbranch_execz .LBB1_3285
; %bb.17127:
	s_getpc_b64 s[14:15]
.Lpost_getpc4467:
	s_add_u32 s14, s14, (.LBB1_7381-.Lpost_getpc4467)&4294967295
	s_addc_u32 s15, s15, (.LBB1_7381-.Lpost_getpc4467)>>32
	s_setpc_b64 s[14:15]
.LBB1_3285:
	s_or_saveexec_b64 s[6:7], s[6:7]
	v_mov_b32_e32 v16, s10
	s_xor_b64 exec, exec, s[6:7]
	s_cbranch_execz .LBB1_3286
; %bb.17129:
	s_getpc_b64 s[14:15]
.Lpost_getpc4468:
	s_add_u32 s14, s14, (.LBB1_7384-.Lpost_getpc4468)&4294967295
	s_addc_u32 s15, s15, (.LBB1_7384-.Lpost_getpc4468)>>32
	s_setpc_b64 s[14:15]
.LBB1_3286:
	s_or_b64 exec, exec, s[6:7]
	s_and_saveexec_b64 s[6:7], s[4:5]
	s_cbranch_execz .LBB1_3288
.LBB1_3287:
	v_bfe_u32 v14, v12, 16, 2
	v_ffbh_u32_e32 v20, v14
	v_min_u32_e32 v20, 32, v20
	v_lshrrev_b32_e32 v16, 18, v12
	v_subrev_u32_e32 v21, 29, v20
	v_and_b32_e32 v16, 31, v16
	v_lshlrev_b32_sdwa v21, v21, v12 dst_sel:DWORD dst_unused:UNUSED_PAD src0_sel:DWORD src1_sel:WORD_1
	v_bfe_u32 v17, v12, 18, 5
	v_sub_u32_e32 v20, 30, v20
	v_and_b32_e32 v21, 3, v21
	v_cmp_eq_u16_e32 vcc, 0, v16
	v_cndmask_b32_e32 v14, v14, v21, vcc
	v_cndmask_b32_e32 v16, v17, v20, vcc
	v_lshlrev_b32_e32 v17, 8, v12
	v_mov_b32_e32 v20, 0x37800000
	v_lshlrev_b32_e32 v14, 21, v14
	v_and_b32_e32 v17, 0x80000000, v17
	v_lshl_add_u32 v16, v16, 23, v20
	v_or3_b32 v16, v17, v16, v14
.LBB1_3288:
	s_or_b64 exec, exec, s[6:7]
	s_nop 0
	v_mfma_f32_16x16x4f32 a[0:3], v13, v16, a[0:3]
	s_movk_i32 s4, 0x7f
	v_cmp_gt_i16_sdwa s[6:7], v18, s4 src0_sel:BYTE_3 src1_sel:DWORD
	s_mov_b64 s[4:5], 0
                                        ; implicit-def: $sgpr10
	s_and_saveexec_b64 s[8:9], s[6:7]
	s_xor_b64 s[6:7], exec, s[8:9]
	s_cbranch_execz .LBB1_3289
; %bb.17131:
	s_getpc_b64 s[14:15]
.Lpost_getpc4469:
	s_add_u32 s14, s14, (.LBB1_7385-.Lpost_getpc4469)&4294967295
	s_addc_u32 s15, s15, (.LBB1_7385-.Lpost_getpc4469)>>32
	s_setpc_b64 s[14:15]
.LBB1_3289:
	s_or_saveexec_b64 s[6:7], s[6:7]
	v_mov_b32_e32 v13, s10
	s_xor_b64 exec, exec, s[6:7]
	s_cbranch_execz .LBB1_3290
; %bb.17133:
	s_getpc_b64 s[14:15]
.Lpost_getpc4470:
	s_add_u32 s14, s14, (.LBB1_7388-.Lpost_getpc4470)&4294967295
	s_addc_u32 s15, s15, (.LBB1_7388-.Lpost_getpc4470)>>32
	s_setpc_b64 s[14:15]
.LBB1_3290:
	s_or_b64 exec, exec, s[6:7]
	s_and_saveexec_b64 s[6:7], s[4:5]
	s_cbranch_execz .LBB1_3292
.LBB1_3291:
	v_bfe_u32 v13, v18, 24, 3
	v_ffbh_u32_e32 v20, v13
	v_min_u32_e32 v20, 32, v20
	v_lshrrev_b32_e32 v16, 27, v18
	v_subrev_u32_e32 v21, 28, v20
	v_and_b32_e32 v14, 0x80000000, v18
	v_and_b32_e32 v16, 15, v16
	v_bfe_u32 v17, v18, 27, 4
	v_lshlrev_b32_sdwa v18, v21, v18 dst_sel:DWORD dst_unused:UNUSED_PAD src0_sel:DWORD src1_sel:BYTE_3
	v_sub_u32_e32 v20, 29, v20
	v_and_b32_e32 v18, 7, v18
	v_cmp_eq_u16_e32 vcc, 0, v16
	v_cndmask_b32_e32 v13, v13, v18, vcc
	v_cndmask_b32_e32 v16, v17, v20, vcc
	v_mov_b32_e32 v17, 0x3b800000
	v_lshlrev_b32_e32 v13, 20, v13
	v_lshl_add_u32 v16, v16, 23, v17
	v_or3_b32 v13, v14, v16, v13
.LBB1_3292:
	s_or_b64 exec, exec, s[6:7]
	s_movk_i32 s4, 0x7f
	v_cmp_gt_i16_sdwa s[6:7], v12, s4 src0_sel:BYTE_3 src1_sel:DWORD
	s_mov_b64 s[4:5], 0
                                        ; implicit-def: $sgpr10
	s_and_saveexec_b64 s[8:9], s[6:7]
	s_xor_b64 s[6:7], exec, s[8:9]
	s_cbranch_execz .LBB1_3293
; %bb.17135:
	s_getpc_b64 s[14:15]
.Lpost_getpc4471:
	s_add_u32 s14, s14, (.LBB1_7389-.Lpost_getpc4471)&4294967295
	s_addc_u32 s15, s15, (.LBB1_7389-.Lpost_getpc4471)>>32
	s_setpc_b64 s[14:15]
.LBB1_3293:
	s_or_saveexec_b64 s[6:7], s[6:7]
	v_mov_b32_e32 v14, s10
	s_xor_b64 exec, exec, s[6:7]
	s_cbranch_execz .LBB1_3294
; %bb.17137:
	s_getpc_b64 s[14:15]
.Lpost_getpc4472:
	s_add_u32 s14, s14, (.LBB1_7392-.Lpost_getpc4472)&4294967295
	s_addc_u32 s15, s15, (.LBB1_7392-.Lpost_getpc4472)>>32
	s_setpc_b64 s[14:15]
.LBB1_3294:
	s_or_b64 exec, exec, s[6:7]
	s_and_saveexec_b64 s[6:7], s[4:5]
	s_cbranch_execz .LBB1_3296
.LBB1_3295:
	v_bfe_u32 v14, v12, 24, 2
	v_ffbh_u32_e32 v20, v14
	v_min_u32_e32 v20, 32, v20
	v_lshrrev_b32_e32 v17, 26, v12
	v_subrev_u32_e32 v21, 29, v20
	v_and_b32_e32 v16, 0x80000000, v12
	v_and_b32_e32 v17, 31, v17
	v_bfe_u32 v18, v12, 26, 5
	v_lshlrev_b32_sdwa v12, v21, v12 dst_sel:DWORD dst_unused:UNUSED_PAD src0_sel:DWORD src1_sel:BYTE_3
	v_sub_u32_e32 v20, 30, v20
	v_and_b32_e32 v12, 3, v12
	v_cmp_eq_u16_e32 vcc, 0, v17
	v_cndmask_b32_e32 v12, v14, v12, vcc
	v_cndmask_b32_e32 v14, v18, v20, vcc
	v_mov_b32_e32 v17, 0x37800000
	v_lshlrev_b32_e32 v12, 21, v12
	v_lshl_add_u32 v14, v14, 23, v17
	v_or3_b32 v14, v16, v14, v12
.LBB1_3296:
	s_or_b64 exec, exec, s[6:7]
	s_nop 0
	v_mfma_f32_16x16x4f32 a[0:3], v13, v14, a[0:3]
	s_movk_i32 s4, 0x7f
	v_cmp_gt_i16_sdwa s[6:7], v19, s4 src0_sel:BYTE_0 src1_sel:DWORD
	s_mov_b64 s[4:5], 0
                                        ; implicit-def: $sgpr10
	s_and_saveexec_b64 s[8:9], s[6:7]
	s_xor_b64 s[6:7], exec, s[8:9]
	s_cbranch_execz .LBB1_3297
; %bb.17139:
	s_getpc_b64 s[14:15]
.Lpost_getpc4473:
	s_add_u32 s14, s14, (.LBB1_7393-.Lpost_getpc4473)&4294967295
	s_addc_u32 s15, s15, (.LBB1_7393-.Lpost_getpc4473)>>32
	s_setpc_b64 s[14:15]
.LBB1_3297:
	s_or_saveexec_b64 s[6:7], s[6:7]
	v_mov_b32_e32 v12, s10
	s_xor_b64 exec, exec, s[6:7]
	s_cbranch_execz .LBB1_3298
; %bb.17141:
	s_getpc_b64 s[14:15]
.Lpost_getpc4474:
	s_add_u32 s14, s14, (.LBB1_7396-.Lpost_getpc4474)&4294967295
	s_addc_u32 s15, s15, (.LBB1_7396-.Lpost_getpc4474)>>32
	s_setpc_b64 s[14:15]
.LBB1_3298:
	s_or_b64 exec, exec, s[6:7]
	s_and_saveexec_b64 s[6:7], s[4:5]
	s_cbranch_execz .LBB1_3300
.LBB1_3299:
	v_mov_b32_e32 v12, 8
	v_and_b32_e32 v13, 7, v19
	v_lshrrev_b32_sdwa v12, v12, v19 dst_sel:BYTE_1 dst_unused:UNUSED_PAD src0_sel:DWORD src1_sel:DWORD
	v_ffbh_u32_e32 v14, v13
	v_or_b32_sdwa v12, v19, v12 dst_sel:DWORD dst_unused:UNUSED_PAD src0_sel:BYTE_0 src1_sel:DWORD
	v_min_u32_e32 v14, 32, v14
	v_lshrrev_b16_e32 v12, 3, v12
	v_subrev_u32_e32 v16, 28, v14
	v_and_b32_e32 v12, 15, v12
	v_lshlrev_b32_e32 v16, v16, v19
	v_sub_u32_e32 v14, 29, v14
	v_and_b32_e32 v16, 7, v16
	v_cmp_eq_u16_e32 vcc, 0, v12
	v_cndmask_b32_e32 v13, v13, v16, vcc
	v_cndmask_b32_e32 v12, v12, v14, vcc
	v_lshlrev_b32_e32 v14, 24, v19
	v_mov_b32_e32 v16, 0x3b800000
	v_lshlrev_b32_e32 v13, 20, v13
	v_and_b32_e32 v14, 0x80000000, v14
	v_lshl_add_u32 v12, v12, 23, v16
	v_or3_b32 v12, v14, v12, v13
.LBB1_3300:
	s_or_b64 exec, exec, s[6:7]
	s_movk_i32 s4, 0x7f
	v_cmp_gt_i16_sdwa s[6:7], v15, s4 src0_sel:BYTE_0 src1_sel:DWORD
	s_mov_b64 s[4:5], 0
                                        ; implicit-def: $sgpr10
	s_and_saveexec_b64 s[8:9], s[6:7]
	s_xor_b64 s[6:7], exec, s[8:9]
	s_cbranch_execz .LBB1_3301
; %bb.17143:
	s_getpc_b64 s[14:15]
.Lpost_getpc4475:
	s_add_u32 s14, s14, (.LBB1_7397-.Lpost_getpc4475)&4294967295
	s_addc_u32 s15, s15, (.LBB1_7397-.Lpost_getpc4475)>>32
	s_setpc_b64 s[14:15]
.LBB1_3301:
	s_or_saveexec_b64 s[6:7], s[6:7]
	v_mov_b32_e32 v13, s10
	s_xor_b64 exec, exec, s[6:7]
	s_cbranch_execz .LBB1_3302
; %bb.17145:
	s_getpc_b64 s[14:15]
.Lpost_getpc4476:
	s_add_u32 s14, s14, (.LBB1_7400-.Lpost_getpc4476)&4294967295
	s_addc_u32 s15, s15, (.LBB1_7400-.Lpost_getpc4476)>>32
	s_setpc_b64 s[14:15]
.LBB1_3302:
	s_or_b64 exec, exec, s[6:7]
	s_and_saveexec_b64 s[6:7], s[4:5]
	s_cbranch_execz .LBB1_3304
.LBB1_3303:
	v_and_b32_e32 v13, 3, v15
	v_ffbh_u32_e32 v16, v13
	v_min_u32_e32 v16, 32, v16
	v_lshrrev_b16_e32 v14, 2, v15
	v_subrev_u32_e32 v17, 29, v16
	v_and_b32_e32 v14, 31, v14
	v_lshlrev_b32_e32 v17, v17, v15
	v_sub_u32_e32 v16, 30, v16
	v_and_b32_e32 v17, 3, v17
	v_cmp_eq_u16_e32 vcc, 0, v14
	v_cndmask_b32_e32 v13, v13, v17, vcc
	v_cndmask_b32_e32 v14, v14, v16, vcc
	v_lshlrev_b32_e32 v16, 24, v15
	v_mov_b32_e32 v17, 0x37800000
	v_lshlrev_b32_e32 v13, 21, v13
	v_and_b32_e32 v16, 0x80000000, v16
	v_lshl_add_u32 v14, v14, 23, v17
	v_or3_b32 v13, v16, v14, v13
.LBB1_3304:
	s_or_b64 exec, exec, s[6:7]
	s_nop 0
	v_mfma_f32_16x16x4f32 a[0:3], v12, v13, a[0:3]
	v_lshrrev_b32_e32 v13, 8, v19
	s_movk_i32 s4, 0x7f
	v_cmp_gt_i16_sdwa s[6:7], v13, s4 src0_sel:BYTE_0 src1_sel:DWORD
	s_mov_b64 s[4:5], 0
                                        ; implicit-def: $sgpr10
	s_and_saveexec_b64 s[8:9], s[6:7]
	s_xor_b64 s[6:7], exec, s[8:9]
	s_cbranch_execz .LBB1_3305
; %bb.17147:
	s_getpc_b64 s[14:15]
.Lpost_getpc4477:
	s_add_u32 s14, s14, (.LBB1_7401-.Lpost_getpc4477)&4294967295
	s_addc_u32 s15, s15, (.LBB1_7401-.Lpost_getpc4477)>>32
	s_setpc_b64 s[14:15]
.LBB1_3305:
	s_or_saveexec_b64 s[6:7], s[6:7]
	v_mov_b32_e32 v12, s10
	s_xor_b64 exec, exec, s[6:7]
	s_cbranch_execz .LBB1_3306
; %bb.17149:
	s_getpc_b64 s[14:15]
.Lpost_getpc4478:
	s_add_u32 s14, s14, (.LBB1_7404-.Lpost_getpc4478)&4294967295
	s_addc_u32 s15, s15, (.LBB1_7404-.Lpost_getpc4478)>>32
	s_setpc_b64 s[14:15]
.LBB1_3306:
	s_or_b64 exec, exec, s[6:7]
	s_and_saveexec_b64 s[6:7], s[4:5]
	s_cbranch_execz .LBB1_3308
.LBB1_3307:
	v_bfe_u32 v12, v19, 8, 3
	v_ffbh_u32_e32 v16, v12
	v_min_u32_e32 v16, 32, v16
	v_lshrrev_b16_e32 v14, 3, v13
	v_subrev_u32_e32 v17, 28, v16
	v_and_b32_e32 v14, 15, v14
	v_lshlrev_b32_e32 v13, v17, v13
	v_sub_u32_e32 v16, 29, v16
	v_and_b32_e32 v13, 7, v13
	v_cmp_eq_u16_e32 vcc, 0, v14
	v_cndmask_b32_e32 v12, v12, v13, vcc
	v_cndmask_b32_e32 v13, v14, v16, vcc
	v_lshlrev_b32_e32 v14, 16, v19
	v_mov_b32_e32 v16, 0x3b800000
	v_lshlrev_b32_e32 v12, 20, v12
	v_and_b32_e32 v14, 0x80000000, v14
	v_lshl_add_u32 v13, v13, 23, v16
	v_or3_b32 v12, v14, v13, v12
.LBB1_3308:
	s_or_b64 exec, exec, s[6:7]
	v_lshrrev_b32_e32 v13, 8, v15
	s_movk_i32 s4, 0x7f
	v_cmp_gt_i16_sdwa s[6:7], v13, s4 src0_sel:BYTE_0 src1_sel:DWORD
	s_mov_b64 s[4:5], 0
                                        ; implicit-def: $sgpr10
	s_and_saveexec_b64 s[8:9], s[6:7]
	s_xor_b64 s[6:7], exec, s[8:9]
	s_cbranch_execz .LBB1_3309
; %bb.17151:
	s_getpc_b64 s[14:15]
.Lpost_getpc4479:
	s_add_u32 s14, s14, (.LBB1_7405-.Lpost_getpc4479)&4294967295
	s_addc_u32 s15, s15, (.LBB1_7405-.Lpost_getpc4479)>>32
	s_setpc_b64 s[14:15]
.LBB1_3309:
	s_or_saveexec_b64 s[6:7], s[6:7]
	v_mov_b32_e32 v14, s10
	s_xor_b64 exec, exec, s[6:7]
	s_cbranch_execz .LBB1_3310
; %bb.17153:
	s_getpc_b64 s[14:15]
.Lpost_getpc4480:
	s_add_u32 s14, s14, (.LBB1_7408-.Lpost_getpc4480)&4294967295
	s_addc_u32 s15, s15, (.LBB1_7408-.Lpost_getpc4480)>>32
	s_setpc_b64 s[14:15]
.LBB1_3310:
	s_or_b64 exec, exec, s[6:7]
	s_and_saveexec_b64 s[6:7], s[4:5]
	s_cbranch_execz .LBB1_3312
.LBB1_3311:
	v_bfe_u32 v14, v15, 8, 2
	v_ffbh_u32_e32 v17, v14
	v_min_u32_e32 v17, 32, v17
	v_lshrrev_b16_e32 v16, 2, v13
	v_subrev_u32_e32 v18, 29, v17
	v_and_b32_e32 v16, 31, v16
	v_lshlrev_b32_e32 v13, v18, v13
	v_sub_u32_e32 v17, 30, v17
	v_and_b32_e32 v13, 3, v13
	v_cmp_eq_u16_e32 vcc, 0, v16
	v_cndmask_b32_e32 v13, v14, v13, vcc
	v_cndmask_b32_e32 v14, v16, v17, vcc
	v_lshlrev_b32_e32 v16, 16, v15
	v_mov_b32_e32 v17, 0x37800000
	v_lshlrev_b32_e32 v13, 21, v13
	v_and_b32_e32 v16, 0x80000000, v16
	v_lshl_add_u32 v14, v14, 23, v17
	v_or3_b32 v14, v16, v14, v13
.LBB1_3312:
	s_or_b64 exec, exec, s[6:7]
	s_nop 0
	v_mfma_f32_16x16x4f32 a[0:3], v12, v14, a[0:3]
	s_movk_i32 s4, 0xff
	v_and_b32_sdwa v13, v19, s4 dst_sel:DWORD dst_unused:UNUSED_PAD src0_sel:WORD_1 src1_sel:DWORD
	s_movk_i32 s4, 0x7f
	v_cmp_lt_i16_e32 vcc, s4, v13
	s_mov_b64 s[4:5], 0
                                        ; implicit-def: $sgpr10
	s_and_saveexec_b64 s[6:7], vcc
	s_xor_b64 s[6:7], exec, s[6:7]
	s_cbranch_execz .LBB1_3313
; %bb.17155:
	s_getpc_b64 s[14:15]
.Lpost_getpc4481:
	s_add_u32 s14, s14, (.LBB1_7409-.Lpost_getpc4481)&4294967295
	s_addc_u32 s15, s15, (.LBB1_7409-.Lpost_getpc4481)>>32
	s_setpc_b64 s[14:15]
.LBB1_3313:
	s_or_saveexec_b64 s[6:7], s[6:7]
	v_mov_b32_e32 v12, s10
	s_xor_b64 exec, exec, s[6:7]
	s_cbranch_execz .LBB1_3314
; %bb.17157:
	s_getpc_b64 s[14:15]
.Lpost_getpc4482:
	s_add_u32 s14, s14, (.LBB1_7412-.Lpost_getpc4482)&4294967295
	s_addc_u32 s15, s15, (.LBB1_7412-.Lpost_getpc4482)>>32
	s_setpc_b64 s[14:15]
.LBB1_3314:
	s_or_b64 exec, exec, s[6:7]
	s_and_saveexec_b64 s[6:7], s[4:5]
	s_cbranch_execz .LBB1_3316
.LBB1_3315:
	v_bfe_u32 v12, v19, 16, 3
	v_ffbh_u32_e32 v16, v12
	v_min_u32_e32 v16, 32, v16
	v_lshrrev_b32_e32 v13, 19, v19
	v_subrev_u32_e32 v17, 28, v16
	v_and_b32_e32 v13, 15, v13
	v_lshlrev_b32_sdwa v17, v17, v19 dst_sel:DWORD dst_unused:UNUSED_PAD src0_sel:DWORD src1_sel:WORD_1
	v_bfe_u32 v14, v19, 19, 4
	v_sub_u32_e32 v16, 29, v16
	v_and_b32_e32 v17, 7, v17
	v_cmp_eq_u16_e32 vcc, 0, v13
	v_cndmask_b32_e32 v12, v12, v17, vcc
	v_cndmask_b32_e32 v13, v14, v16, vcc
	v_lshlrev_b32_e32 v14, 8, v19
	v_mov_b32_e32 v16, 0x3b800000
	v_lshlrev_b32_e32 v12, 20, v12
	v_and_b32_e32 v14, 0x80000000, v14
	v_lshl_add_u32 v13, v13, 23, v16
	v_or3_b32 v12, v14, v13, v12
.LBB1_3316:
	s_or_b64 exec, exec, s[6:7]
	s_movk_i32 s4, 0xff
	v_and_b32_sdwa v13, v15, s4 dst_sel:DWORD dst_unused:UNUSED_PAD src0_sel:WORD_1 src1_sel:DWORD
	s_movk_i32 s4, 0x7f
	v_cmp_lt_i16_e32 vcc, s4, v13
	s_mov_b64 s[4:5], 0
                                        ; implicit-def: $sgpr10
	s_and_saveexec_b64 s[6:7], vcc
	s_xor_b64 s[6:7], exec, s[6:7]
	s_cbranch_execz .LBB1_3317
; %bb.17159:
	s_getpc_b64 s[14:15]
.Lpost_getpc4483:
	s_add_u32 s14, s14, (.LBB1_7413-.Lpost_getpc4483)&4294967295
	s_addc_u32 s15, s15, (.LBB1_7413-.Lpost_getpc4483)>>32
	s_setpc_b64 s[14:15]
.LBB1_3317:
	s_or_saveexec_b64 s[6:7], s[6:7]
	v_mov_b32_e32 v14, s10
	s_xor_b64 exec, exec, s[6:7]
	s_cbranch_execz .LBB1_3318
; %bb.17161:
	s_getpc_b64 s[14:15]
.Lpost_getpc4484:
	s_add_u32 s14, s14, (.LBB1_7416-.Lpost_getpc4484)&4294967295
	s_addc_u32 s15, s15, (.LBB1_7416-.Lpost_getpc4484)>>32
	s_setpc_b64 s[14:15]
.LBB1_3318:
	s_or_b64 exec, exec, s[6:7]
	s_and_saveexec_b64 s[6:7], s[4:5]
	s_cbranch_execz .LBB1_3320
.LBB1_3319:
	v_bfe_u32 v13, v15, 16, 2
	v_ffbh_u32_e32 v17, v13
	v_min_u32_e32 v17, 32, v17
	v_lshrrev_b32_e32 v14, 18, v15
	v_subrev_u32_e32 v18, 29, v17
	v_and_b32_e32 v14, 31, v14
	v_lshlrev_b32_sdwa v18, v18, v15 dst_sel:DWORD dst_unused:UNUSED_PAD src0_sel:DWORD src1_sel:WORD_1
	v_bfe_u32 v16, v15, 18, 5
	v_sub_u32_e32 v17, 30, v17
	v_and_b32_e32 v18, 3, v18
	v_cmp_eq_u16_e32 vcc, 0, v14
	v_cndmask_b32_e32 v13, v13, v18, vcc
	v_cndmask_b32_e32 v14, v16, v17, vcc
	v_lshlrev_b32_e32 v16, 8, v15
	v_mov_b32_e32 v17, 0x37800000
	v_lshlrev_b32_e32 v13, 21, v13
	v_and_b32_e32 v16, 0x80000000, v16
	v_lshl_add_u32 v14, v14, 23, v17
	v_or3_b32 v14, v16, v14, v13
.LBB1_3320:
	s_or_b64 exec, exec, s[6:7]
	s_nop 0
	v_mfma_f32_16x16x4f32 a[0:3], v12, v14, a[0:3]
	s_movk_i32 s4, 0x7f
	v_cmp_gt_i16_sdwa s[6:7], v19, s4 src0_sel:BYTE_3 src1_sel:DWORD
	s_mov_b64 s[4:5], 0
                                        ; implicit-def: $sgpr10
	s_and_saveexec_b64 s[8:9], s[6:7]
	s_xor_b64 s[6:7], exec, s[8:9]
	s_cbranch_execz .LBB1_3321
; %bb.17163:
	s_getpc_b64 s[14:15]
.Lpost_getpc4485:
	s_add_u32 s14, s14, (.LBB1_7417-.Lpost_getpc4485)&4294967295
	s_addc_u32 s15, s15, (.LBB1_7417-.Lpost_getpc4485)>>32
	s_setpc_b64 s[14:15]
.LBB1_3321:
	s_or_saveexec_b64 s[6:7], s[6:7]
	v_mov_b32_e32 v12, s10
	s_xor_b64 exec, exec, s[6:7]
	s_cbranch_execz .LBB1_3322
; %bb.17165:
	s_getpc_b64 s[14:15]
.Lpost_getpc4486:
	s_add_u32 s14, s14, (.LBB1_7420-.Lpost_getpc4486)&4294967295
	s_addc_u32 s15, s15, (.LBB1_7420-.Lpost_getpc4486)>>32
	s_setpc_b64 s[14:15]
.LBB1_3322:
	s_or_b64 exec, exec, s[6:7]
	s_and_saveexec_b64 s[6:7], s[4:5]
	s_cbranch_execz .LBB1_3324
.LBB1_3323:
	v_bfe_u32 v12, v19, 24, 3
	v_ffbh_u32_e32 v17, v12
	v_min_u32_e32 v17, 32, v17
	v_lshrrev_b32_e32 v14, 27, v19
	v_subrev_u32_e32 v18, 28, v17
	v_and_b32_e32 v14, 15, v14
	v_lshlrev_b32_sdwa v18, v18, v19 dst_sel:DWORD dst_unused:UNUSED_PAD src0_sel:DWORD src1_sel:BYTE_3
	v_bfe_u32 v16, v19, 27, 4
	v_sub_u32_e32 v17, 29, v17
	v_and_b32_e32 v18, 7, v18
	v_cmp_eq_u16_e32 vcc, 0, v14
	v_cndmask_b32_e32 v12, v12, v18, vcc
	v_cndmask_b32_e32 v14, v16, v17, vcc
	v_mov_b32_e32 v16, 0x3b800000
	v_and_b32_e32 v13, 0x80000000, v19
	v_lshlrev_b32_e32 v12, 20, v12
	v_lshl_add_u32 v14, v14, 23, v16
	v_or3_b32 v12, v13, v14, v12
.LBB1_3324:
	s_or_b64 exec, exec, s[6:7]
	s_movk_i32 s4, 0x7f
	v_cmp_gt_i16_sdwa s[6:7], v15, s4 src0_sel:BYTE_3 src1_sel:DWORD
	s_mov_b64 s[4:5], 0
                                        ; implicit-def: $sgpr10
	s_and_saveexec_b64 s[8:9], s[6:7]
	s_xor_b64 s[6:7], exec, s[8:9]
	s_cbranch_execz .LBB1_3325
; %bb.17167:
	s_getpc_b64 s[14:15]
.Lpost_getpc4487:
	s_add_u32 s14, s14, (.LBB1_7421-.Lpost_getpc4487)&4294967295
	s_addc_u32 s15, s15, (.LBB1_7421-.Lpost_getpc4487)>>32
	s_setpc_b64 s[14:15]
.LBB1_3325:
	s_or_saveexec_b64 s[6:7], s[6:7]
	v_mov_b32_e32 v13, s10
	s_xor_b64 exec, exec, s[6:7]
	s_cbranch_execz .LBB1_3326
; %bb.17169:
	s_getpc_b64 s[14:15]
.Lpost_getpc4488:
	s_add_u32 s14, s14, (.LBB1_7424-.Lpost_getpc4488)&4294967295
	s_addc_u32 s15, s15, (.LBB1_7424-.Lpost_getpc4488)>>32
	s_setpc_b64 s[14:15]
.LBB1_3326:
	s_or_b64 exec, exec, s[6:7]
	s_and_saveexec_b64 s[6:7], s[4:5]
	s_cbranch_execz .LBB1_3328
.LBB1_3327:
	v_bfe_u32 v13, v15, 24, 2
	v_ffbh_u32_e32 v18, v13
	v_min_u32_e32 v18, 32, v18
	v_lshrrev_b32_e32 v16, 26, v15
	v_subrev_u32_e32 v19, 29, v18
	v_and_b32_e32 v14, 0x80000000, v15
	v_and_b32_e32 v16, 31, v16
	v_bfe_u32 v17, v15, 26, 5
	v_lshlrev_b32_sdwa v15, v19, v15 dst_sel:DWORD dst_unused:UNUSED_PAD src0_sel:DWORD src1_sel:BYTE_3
	v_sub_u32_e32 v18, 30, v18
	v_and_b32_e32 v15, 3, v15
	v_cmp_eq_u16_e32 vcc, 0, v16
	v_cndmask_b32_e32 v13, v13, v15, vcc
	v_cndmask_b32_e32 v15, v17, v18, vcc
	v_mov_b32_e32 v16, 0x37800000
	v_lshlrev_b32_e32 v13, 21, v13
	v_lshl_add_u32 v15, v15, 23, v16
	v_or3_b32 v13, v14, v15, v13
.LBB1_3328:
	s_or_b64 exec, exec, s[6:7]
	s_nop 0
	v_mfma_f32_16x16x4f32 a[0:3], v12, v13, a[0:3]
	v_mov_b32_e32 v16, 8
	s_movk_i32 s4, 0x7f
                                        ; implicit-def: $sgpr10
	s_nop 7
	s_nop 0
	flat_store_dwordx4 v[10:11], a[0:3] offset:400
	flat_load_dword v14, v[0:1] offset:544
	flat_load_dwordx2 v[12:13], v[6:7]
	s_waitcnt vmcnt(0) lgkmcnt(0)
	v_ashrrev_i32_e32 v15, 31, v14
	v_add_co_u32_e32 v12, vcc, v12, v14
	v_addc_co_u32_e32 v13, vcc, v13, v15, vcc
	flat_load_dwordx4 v[12:15], v[12:13] offset:1024
	s_waitcnt vmcnt(0) lgkmcnt(0)
	v_lshrrev_b32_sdwa v20, v16, v14 dst_sel:BYTE_1 dst_unused:UNUSED_PAD src0_sel:DWORD src1_sel:DWORD
	flat_store_dwordx4 v[8:9], v[12:15]
	flat_load_dwordx4 v[16:19], v[4:5]
	s_waitcnt vmcnt(0) lgkmcnt(0)
	v_cmp_gt_i16_sdwa s[6:7], v16, s4 src0_sel:BYTE_0 src1_sel:DWORD
	s_mov_b64 s[4:5], 0
	s_and_saveexec_b64 s[8:9], s[6:7]
	s_xor_b64 s[6:7], exec, s[8:9]
	s_cbranch_execz .LBB1_3329
; %bb.17171:
	s_getpc_b64 s[14:15]
.Lpost_getpc4489:
	s_add_u32 s14, s14, (.LBB1_7425-.Lpost_getpc4489)&4294967295
	s_addc_u32 s15, s15, (.LBB1_7425-.Lpost_getpc4489)>>32
	s_setpc_b64 s[14:15]
.LBB1_3329:
	s_or_saveexec_b64 s[6:7], s[6:7]
	v_mov_b32_e32 v21, s10
	s_xor_b64 exec, exec, s[6:7]
	s_cbranch_execz .LBB1_3330
; %bb.17173:
	s_getpc_b64 s[14:15]
.Lpost_getpc4490:
	s_add_u32 s14, s14, (.LBB1_7428-.Lpost_getpc4490)&4294967295
	s_addc_u32 s15, s15, (.LBB1_7428-.Lpost_getpc4490)>>32
	s_setpc_b64 s[14:15]
.LBB1_3330:
	s_or_b64 exec, exec, s[6:7]
	s_and_saveexec_b64 s[6:7], s[4:5]
	s_cbranch_execz .LBB1_3332
.LBB1_3331:
	v_and_b32_e32 v21, 7, v16
	v_ffbh_u32_e32 v23, v21
	v_min_u32_e32 v23, 32, v23
	v_lshrrev_b16_e32 v22, 3, v16
	v_subrev_u32_e32 v24, 28, v23
	v_and_b32_e32 v22, 15, v22
	v_lshlrev_b32_e32 v24, v24, v16
	v_sub_u32_e32 v23, 29, v23
	v_and_b32_e32 v24, 7, v24
	v_cmp_eq_u16_e32 vcc, 0, v22
	v_cndmask_b32_e32 v21, v21, v24, vcc
	v_cndmask_b32_e32 v22, v22, v23, vcc
	v_lshlrev_b32_e32 v23, 24, v16
	v_mov_b32_e32 v24, 0x3b800000
	v_lshlrev_b32_e32 v21, 20, v21
	v_and_b32_e32 v23, 0x80000000, v23
	v_lshl_add_u32 v22, v22, 23, v24
	v_or3_b32 v21, v23, v22, v21
.LBB1_3332:
	s_or_b64 exec, exec, s[6:7]
	s_movk_i32 s4, 0x7f
	v_cmp_gt_i16_sdwa s[6:7], v12, s4 src0_sel:BYTE_0 src1_sel:DWORD
	s_mov_b64 s[4:5], 0
                                        ; implicit-def: $sgpr10
	s_and_saveexec_b64 s[8:9], s[6:7]
	s_xor_b64 s[6:7], exec, s[8:9]
	s_cbranch_execz .LBB1_3333
; %bb.17175:
	s_getpc_b64 s[14:15]
.Lpost_getpc4491:
	s_add_u32 s14, s14, (.LBB1_7429-.Lpost_getpc4491)&4294967295
	s_addc_u32 s15, s15, (.LBB1_7429-.Lpost_getpc4491)>>32
	s_setpc_b64 s[14:15]
.LBB1_3333:
	s_or_saveexec_b64 s[6:7], s[6:7]
	v_mov_b32_e32 v22, s10
	s_xor_b64 exec, exec, s[6:7]
	s_cbranch_execz .LBB1_3334
; %bb.17177:
	s_getpc_b64 s[14:15]
.Lpost_getpc4492:
	s_add_u32 s14, s14, (.LBB1_7432-.Lpost_getpc4492)&4294967295
	s_addc_u32 s15, s15, (.LBB1_7432-.Lpost_getpc4492)>>32
	s_setpc_b64 s[14:15]
.LBB1_3334:
	s_or_b64 exec, exec, s[6:7]
	s_and_saveexec_b64 s[6:7], s[4:5]
	s_cbranch_execz .LBB1_3336
.LBB1_3335:
	v_and_b32_e32 v22, 3, v12
	v_ffbh_u32_e32 v24, v22
	v_min_u32_e32 v24, 32, v24
	v_lshrrev_b16_e32 v23, 2, v12
	v_subrev_u32_e32 v25, 29, v24
	v_and_b32_e32 v23, 31, v23
	v_lshlrev_b32_e32 v25, v25, v12
	v_sub_u32_e32 v24, 30, v24
	v_and_b32_e32 v25, 3, v25
	v_cmp_eq_u16_e32 vcc, 0, v23
	v_cndmask_b32_e32 v22, v22, v25, vcc
	v_cndmask_b32_e32 v23, v23, v24, vcc
	v_lshlrev_b32_e32 v24, 24, v12
	v_mov_b32_e32 v25, 0x37800000
	v_lshlrev_b32_e32 v22, 21, v22
	v_and_b32_e32 v24, 0x80000000, v24
	v_lshl_add_u32 v23, v23, 23, v25
	v_or3_b32 v22, v24, v23, v22
.LBB1_3336:
	s_or_b64 exec, exec, s[6:7]
	flat_load_dwordx4 a[0:3], v[10:11] offset:416
	s_movk_i32 s4, 0x7f
                                        ; implicit-def: $sgpr10
	s_waitcnt vmcnt(0) lgkmcnt(0)
	v_mfma_f32_16x16x4f32 a[0:3], v21, v22, a[0:3]
	v_lshrrev_b32_e32 v22, 8, v16
	v_cmp_gt_i16_sdwa s[6:7], v22, s4 src0_sel:BYTE_0 src1_sel:DWORD
	s_mov_b64 s[4:5], 0
	s_and_saveexec_b64 s[8:9], s[6:7]
	s_xor_b64 s[6:7], exec, s[8:9]
	s_cbranch_execz .LBB1_3337
; %bb.17179:
	s_getpc_b64 s[14:15]
.Lpost_getpc4493:
	s_add_u32 s14, s14, (.LBB1_7433-.Lpost_getpc4493)&4294967295
	s_addc_u32 s15, s15, (.LBB1_7433-.Lpost_getpc4493)>>32
	s_setpc_b64 s[14:15]
.LBB1_3337:
	s_or_saveexec_b64 s[6:7], s[6:7]
	v_mov_b32_e32 v21, s10
	s_xor_b64 exec, exec, s[6:7]
	s_cbranch_execz .LBB1_3338
; %bb.17181:
	s_getpc_b64 s[14:15]
.Lpost_getpc4494:
	s_add_u32 s14, s14, (.LBB1_7436-.Lpost_getpc4494)&4294967295
	s_addc_u32 s15, s15, (.LBB1_7436-.Lpost_getpc4494)>>32
	s_setpc_b64 s[14:15]
.LBB1_3338:
	s_or_b64 exec, exec, s[6:7]
	s_and_saveexec_b64 s[6:7], s[4:5]
	s_cbranch_execz .LBB1_3340
.LBB1_3339:
	v_bfe_u32 v21, v16, 8, 3
	v_ffbh_u32_e32 v24, v21
	v_min_u32_e32 v24, 32, v24
	v_lshrrev_b16_e32 v23, 3, v22
	v_subrev_u32_e32 v25, 28, v24
	v_and_b32_e32 v23, 15, v23
	v_lshlrev_b32_e32 v22, v25, v22
	v_sub_u32_e32 v24, 29, v24
	v_and_b32_e32 v22, 7, v22
	v_cmp_eq_u16_e32 vcc, 0, v23
	v_cndmask_b32_e32 v21, v21, v22, vcc
	v_cndmask_b32_e32 v22, v23, v24, vcc
	v_lshlrev_b32_e32 v23, 16, v16
	v_mov_b32_e32 v24, 0x3b800000
	v_lshlrev_b32_e32 v21, 20, v21
	v_and_b32_e32 v23, 0x80000000, v23
	v_lshl_add_u32 v22, v22, 23, v24
	v_or3_b32 v21, v23, v22, v21
.LBB1_3340:
	s_or_b64 exec, exec, s[6:7]
	v_lshrrev_b32_e32 v22, 8, v12
	s_movk_i32 s4, 0x7f
	v_cmp_gt_i16_sdwa s[6:7], v22, s4 src0_sel:BYTE_0 src1_sel:DWORD
	s_mov_b64 s[4:5], 0
                                        ; implicit-def: $sgpr10
	s_and_saveexec_b64 s[8:9], s[6:7]
	s_xor_b64 s[6:7], exec, s[8:9]
	s_cbranch_execz .LBB1_3341
; %bb.17183:
	s_getpc_b64 s[14:15]
.Lpost_getpc4495:
	s_add_u32 s14, s14, (.LBB1_7437-.Lpost_getpc4495)&4294967295
	s_addc_u32 s15, s15, (.LBB1_7437-.Lpost_getpc4495)>>32
	s_setpc_b64 s[14:15]
.LBB1_3341:
	s_or_saveexec_b64 s[6:7], s[6:7]
	v_mov_b32_e32 v23, s10
	s_xor_b64 exec, exec, s[6:7]
	s_cbranch_execz .LBB1_3342
; %bb.17185:
	s_getpc_b64 s[14:15]
.Lpost_getpc4496:
	s_add_u32 s14, s14, (.LBB1_7440-.Lpost_getpc4496)&4294967295
	s_addc_u32 s15, s15, (.LBB1_7440-.Lpost_getpc4496)>>32
	s_setpc_b64 s[14:15]
.LBB1_3342:
	s_or_b64 exec, exec, s[6:7]
	s_and_saveexec_b64 s[6:7], s[4:5]
	s_cbranch_execz .LBB1_3344
.LBB1_3343:
	v_bfe_u32 v23, v12, 8, 2
	v_ffbh_u32_e32 v25, v23
	v_min_u32_e32 v25, 32, v25
	v_lshrrev_b16_e32 v24, 2, v22
	v_subrev_u32_e32 v26, 29, v25
	v_and_b32_e32 v24, 31, v24
	v_lshlrev_b32_e32 v22, v26, v22
	v_sub_u32_e32 v25, 30, v25
	v_and_b32_e32 v22, 3, v22
	v_cmp_eq_u16_e32 vcc, 0, v24
	v_cndmask_b32_e32 v22, v23, v22, vcc
	v_cndmask_b32_e32 v23, v24, v25, vcc
	v_lshlrev_b32_e32 v24, 16, v12
	v_mov_b32_e32 v25, 0x37800000
	v_lshlrev_b32_e32 v22, 21, v22
	v_and_b32_e32 v24, 0x80000000, v24
	v_lshl_add_u32 v23, v23, 23, v25
	v_or3_b32 v23, v24, v23, v22
.LBB1_3344:
	s_or_b64 exec, exec, s[6:7]
	s_nop 0
	v_mfma_f32_16x16x4f32 a[0:3], v21, v23, a[0:3]
	s_movk_i32 s4, 0xff
	v_and_b32_sdwa v22, v16, s4 dst_sel:DWORD dst_unused:UNUSED_PAD src0_sel:WORD_1 src1_sel:DWORD
	s_movk_i32 s4, 0x7f
	v_cmp_lt_i16_e32 vcc, s4, v22
	s_mov_b64 s[4:5], 0
                                        ; implicit-def: $sgpr10
	s_and_saveexec_b64 s[6:7], vcc
	s_xor_b64 s[6:7], exec, s[6:7]
	s_cbranch_execz .LBB1_3345
; %bb.17187:
	s_getpc_b64 s[14:15]
.Lpost_getpc4497:
	s_add_u32 s14, s14, (.LBB1_7441-.Lpost_getpc4497)&4294967295
	s_addc_u32 s15, s15, (.LBB1_7441-.Lpost_getpc4497)>>32
	s_setpc_b64 s[14:15]
.LBB1_3345:
	s_or_saveexec_b64 s[6:7], s[6:7]
	v_mov_b32_e32 v21, s10
	s_xor_b64 exec, exec, s[6:7]
	s_cbranch_execz .LBB1_3346
; %bb.17189:
	s_getpc_b64 s[14:15]
.Lpost_getpc4498:
	s_add_u32 s14, s14, (.LBB1_7444-.Lpost_getpc4498)&4294967295
	s_addc_u32 s15, s15, (.LBB1_7444-.Lpost_getpc4498)>>32
	s_setpc_b64 s[14:15]
.LBB1_3346:
	s_or_b64 exec, exec, s[6:7]
	s_and_saveexec_b64 s[6:7], s[4:5]
	s_cbranch_execz .LBB1_3348
.LBB1_3347:
	v_bfe_u32 v21, v16, 16, 3
	v_ffbh_u32_e32 v24, v21
	v_min_u32_e32 v24, 32, v24
	v_lshrrev_b32_e32 v22, 19, v16
	v_subrev_u32_e32 v25, 28, v24
	v_and_b32_e32 v22, 15, v22
	v_lshlrev_b32_sdwa v25, v25, v16 dst_sel:DWORD dst_unused:UNUSED_PAD src0_sel:DWORD src1_sel:WORD_1
	v_bfe_u32 v23, v16, 19, 4
	v_sub_u32_e32 v24, 29, v24
	v_and_b32_e32 v25, 7, v25
	v_cmp_eq_u16_e32 vcc, 0, v22
	v_cndmask_b32_e32 v21, v21, v25, vcc
	v_cndmask_b32_e32 v22, v23, v24, vcc
	v_lshlrev_b32_e32 v23, 8, v16
	v_mov_b32_e32 v24, 0x3b800000
	v_lshlrev_b32_e32 v21, 20, v21
	v_and_b32_e32 v23, 0x80000000, v23
	v_lshl_add_u32 v22, v22, 23, v24
	v_or3_b32 v21, v23, v22, v21
.LBB1_3348:
	s_or_b64 exec, exec, s[6:7]
	s_movk_i32 s4, 0xff
	v_and_b32_sdwa v22, v12, s4 dst_sel:DWORD dst_unused:UNUSED_PAD src0_sel:WORD_1 src1_sel:DWORD
	s_movk_i32 s4, 0x7f
	v_cmp_lt_i16_e32 vcc, s4, v22
	s_mov_b64 s[4:5], 0
                                        ; implicit-def: $sgpr10
	s_and_saveexec_b64 s[6:7], vcc
	s_xor_b64 s[6:7], exec, s[6:7]
	s_cbranch_execz .LBB1_3349
; %bb.17191:
	s_getpc_b64 s[14:15]
.Lpost_getpc4499:
	s_add_u32 s14, s14, (.LBB1_7445-.Lpost_getpc4499)&4294967295
	s_addc_u32 s15, s15, (.LBB1_7445-.Lpost_getpc4499)>>32
	s_setpc_b64 s[14:15]
.LBB1_3349:
	s_or_saveexec_b64 s[6:7], s[6:7]
	v_mov_b32_e32 v23, s10
	s_xor_b64 exec, exec, s[6:7]
	s_cbranch_execz .LBB1_3350
; %bb.17193:
	s_getpc_b64 s[14:15]
.Lpost_getpc4500:
	s_add_u32 s14, s14, (.LBB1_7448-.Lpost_getpc4500)&4294967295
	s_addc_u32 s15, s15, (.LBB1_7448-.Lpost_getpc4500)>>32
	s_setpc_b64 s[14:15]
.LBB1_3350:
	s_or_b64 exec, exec, s[6:7]
	s_and_saveexec_b64 s[6:7], s[4:5]
	s_cbranch_execz .LBB1_3352
.LBB1_3351:
	v_bfe_u32 v22, v12, 16, 2
	v_ffbh_u32_e32 v25, v22
	v_min_u32_e32 v25, 32, v25
	v_lshrrev_b32_e32 v23, 18, v12
	v_subrev_u32_e32 v26, 29, v25
	v_and_b32_e32 v23, 31, v23
	v_lshlrev_b32_sdwa v26, v26, v12 dst_sel:DWORD dst_unused:UNUSED_PAD src0_sel:DWORD src1_sel:WORD_1
	v_bfe_u32 v24, v12, 18, 5
	v_sub_u32_e32 v25, 30, v25
	v_and_b32_e32 v26, 3, v26
	v_cmp_eq_u16_e32 vcc, 0, v23
	v_cndmask_b32_e32 v22, v22, v26, vcc
	v_cndmask_b32_e32 v23, v24, v25, vcc
	v_lshlrev_b32_e32 v24, 8, v12
	v_mov_b32_e32 v25, 0x37800000
	v_lshlrev_b32_e32 v22, 21, v22
	v_and_b32_e32 v24, 0x80000000, v24
	v_lshl_add_u32 v23, v23, 23, v25
	v_or3_b32 v23, v24, v23, v22
.LBB1_3352:
	s_or_b64 exec, exec, s[6:7]
	s_nop 0
	v_mfma_f32_16x16x4f32 a[0:3], v21, v23, a[0:3]
	s_movk_i32 s4, 0x7f
	v_cmp_gt_i16_sdwa s[6:7], v16, s4 src0_sel:BYTE_3 src1_sel:DWORD
	s_mov_b64 s[4:5], 0
                                        ; implicit-def: $sgpr10
	s_and_saveexec_b64 s[8:9], s[6:7]
	s_xor_b64 s[6:7], exec, s[8:9]
	s_cbranch_execz .LBB1_3353
; %bb.17195:
	s_getpc_b64 s[14:15]
.Lpost_getpc4501:
	s_add_u32 s14, s14, (.LBB1_7449-.Lpost_getpc4501)&4294967295
	s_addc_u32 s15, s15, (.LBB1_7449-.Lpost_getpc4501)>>32
	s_setpc_b64 s[14:15]
.LBB1_3353:
	s_or_saveexec_b64 s[6:7], s[6:7]
	v_mov_b32_e32 v21, s10
	s_xor_b64 exec, exec, s[6:7]
	s_cbranch_execz .LBB1_3354
; %bb.17197:
	s_getpc_b64 s[14:15]
.Lpost_getpc4502:
	s_add_u32 s14, s14, (.LBB1_7452-.Lpost_getpc4502)&4294967295
	s_addc_u32 s15, s15, (.LBB1_7452-.Lpost_getpc4502)>>32
	s_setpc_b64 s[14:15]
.LBB1_3354:
	s_or_b64 exec, exec, s[6:7]
	s_and_saveexec_b64 s[6:7], s[4:5]
	s_cbranch_execz .LBB1_3356
.LBB1_3355:
	v_bfe_u32 v21, v16, 24, 3
	v_ffbh_u32_e32 v25, v21
	v_min_u32_e32 v25, 32, v25
	v_lshrrev_b32_e32 v23, 27, v16
	v_subrev_u32_e32 v26, 28, v25
	v_and_b32_e32 v22, 0x80000000, v16
	v_and_b32_e32 v23, 15, v23
	v_bfe_u32 v24, v16, 27, 4
	v_lshlrev_b32_sdwa v16, v26, v16 dst_sel:DWORD dst_unused:UNUSED_PAD src0_sel:DWORD src1_sel:BYTE_3
	v_sub_u32_e32 v25, 29, v25
	v_and_b32_e32 v16, 7, v16
	v_cmp_eq_u16_e32 vcc, 0, v23
	v_cndmask_b32_e32 v16, v21, v16, vcc
	v_cndmask_b32_e32 v21, v24, v25, vcc
	v_mov_b32_e32 v23, 0x3b800000
	v_lshlrev_b32_e32 v16, 20, v16
	v_lshl_add_u32 v21, v21, 23, v23
	v_or3_b32 v21, v22, v21, v16
.LBB1_3356:
	s_or_b64 exec, exec, s[6:7]
	s_movk_i32 s4, 0x7f
	v_cmp_gt_i16_sdwa s[6:7], v12, s4 src0_sel:BYTE_3 src1_sel:DWORD
	s_mov_b64 s[4:5], 0
                                        ; implicit-def: $sgpr10
	s_and_saveexec_b64 s[8:9], s[6:7]
	s_xor_b64 s[6:7], exec, s[8:9]
	s_cbranch_execz .LBB1_3357
; %bb.17199:
	s_getpc_b64 s[14:15]
.Lpost_getpc4503:
	s_add_u32 s14, s14, (.LBB1_7453-.Lpost_getpc4503)&4294967295
	s_addc_u32 s15, s15, (.LBB1_7453-.Lpost_getpc4503)>>32
	s_setpc_b64 s[14:15]
.LBB1_3357:
	s_or_saveexec_b64 s[6:7], s[6:7]
	v_mov_b32_e32 v16, s10
	s_xor_b64 exec, exec, s[6:7]
	s_cbranch_execz .LBB1_3358
; %bb.17201:
	s_getpc_b64 s[14:15]
.Lpost_getpc4504:
	s_add_u32 s14, s14, (.LBB1_7456-.Lpost_getpc4504)&4294967295
	s_addc_u32 s15, s15, (.LBB1_7456-.Lpost_getpc4504)>>32
	s_setpc_b64 s[14:15]
.LBB1_3358:
	s_or_b64 exec, exec, s[6:7]
	s_and_saveexec_b64 s[6:7], s[4:5]
	s_cbranch_execz .LBB1_3360
.LBB1_3359:
	v_bfe_u32 v16, v12, 24, 2
	v_ffbh_u32_e32 v25, v16
	v_min_u32_e32 v25, 32, v25
	v_lshrrev_b32_e32 v23, 26, v12
	v_subrev_u32_e32 v26, 29, v25
	v_and_b32_e32 v22, 0x80000000, v12
	v_and_b32_e32 v23, 31, v23
	v_bfe_u32 v24, v12, 26, 5
	v_lshlrev_b32_sdwa v12, v26, v12 dst_sel:DWORD dst_unused:UNUSED_PAD src0_sel:DWORD src1_sel:BYTE_3
	v_sub_u32_e32 v25, 30, v25
	v_and_b32_e32 v12, 3, v12
	v_cmp_eq_u16_e32 vcc, 0, v23
	v_cndmask_b32_e32 v12, v16, v12, vcc
	v_cndmask_b32_e32 v16, v24, v25, vcc
	v_mov_b32_e32 v23, 0x37800000
	v_lshlrev_b32_e32 v12, 21, v12
	v_lshl_add_u32 v16, v16, 23, v23
	v_or3_b32 v16, v22, v16, v12
.LBB1_3360:
	s_or_b64 exec, exec, s[6:7]
	s_nop 0
	v_mfma_f32_16x16x4f32 a[0:3], v21, v16, a[0:3]
	s_movk_i32 s4, 0x7f
	v_cmp_gt_i16_sdwa s[6:7], v17, s4 src0_sel:BYTE_0 src1_sel:DWORD
	s_mov_b64 s[4:5], 0
                                        ; implicit-def: $sgpr10
	s_and_saveexec_b64 s[8:9], s[6:7]
	s_xor_b64 s[6:7], exec, s[8:9]
	s_cbranch_execz .LBB1_3361
; %bb.17203:
	s_getpc_b64 s[14:15]
.Lpost_getpc4505:
	s_add_u32 s14, s14, (.LBB1_7457-.Lpost_getpc4505)&4294967295
	s_addc_u32 s15, s15, (.LBB1_7457-.Lpost_getpc4505)>>32
	s_setpc_b64 s[14:15]
.LBB1_3361:
	s_or_saveexec_b64 s[6:7], s[6:7]
	v_mov_b32_e32 v12, s10
	s_xor_b64 exec, exec, s[6:7]
	s_cbranch_execz .LBB1_3362
; %bb.17205:
	s_getpc_b64 s[14:15]
.Lpost_getpc4506:
	s_add_u32 s14, s14, (.LBB1_7460-.Lpost_getpc4506)&4294967295
	s_addc_u32 s15, s15, (.LBB1_7460-.Lpost_getpc4506)>>32
	s_setpc_b64 s[14:15]
.LBB1_3362:
	s_or_b64 exec, exec, s[6:7]
	s_and_saveexec_b64 s[6:7], s[4:5]
	s_cbranch_execz .LBB1_3364
.LBB1_3363:
	v_and_b32_e32 v12, 7, v17
	v_ffbh_u32_e32 v21, v12
	v_min_u32_e32 v21, 32, v21
	v_lshrrev_b16_e32 v16, 3, v17
	v_subrev_u32_e32 v22, 28, v21
	v_and_b32_e32 v16, 15, v16
	v_lshlrev_b32_e32 v22, v22, v17
	v_sub_u32_e32 v21, 29, v21
	v_and_b32_e32 v22, 7, v22
	v_cmp_eq_u16_e32 vcc, 0, v16
	v_cndmask_b32_e32 v12, v12, v22, vcc
	v_cndmask_b32_e32 v16, v16, v21, vcc
	v_lshlrev_b32_e32 v21, 24, v17
	v_mov_b32_e32 v22, 0x3b800000
	v_lshlrev_b32_e32 v12, 20, v12
	v_and_b32_e32 v21, 0x80000000, v21
	v_lshl_add_u32 v16, v16, 23, v22
	v_or3_b32 v12, v21, v16, v12
.LBB1_3364:
	s_or_b64 exec, exec, s[6:7]
	s_movk_i32 s4, 0x7f
	v_cmp_gt_i16_sdwa s[6:7], v13, s4 src0_sel:BYTE_0 src1_sel:DWORD
	s_mov_b64 s[4:5], 0
                                        ; implicit-def: $sgpr10
	s_and_saveexec_b64 s[8:9], s[6:7]
	s_xor_b64 s[6:7], exec, s[8:9]
	s_cbranch_execz .LBB1_3365
; %bb.17207:
	s_getpc_b64 s[14:15]
.Lpost_getpc4507:
	s_add_u32 s14, s14, (.LBB1_7461-.Lpost_getpc4507)&4294967295
	s_addc_u32 s15, s15, (.LBB1_7461-.Lpost_getpc4507)>>32
	s_setpc_b64 s[14:15]
.LBB1_3365:
	s_or_saveexec_b64 s[6:7], s[6:7]
	v_mov_b32_e32 v16, s10
	s_xor_b64 exec, exec, s[6:7]
	s_cbranch_execz .LBB1_3366
; %bb.17209:
	s_getpc_b64 s[14:15]
.Lpost_getpc4508:
	s_add_u32 s14, s14, (.LBB1_7464-.Lpost_getpc4508)&4294967295
	s_addc_u32 s15, s15, (.LBB1_7464-.Lpost_getpc4508)>>32
	s_setpc_b64 s[14:15]
.LBB1_3366:
	s_or_b64 exec, exec, s[6:7]
	s_and_saveexec_b64 s[6:7], s[4:5]
	s_cbranch_execz .LBB1_3368
.LBB1_3367:
	v_and_b32_e32 v16, 3, v13
	v_ffbh_u32_e32 v22, v16
	v_min_u32_e32 v22, 32, v22
	v_lshrrev_b16_e32 v21, 2, v13
	v_subrev_u32_e32 v23, 29, v22
	v_and_b32_e32 v21, 31, v21
	v_lshlrev_b32_e32 v23, v23, v13
	v_sub_u32_e32 v22, 30, v22
	v_and_b32_e32 v23, 3, v23
	v_cmp_eq_u16_e32 vcc, 0, v21
	v_cndmask_b32_e32 v16, v16, v23, vcc
	v_cndmask_b32_e32 v21, v21, v22, vcc
	v_lshlrev_b32_e32 v22, 24, v13
	v_mov_b32_e32 v23, 0x37800000
	v_lshlrev_b32_e32 v16, 21, v16
	v_and_b32_e32 v22, 0x80000000, v22
	v_lshl_add_u32 v21, v21, 23, v23
	v_or3_b32 v16, v22, v21, v16
.LBB1_3368:
	s_or_b64 exec, exec, s[6:7]
	s_nop 0
	v_mfma_f32_16x16x4f32 a[0:3], v12, v16, a[0:3]
	v_lshrrev_b32_e32 v16, 8, v17
	s_movk_i32 s4, 0x7f
	v_cmp_gt_i16_sdwa s[6:7], v16, s4 src0_sel:BYTE_0 src1_sel:DWORD
	s_mov_b64 s[4:5], 0
                                        ; implicit-def: $sgpr10
	s_and_saveexec_b64 s[8:9], s[6:7]
	s_xor_b64 s[6:7], exec, s[8:9]
	s_cbranch_execz .LBB1_3369
; %bb.17211:
	s_getpc_b64 s[14:15]
.Lpost_getpc4509:
	s_add_u32 s14, s14, (.LBB1_7465-.Lpost_getpc4509)&4294967295
	s_addc_u32 s15, s15, (.LBB1_7465-.Lpost_getpc4509)>>32
	s_setpc_b64 s[14:15]
.LBB1_3369:
	s_or_saveexec_b64 s[6:7], s[6:7]
	v_mov_b32_e32 v12, s10
	s_xor_b64 exec, exec, s[6:7]
	s_cbranch_execz .LBB1_3370
; %bb.17213:
	s_getpc_b64 s[14:15]
.Lpost_getpc4510:
	s_add_u32 s14, s14, (.LBB1_7468-.Lpost_getpc4510)&4294967295
	s_addc_u32 s15, s15, (.LBB1_7468-.Lpost_getpc4510)>>32
	s_setpc_b64 s[14:15]
.LBB1_3370:
	s_or_b64 exec, exec, s[6:7]
	s_and_saveexec_b64 s[6:7], s[4:5]
	s_cbranch_execz .LBB1_3372
.LBB1_3371:
	v_bfe_u32 v12, v17, 8, 3
	v_ffbh_u32_e32 v22, v12
	v_min_u32_e32 v22, 32, v22
	v_lshrrev_b16_e32 v21, 3, v16
	v_subrev_u32_e32 v23, 28, v22
	v_and_b32_e32 v21, 15, v21
	v_lshlrev_b32_e32 v16, v23, v16
	v_sub_u32_e32 v22, 29, v22
	v_and_b32_e32 v16, 7, v16
	v_cmp_eq_u16_e32 vcc, 0, v21
	v_cndmask_b32_e32 v12, v12, v16, vcc
	v_cndmask_b32_e32 v16, v21, v22, vcc
	v_lshlrev_b32_e32 v21, 16, v17
	v_mov_b32_e32 v22, 0x3b800000
	v_lshlrev_b32_e32 v12, 20, v12
	v_and_b32_e32 v21, 0x80000000, v21
	v_lshl_add_u32 v16, v16, 23, v22
	v_or3_b32 v12, v21, v16, v12
.LBB1_3372:
	s_or_b64 exec, exec, s[6:7]
	v_lshrrev_b32_e32 v16, 8, v13
	s_movk_i32 s4, 0x7f
	v_cmp_gt_i16_sdwa s[6:7], v16, s4 src0_sel:BYTE_0 src1_sel:DWORD
	s_mov_b64 s[4:5], 0
                                        ; implicit-def: $sgpr10
	s_and_saveexec_b64 s[8:9], s[6:7]
	s_xor_b64 s[6:7], exec, s[8:9]
	s_cbranch_execz .LBB1_3373
; %bb.17215:
	s_getpc_b64 s[14:15]
.Lpost_getpc4511:
	s_add_u32 s14, s14, (.LBB1_7469-.Lpost_getpc4511)&4294967295
	s_addc_u32 s15, s15, (.LBB1_7469-.Lpost_getpc4511)>>32
	s_setpc_b64 s[14:15]
.LBB1_3373:
	s_or_saveexec_b64 s[6:7], s[6:7]
	v_mov_b32_e32 v21, s10
	s_xor_b64 exec, exec, s[6:7]
	s_cbranch_execz .LBB1_3374
; %bb.17217:
	s_getpc_b64 s[14:15]
.Lpost_getpc4512:
	s_add_u32 s14, s14, (.LBB1_7472-.Lpost_getpc4512)&4294967295
	s_addc_u32 s15, s15, (.LBB1_7472-.Lpost_getpc4512)>>32
	s_setpc_b64 s[14:15]
.LBB1_3374:
	s_or_b64 exec, exec, s[6:7]
	s_and_saveexec_b64 s[6:7], s[4:5]
	s_cbranch_execz .LBB1_3376
.LBB1_3375:
	v_bfe_u32 v21, v13, 8, 2
	v_ffbh_u32_e32 v23, v21
	v_min_u32_e32 v23, 32, v23
	v_lshrrev_b16_e32 v22, 2, v16
	v_subrev_u32_e32 v24, 29, v23
	v_and_b32_e32 v22, 31, v22
	v_lshlrev_b32_e32 v16, v24, v16
	v_sub_u32_e32 v23, 30, v23
	v_and_b32_e32 v16, 3, v16
	v_cmp_eq_u16_e32 vcc, 0, v22
	v_cndmask_b32_e32 v16, v21, v16, vcc
	v_cndmask_b32_e32 v21, v22, v23, vcc
	v_lshlrev_b32_e32 v22, 16, v13
	v_mov_b32_e32 v23, 0x37800000
	v_lshlrev_b32_e32 v16, 21, v16
	v_and_b32_e32 v22, 0x80000000, v22
	v_lshl_add_u32 v21, v21, 23, v23
	v_or3_b32 v21, v22, v21, v16
.LBB1_3376:
	s_or_b64 exec, exec, s[6:7]
	s_nop 0
	v_mfma_f32_16x16x4f32 a[0:3], v12, v21, a[0:3]
	s_movk_i32 s4, 0xff
	v_and_b32_sdwa v16, v17, s4 dst_sel:DWORD dst_unused:UNUSED_PAD src0_sel:WORD_1 src1_sel:DWORD
	s_movk_i32 s4, 0x7f
	v_cmp_lt_i16_e32 vcc, s4, v16
	s_mov_b64 s[4:5], 0
                                        ; implicit-def: $sgpr10
	s_and_saveexec_b64 s[6:7], vcc
	s_xor_b64 s[6:7], exec, s[6:7]
	s_cbranch_execz .LBB1_3377
; %bb.17219:
	s_getpc_b64 s[14:15]
.Lpost_getpc4513:
	s_add_u32 s14, s14, (.LBB1_7473-.Lpost_getpc4513)&4294967295
	s_addc_u32 s15, s15, (.LBB1_7473-.Lpost_getpc4513)>>32
	s_setpc_b64 s[14:15]
.LBB1_3377:
	s_or_saveexec_b64 s[6:7], s[6:7]
	v_mov_b32_e32 v12, s10
	s_xor_b64 exec, exec, s[6:7]
	s_cbranch_execz .LBB1_3378
; %bb.17221:
	s_getpc_b64 s[14:15]
.Lpost_getpc4514:
	s_add_u32 s14, s14, (.LBB1_7476-.Lpost_getpc4514)&4294967295
	s_addc_u32 s15, s15, (.LBB1_7476-.Lpost_getpc4514)>>32
	s_setpc_b64 s[14:15]
.LBB1_3378:
	s_or_b64 exec, exec, s[6:7]
	s_and_saveexec_b64 s[6:7], s[4:5]
	s_cbranch_execz .LBB1_3380
.LBB1_3379:
	v_bfe_u32 v12, v17, 16, 3
	v_ffbh_u32_e32 v22, v12
	v_min_u32_e32 v22, 32, v22
	v_lshrrev_b32_e32 v16, 19, v17
	v_subrev_u32_e32 v23, 28, v22
	v_and_b32_e32 v16, 15, v16
	v_lshlrev_b32_sdwa v23, v23, v17 dst_sel:DWORD dst_unused:UNUSED_PAD src0_sel:DWORD src1_sel:WORD_1
	v_bfe_u32 v21, v17, 19, 4
	v_sub_u32_e32 v22, 29, v22
	v_and_b32_e32 v23, 7, v23
	v_cmp_eq_u16_e32 vcc, 0, v16
	v_cndmask_b32_e32 v12, v12, v23, vcc
	v_cndmask_b32_e32 v16, v21, v22, vcc
	v_lshlrev_b32_e32 v21, 8, v17
	v_mov_b32_e32 v22, 0x3b800000
	v_lshlrev_b32_e32 v12, 20, v12
	v_and_b32_e32 v21, 0x80000000, v21
	v_lshl_add_u32 v16, v16, 23, v22
	v_or3_b32 v12, v21, v16, v12
.LBB1_3380:
	s_or_b64 exec, exec, s[6:7]
	s_movk_i32 s4, 0xff
	v_and_b32_sdwa v16, v13, s4 dst_sel:DWORD dst_unused:UNUSED_PAD src0_sel:WORD_1 src1_sel:DWORD
	s_movk_i32 s4, 0x7f
	v_cmp_lt_i16_e32 vcc, s4, v16
	s_mov_b64 s[4:5], 0
                                        ; implicit-def: $sgpr10
	s_and_saveexec_b64 s[6:7], vcc
	s_xor_b64 s[6:7], exec, s[6:7]
	s_cbranch_execz .LBB1_3381
; %bb.17223:
	s_getpc_b64 s[14:15]
.Lpost_getpc4515:
	s_add_u32 s14, s14, (.LBB1_7477-.Lpost_getpc4515)&4294967295
	s_addc_u32 s15, s15, (.LBB1_7477-.Lpost_getpc4515)>>32
	s_setpc_b64 s[14:15]
.LBB1_3381:
	s_or_saveexec_b64 s[6:7], s[6:7]
	v_mov_b32_e32 v21, s10
	s_xor_b64 exec, exec, s[6:7]
	s_cbranch_execz .LBB1_3382
; %bb.17225:
	s_getpc_b64 s[14:15]
.Lpost_getpc4516:
	s_add_u32 s14, s14, (.LBB1_7480-.Lpost_getpc4516)&4294967295
	s_addc_u32 s15, s15, (.LBB1_7480-.Lpost_getpc4516)>>32
	s_setpc_b64 s[14:15]
.LBB1_3382:
	s_or_b64 exec, exec, s[6:7]
	s_and_saveexec_b64 s[6:7], s[4:5]
	s_cbranch_execz .LBB1_3384
.LBB1_3383:
	v_bfe_u32 v16, v13, 16, 2
	v_ffbh_u32_e32 v23, v16
	v_min_u32_e32 v23, 32, v23
	v_lshrrev_b32_e32 v21, 18, v13
	v_subrev_u32_e32 v24, 29, v23
	v_and_b32_e32 v21, 31, v21
	v_lshlrev_b32_sdwa v24, v24, v13 dst_sel:DWORD dst_unused:UNUSED_PAD src0_sel:DWORD src1_sel:WORD_1
	v_bfe_u32 v22, v13, 18, 5
	v_sub_u32_e32 v23, 30, v23
	v_and_b32_e32 v24, 3, v24
	v_cmp_eq_u16_e32 vcc, 0, v21
	v_cndmask_b32_e32 v16, v16, v24, vcc
	v_cndmask_b32_e32 v21, v22, v23, vcc
	v_lshlrev_b32_e32 v22, 8, v13
	v_mov_b32_e32 v23, 0x37800000
	v_lshlrev_b32_e32 v16, 21, v16
	v_and_b32_e32 v22, 0x80000000, v22
	v_lshl_add_u32 v21, v21, 23, v23
	v_or3_b32 v21, v22, v21, v16
.LBB1_3384:
	s_or_b64 exec, exec, s[6:7]
	s_nop 0
	v_mfma_f32_16x16x4f32 a[0:3], v12, v21, a[0:3]
	s_movk_i32 s4, 0x7f
	v_cmp_gt_i16_sdwa s[6:7], v17, s4 src0_sel:BYTE_3 src1_sel:DWORD
	s_mov_b64 s[4:5], 0
                                        ; implicit-def: $sgpr10
	s_and_saveexec_b64 s[8:9], s[6:7]
	s_xor_b64 s[6:7], exec, s[8:9]
	s_cbranch_execz .LBB1_3385
; %bb.17227:
	s_getpc_b64 s[14:15]
.Lpost_getpc4517:
	s_add_u32 s14, s14, (.LBB1_7481-.Lpost_getpc4517)&4294967295
	s_addc_u32 s15, s15, (.LBB1_7481-.Lpost_getpc4517)>>32
	s_setpc_b64 s[14:15]
.LBB1_3385:
	s_or_saveexec_b64 s[6:7], s[6:7]
	v_mov_b32_e32 v12, s10
	s_xor_b64 exec, exec, s[6:7]
	s_cbranch_execz .LBB1_3386
; %bb.17229:
	s_getpc_b64 s[14:15]
.Lpost_getpc4518:
	s_add_u32 s14, s14, (.LBB1_7484-.Lpost_getpc4518)&4294967295
	s_addc_u32 s15, s15, (.LBB1_7484-.Lpost_getpc4518)>>32
	s_setpc_b64 s[14:15]
.LBB1_3386:
	s_or_b64 exec, exec, s[6:7]
	s_and_saveexec_b64 s[6:7], s[4:5]
	s_cbranch_execz .LBB1_3388
.LBB1_3387:
	v_bfe_u32 v12, v17, 24, 3
	v_ffbh_u32_e32 v23, v12
	v_min_u32_e32 v23, 32, v23
	v_lshrrev_b32_e32 v21, 27, v17
	v_subrev_u32_e32 v24, 28, v23
	v_and_b32_e32 v16, 0x80000000, v17
	v_and_b32_e32 v21, 15, v21
	v_bfe_u32 v22, v17, 27, 4
	v_lshlrev_b32_sdwa v17, v24, v17 dst_sel:DWORD dst_unused:UNUSED_PAD src0_sel:DWORD src1_sel:BYTE_3
	v_sub_u32_e32 v23, 29, v23
	v_and_b32_e32 v17, 7, v17
	v_cmp_eq_u16_e32 vcc, 0, v21
	v_cndmask_b32_e32 v12, v12, v17, vcc
	v_cndmask_b32_e32 v17, v22, v23, vcc
	v_mov_b32_e32 v21, 0x3b800000
	v_lshlrev_b32_e32 v12, 20, v12
	v_lshl_add_u32 v17, v17, 23, v21
	v_or3_b32 v12, v16, v17, v12
.LBB1_3388:
	s_or_b64 exec, exec, s[6:7]
	s_movk_i32 s4, 0x7f
	v_cmp_gt_i16_sdwa s[6:7], v13, s4 src0_sel:BYTE_3 src1_sel:DWORD
	s_mov_b64 s[4:5], 0
                                        ; implicit-def: $sgpr10
	s_and_saveexec_b64 s[8:9], s[6:7]
	s_xor_b64 s[6:7], exec, s[8:9]
	s_cbranch_execz .LBB1_3389
; %bb.17231:
	s_getpc_b64 s[14:15]
.Lpost_getpc4519:
	s_add_u32 s14, s14, (.LBB1_7485-.Lpost_getpc4519)&4294967295
	s_addc_u32 s15, s15, (.LBB1_7485-.Lpost_getpc4519)>>32
	s_setpc_b64 s[14:15]
.LBB1_3389:
	s_or_saveexec_b64 s[6:7], s[6:7]
	v_mov_b32_e32 v16, s10
	s_xor_b64 exec, exec, s[6:7]
	s_cbranch_execz .LBB1_3390
; %bb.17233:
	s_getpc_b64 s[14:15]
.Lpost_getpc4520:
	s_add_u32 s14, s14, (.LBB1_7488-.Lpost_getpc4520)&4294967295
	s_addc_u32 s15, s15, (.LBB1_7488-.Lpost_getpc4520)>>32
	s_setpc_b64 s[14:15]
.LBB1_3390:
	s_or_b64 exec, exec, s[6:7]
	s_and_saveexec_b64 s[6:7], s[4:5]
	s_cbranch_execz .LBB1_3392
.LBB1_3391:
	v_bfe_u32 v16, v13, 24, 2
	v_ffbh_u32_e32 v23, v16
	v_min_u32_e32 v23, 32, v23
	v_lshrrev_b32_e32 v21, 26, v13
	v_subrev_u32_e32 v24, 29, v23
	v_and_b32_e32 v17, 0x80000000, v13
	v_and_b32_e32 v21, 31, v21
	v_bfe_u32 v22, v13, 26, 5
	v_lshlrev_b32_sdwa v13, v24, v13 dst_sel:DWORD dst_unused:UNUSED_PAD src0_sel:DWORD src1_sel:BYTE_3
	v_sub_u32_e32 v23, 30, v23
	v_and_b32_e32 v13, 3, v13
	v_cmp_eq_u16_e32 vcc, 0, v21
	v_cndmask_b32_e32 v13, v16, v13, vcc
	v_cndmask_b32_e32 v16, v22, v23, vcc
	v_mov_b32_e32 v21, 0x37800000
	v_lshlrev_b32_e32 v13, 21, v13
	v_lshl_add_u32 v16, v16, 23, v21
	v_or3_b32 v16, v17, v16, v13
.LBB1_3392:
	s_or_b64 exec, exec, s[6:7]
	s_nop 0
	v_mfma_f32_16x16x4f32 a[0:3], v12, v16, a[0:3]
	s_movk_i32 s4, 0x7f
	v_cmp_gt_i16_sdwa s[6:7], v18, s4 src0_sel:BYTE_0 src1_sel:DWORD
	s_mov_b64 s[4:5], 0
                                        ; implicit-def: $sgpr10
	s_and_saveexec_b64 s[8:9], s[6:7]
	s_xor_b64 s[6:7], exec, s[8:9]
	s_cbranch_execz .LBB1_3393
; %bb.17235:
	s_getpc_b64 s[14:15]
.Lpost_getpc4521:
	s_add_u32 s14, s14, (.LBB1_7489-.Lpost_getpc4521)&4294967295
	s_addc_u32 s15, s15, (.LBB1_7489-.Lpost_getpc4521)>>32
	s_setpc_b64 s[14:15]
.LBB1_3393:
	s_or_saveexec_b64 s[6:7], s[6:7]
	v_mov_b32_e32 v13, s10
	s_xor_b64 exec, exec, s[6:7]
	s_cbranch_execz .LBB1_3394
; %bb.17237:
	s_getpc_b64 s[14:15]
.Lpost_getpc4522:
	s_add_u32 s14, s14, (.LBB1_7492-.Lpost_getpc4522)&4294967295
	s_addc_u32 s15, s15, (.LBB1_7492-.Lpost_getpc4522)>>32
	s_setpc_b64 s[14:15]
.LBB1_3394:
	s_or_b64 exec, exec, s[6:7]
	s_and_saveexec_b64 s[6:7], s[4:5]
	s_cbranch_execz .LBB1_3396
.LBB1_3395:
	v_and_b32_e32 v12, 7, v18
	v_ffbh_u32_e32 v16, v12
	v_min_u32_e32 v16, 32, v16
	v_lshrrev_b16_e32 v13, 3, v18
	v_subrev_u32_e32 v17, 28, v16
	v_and_b32_e32 v13, 15, v13
	v_lshlrev_b32_e32 v17, v17, v18
	v_sub_u32_e32 v16, 29, v16
	v_and_b32_e32 v17, 7, v17
	v_cmp_eq_u16_e32 vcc, 0, v13
	v_cndmask_b32_e32 v12, v12, v17, vcc
	v_cndmask_b32_e32 v13, v13, v16, vcc
	v_lshlrev_b32_e32 v16, 24, v18
	v_mov_b32_e32 v17, 0x3b800000
	v_lshlrev_b32_e32 v12, 20, v12
	v_and_b32_e32 v16, 0x80000000, v16
	v_lshl_add_u32 v13, v13, 23, v17
	v_or3_b32 v13, v16, v13, v12
.LBB1_3396:
	s_or_b64 exec, exec, s[6:7]
	s_movk_i32 s4, 0xff
	v_mov_b32_e32 v12, 8
	v_or_b32_sdwa v16, v14, v20 dst_sel:DWORD dst_unused:UNUSED_PAD src0_sel:BYTE_0 src1_sel:DWORD
	v_lshlrev_b16_sdwa v12, v12, v14 dst_sel:DWORD dst_unused:UNUSED_PAD src0_sel:DWORD src1_sel:BYTE_3
	v_and_b32_sdwa v14, v14, s4 dst_sel:DWORD dst_unused:UNUSED_PAD src0_sel:WORD_1 src1_sel:DWORD
	s_movk_i32 s4, 0x7f
	v_or_b32_sdwa v12, v14, v12 dst_sel:WORD_1 dst_unused:UNUSED_PAD src0_sel:DWORD src1_sel:DWORD
	v_cmp_gt_i16_sdwa s[6:7], v16, s4 src0_sel:BYTE_0 src1_sel:DWORD
	s_mov_b64 s[4:5], 0
                                        ; implicit-def: $sgpr10
	s_and_saveexec_b64 s[8:9], s[6:7]
	s_xor_b64 s[6:7], exec, s[8:9]
	s_cbranch_execz .LBB1_3397
; %bb.17239:
	s_getpc_b64 s[14:15]
.Lpost_getpc4523:
	s_add_u32 s14, s14, (.LBB1_7493-.Lpost_getpc4523)&4294967295
	s_addc_u32 s15, s15, (.LBB1_7493-.Lpost_getpc4523)>>32
	s_setpc_b64 s[14:15]
.LBB1_3397:
	s_or_saveexec_b64 s[6:7], s[6:7]
	v_mov_b32_e32 v14, s10
	s_xor_b64 exec, exec, s[6:7]
	s_cbranch_execz .LBB1_3398
; %bb.17241:
	s_getpc_b64 s[14:15]
.Lpost_getpc4524:
	s_add_u32 s14, s14, (.LBB1_7496-.Lpost_getpc4524)&4294967295
	s_addc_u32 s15, s15, (.LBB1_7496-.Lpost_getpc4524)>>32
	s_setpc_b64 s[14:15]
.LBB1_3398:
	s_or_b64 exec, exec, s[6:7]
	v_or_b32_sdwa v12, v16, v12 dst_sel:DWORD dst_unused:UNUSED_PAD src0_sel:WORD_0 src1_sel:DWORD
	s_and_saveexec_b64 s[6:7], s[4:5]
	s_cbranch_execz .LBB1_3400
.LBB1_3399:
	v_and_b32_e32 v14, 3, v12
	v_ffbh_u32_e32 v17, v14
	v_min_u32_e32 v17, 32, v17
	v_lshrrev_b16_e32 v16, 2, v16
	v_subrev_u32_e32 v20, 29, v17
	v_and_b32_e32 v16, 31, v16
	v_lshlrev_b32_e32 v20, v20, v12
	v_sub_u32_e32 v17, 30, v17
	v_and_b32_e32 v20, 3, v20
	v_cmp_eq_u16_e32 vcc, 0, v16
	v_cndmask_b32_e32 v14, v14, v20, vcc
	v_cndmask_b32_e32 v16, v16, v17, vcc
	v_lshlrev_b32_e32 v17, 24, v12
	v_mov_b32_e32 v20, 0x37800000
	v_lshlrev_b32_e32 v14, 21, v14
	v_and_b32_e32 v17, 0x80000000, v17
	v_lshl_add_u32 v16, v16, 23, v20
	v_or3_b32 v14, v17, v16, v14
.LBB1_3400:
	s_or_b64 exec, exec, s[6:7]
	s_nop 0
	v_mfma_f32_16x16x4f32 a[0:3], v13, v14, a[0:3]
	v_lshrrev_b32_e32 v14, 8, v18
	s_movk_i32 s4, 0x7f
	v_cmp_gt_i16_sdwa s[6:7], v14, s4 src0_sel:BYTE_0 src1_sel:DWORD
	s_mov_b64 s[4:5], 0
                                        ; implicit-def: $sgpr10
	s_and_saveexec_b64 s[8:9], s[6:7]
	s_xor_b64 s[6:7], exec, s[8:9]
	s_cbranch_execz .LBB1_3401
; %bb.17243:
	s_getpc_b64 s[14:15]
.Lpost_getpc4525:
	s_add_u32 s14, s14, (.LBB1_7497-.Lpost_getpc4525)&4294967295
	s_addc_u32 s15, s15, (.LBB1_7497-.Lpost_getpc4525)>>32
	s_setpc_b64 s[14:15]
.LBB1_3401:
	s_or_saveexec_b64 s[6:7], s[6:7]
	v_mov_b32_e32 v13, s10
	s_xor_b64 exec, exec, s[6:7]
	s_cbranch_execz .LBB1_3402
; %bb.17245:
	s_getpc_b64 s[14:15]
.Lpost_getpc4526:
	s_add_u32 s14, s14, (.LBB1_7500-.Lpost_getpc4526)&4294967295
	s_addc_u32 s15, s15, (.LBB1_7500-.Lpost_getpc4526)>>32
	s_setpc_b64 s[14:15]
.LBB1_3402:
	s_or_b64 exec, exec, s[6:7]
	s_and_saveexec_b64 s[6:7], s[4:5]
	s_cbranch_execz .LBB1_3404
.LBB1_3403:
	v_bfe_u32 v13, v18, 8, 3
	v_ffbh_u32_e32 v17, v13
	v_min_u32_e32 v17, 32, v17
	v_lshrrev_b16_e32 v16, 3, v14
	v_subrev_u32_e32 v20, 28, v17
	v_and_b32_e32 v16, 15, v16
	v_lshlrev_b32_e32 v14, v20, v14
	v_sub_u32_e32 v17, 29, v17
	v_and_b32_e32 v14, 7, v14
	v_cmp_eq_u16_e32 vcc, 0, v16
	v_cndmask_b32_e32 v13, v13, v14, vcc
	v_cndmask_b32_e32 v14, v16, v17, vcc
	v_lshlrev_b32_e32 v16, 16, v18
	v_mov_b32_e32 v17, 0x3b800000
	v_lshlrev_b32_e32 v13, 20, v13
	v_and_b32_e32 v16, 0x80000000, v16
	v_lshl_add_u32 v14, v14, 23, v17
	v_or3_b32 v13, v16, v14, v13
.LBB1_3404:
	s_or_b64 exec, exec, s[6:7]
	v_lshrrev_b32_e32 v14, 8, v12
	s_movk_i32 s4, 0x7f
	v_cmp_gt_i16_sdwa s[6:7], v14, s4 src0_sel:BYTE_0 src1_sel:DWORD
	s_mov_b64 s[4:5], 0
                                        ; implicit-def: $sgpr10
	s_and_saveexec_b64 s[8:9], s[6:7]
	s_xor_b64 s[6:7], exec, s[8:9]
	s_cbranch_execz .LBB1_3405
; %bb.17247:
	s_getpc_b64 s[14:15]
.Lpost_getpc4527:
	s_add_u32 s14, s14, (.LBB1_7501-.Lpost_getpc4527)&4294967295
	s_addc_u32 s15, s15, (.LBB1_7501-.Lpost_getpc4527)>>32
	s_setpc_b64 s[14:15]
.LBB1_3405:
	s_or_saveexec_b64 s[6:7], s[6:7]
	v_mov_b32_e32 v16, s10
	s_xor_b64 exec, exec, s[6:7]
	s_cbranch_execz .LBB1_3406
; %bb.17249:
	s_getpc_b64 s[14:15]
.Lpost_getpc4528:
	s_add_u32 s14, s14, (.LBB1_7504-.Lpost_getpc4528)&4294967295
	s_addc_u32 s15, s15, (.LBB1_7504-.Lpost_getpc4528)>>32
	s_setpc_b64 s[14:15]
.LBB1_3406:
	s_or_b64 exec, exec, s[6:7]
	s_and_saveexec_b64 s[6:7], s[4:5]
	s_cbranch_execz .LBB1_3408
.LBB1_3407:
	v_bfe_u32 v16, v12, 8, 2
	v_ffbh_u32_e32 v20, v16
	v_min_u32_e32 v20, 32, v20
	v_lshrrev_b16_e32 v17, 2, v14
	v_subrev_u32_e32 v21, 29, v20
	v_and_b32_e32 v17, 31, v17
	v_lshlrev_b32_e32 v14, v21, v14
	v_sub_u32_e32 v20, 30, v20
	v_and_b32_e32 v14, 3, v14
	v_cmp_eq_u16_e32 vcc, 0, v17
	v_cndmask_b32_e32 v14, v16, v14, vcc
	v_cndmask_b32_e32 v16, v17, v20, vcc
	v_lshlrev_b32_e32 v17, 16, v12
	v_mov_b32_e32 v20, 0x37800000
	v_lshlrev_b32_e32 v14, 21, v14
	v_and_b32_e32 v17, 0x80000000, v17
	v_lshl_add_u32 v16, v16, 23, v20
	v_or3_b32 v16, v17, v16, v14
.LBB1_3408:
	s_or_b64 exec, exec, s[6:7]
	s_nop 0
	v_mfma_f32_16x16x4f32 a[0:3], v13, v16, a[0:3]
	s_movk_i32 s4, 0xff
	v_and_b32_sdwa v14, v18, s4 dst_sel:DWORD dst_unused:UNUSED_PAD src0_sel:WORD_1 src1_sel:DWORD
	s_movk_i32 s4, 0x7f
	v_cmp_lt_i16_e32 vcc, s4, v14
	s_mov_b64 s[4:5], 0
                                        ; implicit-def: $sgpr10
	s_and_saveexec_b64 s[6:7], vcc
	s_xor_b64 s[6:7], exec, s[6:7]
	s_cbranch_execz .LBB1_3409
; %bb.17251:
	s_getpc_b64 s[14:15]
.Lpost_getpc4529:
	s_add_u32 s14, s14, (.LBB1_7505-.Lpost_getpc4529)&4294967295
	s_addc_u32 s15, s15, (.LBB1_7505-.Lpost_getpc4529)>>32
	s_setpc_b64 s[14:15]
.LBB1_3409:
	s_or_saveexec_b64 s[6:7], s[6:7]
	v_mov_b32_e32 v13, s10
	s_xor_b64 exec, exec, s[6:7]
	s_cbranch_execz .LBB1_3410
; %bb.17253:
	s_getpc_b64 s[14:15]
.Lpost_getpc4530:
	s_add_u32 s14, s14, (.LBB1_7508-.Lpost_getpc4530)&4294967295
	s_addc_u32 s15, s15, (.LBB1_7508-.Lpost_getpc4530)>>32
	s_setpc_b64 s[14:15]
.LBB1_3410:
	s_or_b64 exec, exec, s[6:7]
	s_and_saveexec_b64 s[6:7], s[4:5]
	s_cbranch_execz .LBB1_3412
.LBB1_3411:
	v_bfe_u32 v13, v18, 16, 3
	v_ffbh_u32_e32 v17, v13
	v_min_u32_e32 v17, 32, v17
	v_lshrrev_b32_e32 v14, 19, v18
	v_subrev_u32_e32 v20, 28, v17
	v_and_b32_e32 v14, 15, v14
	v_lshlrev_b32_sdwa v20, v20, v18 dst_sel:DWORD dst_unused:UNUSED_PAD src0_sel:DWORD src1_sel:WORD_1
	v_bfe_u32 v16, v18, 19, 4
	v_sub_u32_e32 v17, 29, v17
	v_and_b32_e32 v20, 7, v20
	v_cmp_eq_u16_e32 vcc, 0, v14
	v_cndmask_b32_e32 v13, v13, v20, vcc
	v_cndmask_b32_e32 v14, v16, v17, vcc
	v_lshlrev_b32_e32 v16, 8, v18
	v_mov_b32_e32 v17, 0x3b800000
	v_lshlrev_b32_e32 v13, 20, v13
	v_and_b32_e32 v16, 0x80000000, v16
	v_lshl_add_u32 v14, v14, 23, v17
	v_or3_b32 v13, v16, v14, v13
.LBB1_3412:
	s_or_b64 exec, exec, s[6:7]
	s_movk_i32 s4, 0xff
	v_and_b32_sdwa v14, v12, s4 dst_sel:DWORD dst_unused:UNUSED_PAD src0_sel:WORD_1 src1_sel:DWORD
	s_movk_i32 s4, 0x7f
	v_cmp_lt_i16_e32 vcc, s4, v14
	s_mov_b64 s[4:5], 0
                                        ; implicit-def: $sgpr10
	s_and_saveexec_b64 s[6:7], vcc
	s_xor_b64 s[6:7], exec, s[6:7]
	s_cbranch_execz .LBB1_3413
; %bb.17255:
	s_getpc_b64 s[14:15]
.Lpost_getpc4531:
	s_add_u32 s14, s14, (.LBB1_7509-.Lpost_getpc4531)&4294967295
	s_addc_u32 s15, s15, (.LBB1_7509-.Lpost_getpc4531)>>32
	s_setpc_b64 s[14:15]
.LBB1_3413:
	s_or_saveexec_b64 s[6:7], s[6:7]
	v_mov_b32_e32 v16, s10
	s_xor_b64 exec, exec, s[6:7]
	s_cbranch_execz .LBB1_3414
; %bb.17257:
	s_getpc_b64 s[14:15]
.Lpost_getpc4532:
	s_add_u32 s14, s14, (.LBB1_7512-.Lpost_getpc4532)&4294967295
	s_addc_u32 s15, s15, (.LBB1_7512-.Lpost_getpc4532)>>32
	s_setpc_b64 s[14:15]
.LBB1_3414:
	s_or_b64 exec, exec, s[6:7]
	s_and_saveexec_b64 s[6:7], s[4:5]
	s_cbranch_execz .LBB1_3416
.LBB1_3415:
	v_bfe_u32 v14, v12, 16, 2
	v_ffbh_u32_e32 v20, v14
	v_min_u32_e32 v20, 32, v20
	v_lshrrev_b32_e32 v16, 18, v12
	v_subrev_u32_e32 v21, 29, v20
	v_and_b32_e32 v16, 31, v16
	v_lshlrev_b32_sdwa v21, v21, v12 dst_sel:DWORD dst_unused:UNUSED_PAD src0_sel:DWORD src1_sel:WORD_1
	v_bfe_u32 v17, v12, 18, 5
	v_sub_u32_e32 v20, 30, v20
	v_and_b32_e32 v21, 3, v21
	v_cmp_eq_u16_e32 vcc, 0, v16
	v_cndmask_b32_e32 v14, v14, v21, vcc
	v_cndmask_b32_e32 v16, v17, v20, vcc
	v_lshlrev_b32_e32 v17, 8, v12
	v_mov_b32_e32 v20, 0x37800000
	v_lshlrev_b32_e32 v14, 21, v14
	v_and_b32_e32 v17, 0x80000000, v17
	v_lshl_add_u32 v16, v16, 23, v20
	v_or3_b32 v16, v17, v16, v14
.LBB1_3416:
	s_or_b64 exec, exec, s[6:7]
	s_nop 0
	v_mfma_f32_16x16x4f32 a[0:3], v13, v16, a[0:3]
	s_movk_i32 s4, 0x7f
	v_cmp_gt_i16_sdwa s[6:7], v18, s4 src0_sel:BYTE_3 src1_sel:DWORD
	s_mov_b64 s[4:5], 0
                                        ; implicit-def: $sgpr10
	s_and_saveexec_b64 s[8:9], s[6:7]
	s_xor_b64 s[6:7], exec, s[8:9]
	s_cbranch_execz .LBB1_3417
; %bb.17259:
	s_getpc_b64 s[14:15]
.Lpost_getpc4533:
	s_add_u32 s14, s14, (.LBB1_7513-.Lpost_getpc4533)&4294967295
	s_addc_u32 s15, s15, (.LBB1_7513-.Lpost_getpc4533)>>32
	s_setpc_b64 s[14:15]
.LBB1_3417:
	s_or_saveexec_b64 s[6:7], s[6:7]
	v_mov_b32_e32 v13, s10
	s_xor_b64 exec, exec, s[6:7]
	s_cbranch_execz .LBB1_3418
; %bb.17261:
	s_getpc_b64 s[14:15]
.Lpost_getpc4534:
	s_add_u32 s14, s14, (.LBB1_7516-.Lpost_getpc4534)&4294967295
	s_addc_u32 s15, s15, (.LBB1_7516-.Lpost_getpc4534)>>32
	s_setpc_b64 s[14:15]
.LBB1_3418:
	s_or_b64 exec, exec, s[6:7]
	s_and_saveexec_b64 s[6:7], s[4:5]
	s_cbranch_execz .LBB1_3420
.LBB1_3419:
	v_bfe_u32 v13, v18, 24, 3
	v_ffbh_u32_e32 v20, v13
	v_min_u32_e32 v20, 32, v20
	v_lshrrev_b32_e32 v16, 27, v18
	v_subrev_u32_e32 v21, 28, v20
	v_and_b32_e32 v14, 0x80000000, v18
	v_and_b32_e32 v16, 15, v16
	v_bfe_u32 v17, v18, 27, 4
	v_lshlrev_b32_sdwa v18, v21, v18 dst_sel:DWORD dst_unused:UNUSED_PAD src0_sel:DWORD src1_sel:BYTE_3
	v_sub_u32_e32 v20, 29, v20
	v_and_b32_e32 v18, 7, v18
	v_cmp_eq_u16_e32 vcc, 0, v16
	v_cndmask_b32_e32 v13, v13, v18, vcc
	v_cndmask_b32_e32 v16, v17, v20, vcc
	v_mov_b32_e32 v17, 0x3b800000
	v_lshlrev_b32_e32 v13, 20, v13
	v_lshl_add_u32 v16, v16, 23, v17
	v_or3_b32 v13, v14, v16, v13
.LBB1_3420:
	s_or_b64 exec, exec, s[6:7]
	s_movk_i32 s4, 0x7f
	v_cmp_gt_i16_sdwa s[6:7], v12, s4 src0_sel:BYTE_3 src1_sel:DWORD
	s_mov_b64 s[4:5], 0
                                        ; implicit-def: $sgpr10
	s_and_saveexec_b64 s[8:9], s[6:7]
	s_xor_b64 s[6:7], exec, s[8:9]
	s_cbranch_execz .LBB1_3421
; %bb.17263:
	s_getpc_b64 s[14:15]
.Lpost_getpc4535:
	s_add_u32 s14, s14, (.LBB1_7517-.Lpost_getpc4535)&4294967295
	s_addc_u32 s15, s15, (.LBB1_7517-.Lpost_getpc4535)>>32
	s_setpc_b64 s[14:15]
.LBB1_3421:
	s_or_saveexec_b64 s[6:7], s[6:7]
	v_mov_b32_e32 v14, s10
	s_xor_b64 exec, exec, s[6:7]
	s_cbranch_execz .LBB1_3422
; %bb.17265:
	s_getpc_b64 s[14:15]
.Lpost_getpc4536:
	s_add_u32 s14, s14, (.LBB1_7520-.Lpost_getpc4536)&4294967295
	s_addc_u32 s15, s15, (.LBB1_7520-.Lpost_getpc4536)>>32
	s_setpc_b64 s[14:15]
.LBB1_3422:
	s_or_b64 exec, exec, s[6:7]
	s_and_saveexec_b64 s[6:7], s[4:5]
	s_cbranch_execz .LBB1_3424
.LBB1_3423:
	v_bfe_u32 v14, v12, 24, 2
	v_ffbh_u32_e32 v20, v14
	v_min_u32_e32 v20, 32, v20
	v_lshrrev_b32_e32 v17, 26, v12
	v_subrev_u32_e32 v21, 29, v20
	v_and_b32_e32 v16, 0x80000000, v12
	v_and_b32_e32 v17, 31, v17
	v_bfe_u32 v18, v12, 26, 5
	v_lshlrev_b32_sdwa v12, v21, v12 dst_sel:DWORD dst_unused:UNUSED_PAD src0_sel:DWORD src1_sel:BYTE_3
	v_sub_u32_e32 v20, 30, v20
	v_and_b32_e32 v12, 3, v12
	v_cmp_eq_u16_e32 vcc, 0, v17
	v_cndmask_b32_e32 v12, v14, v12, vcc
	v_cndmask_b32_e32 v14, v18, v20, vcc
	v_mov_b32_e32 v17, 0x37800000
	v_lshlrev_b32_e32 v12, 21, v12
	v_lshl_add_u32 v14, v14, 23, v17
	v_or3_b32 v14, v16, v14, v12
.LBB1_3424:
	s_or_b64 exec, exec, s[6:7]
	s_nop 0
	v_mfma_f32_16x16x4f32 a[0:3], v13, v14, a[0:3]
	s_movk_i32 s4, 0x7f
	v_cmp_gt_i16_sdwa s[6:7], v19, s4 src0_sel:BYTE_0 src1_sel:DWORD
	s_mov_b64 s[4:5], 0
                                        ; implicit-def: $sgpr10
	s_and_saveexec_b64 s[8:9], s[6:7]
	s_xor_b64 s[6:7], exec, s[8:9]
	s_cbranch_execz .LBB1_3425
; %bb.17267:
	s_getpc_b64 s[14:15]
.Lpost_getpc4537:
	s_add_u32 s14, s14, (.LBB1_7521-.Lpost_getpc4537)&4294967295
	s_addc_u32 s15, s15, (.LBB1_7521-.Lpost_getpc4537)>>32
	s_setpc_b64 s[14:15]
.LBB1_3425:
	s_or_saveexec_b64 s[6:7], s[6:7]
	v_mov_b32_e32 v12, s10
	s_xor_b64 exec, exec, s[6:7]
	s_cbranch_execz .LBB1_3426
; %bb.17269:
	s_getpc_b64 s[14:15]
.Lpost_getpc4538:
	s_add_u32 s14, s14, (.LBB1_7524-.Lpost_getpc4538)&4294967295
	s_addc_u32 s15, s15, (.LBB1_7524-.Lpost_getpc4538)>>32
	s_setpc_b64 s[14:15]
.LBB1_3426:
	s_or_b64 exec, exec, s[6:7]
	s_and_saveexec_b64 s[6:7], s[4:5]
	s_cbranch_execz .LBB1_3428
.LBB1_3427:
	v_mov_b32_e32 v12, 8
	v_and_b32_e32 v13, 7, v19
	v_lshrrev_b32_sdwa v12, v12, v19 dst_sel:BYTE_1 dst_unused:UNUSED_PAD src0_sel:DWORD src1_sel:DWORD
	v_ffbh_u32_e32 v14, v13
	v_or_b32_sdwa v12, v19, v12 dst_sel:DWORD dst_unused:UNUSED_PAD src0_sel:BYTE_0 src1_sel:DWORD
	v_min_u32_e32 v14, 32, v14
	v_lshrrev_b16_e32 v12, 3, v12
	v_subrev_u32_e32 v16, 28, v14
	v_and_b32_e32 v12, 15, v12
	v_lshlrev_b32_e32 v16, v16, v19
	v_sub_u32_e32 v14, 29, v14
	v_and_b32_e32 v16, 7, v16
	v_cmp_eq_u16_e32 vcc, 0, v12
	v_cndmask_b32_e32 v13, v13, v16, vcc
	v_cndmask_b32_e32 v12, v12, v14, vcc
	v_lshlrev_b32_e32 v14, 24, v19
	v_mov_b32_e32 v16, 0x3b800000
	v_lshlrev_b32_e32 v13, 20, v13
	v_and_b32_e32 v14, 0x80000000, v14
	v_lshl_add_u32 v12, v12, 23, v16
	v_or3_b32 v12, v14, v12, v13
.LBB1_3428:
	s_or_b64 exec, exec, s[6:7]
	s_movk_i32 s4, 0x7f
	v_cmp_gt_i16_sdwa s[6:7], v15, s4 src0_sel:BYTE_0 src1_sel:DWORD
	s_mov_b64 s[4:5], 0
                                        ; implicit-def: $sgpr10
	s_and_saveexec_b64 s[8:9], s[6:7]
	s_xor_b64 s[6:7], exec, s[8:9]
	s_cbranch_execz .LBB1_3429
; %bb.17271:
	s_getpc_b64 s[14:15]
.Lpost_getpc4539:
	s_add_u32 s14, s14, (.LBB1_7525-.Lpost_getpc4539)&4294967295
	s_addc_u32 s15, s15, (.LBB1_7525-.Lpost_getpc4539)>>32
	s_setpc_b64 s[14:15]
.LBB1_3429:
	s_or_saveexec_b64 s[6:7], s[6:7]
	v_mov_b32_e32 v13, s10
	s_xor_b64 exec, exec, s[6:7]
	s_cbranch_execz .LBB1_3430
; %bb.17273:
	s_getpc_b64 s[14:15]
.Lpost_getpc4540:
	s_add_u32 s14, s14, (.LBB1_7528-.Lpost_getpc4540)&4294967295
	s_addc_u32 s15, s15, (.LBB1_7528-.Lpost_getpc4540)>>32
	s_setpc_b64 s[14:15]
.LBB1_3430:
	s_or_b64 exec, exec, s[6:7]
	s_and_saveexec_b64 s[6:7], s[4:5]
	s_cbranch_execz .LBB1_3432
.LBB1_3431:
	v_and_b32_e32 v13, 3, v15
	v_ffbh_u32_e32 v16, v13
	v_min_u32_e32 v16, 32, v16
	v_lshrrev_b16_e32 v14, 2, v15
	v_subrev_u32_e32 v17, 29, v16
	v_and_b32_e32 v14, 31, v14
	v_lshlrev_b32_e32 v17, v17, v15
	v_sub_u32_e32 v16, 30, v16
	v_and_b32_e32 v17, 3, v17
	v_cmp_eq_u16_e32 vcc, 0, v14
	v_cndmask_b32_e32 v13, v13, v17, vcc
	v_cndmask_b32_e32 v14, v14, v16, vcc
	v_lshlrev_b32_e32 v16, 24, v15
	v_mov_b32_e32 v17, 0x37800000
	v_lshlrev_b32_e32 v13, 21, v13
	v_and_b32_e32 v16, 0x80000000, v16
	v_lshl_add_u32 v14, v14, 23, v17
	v_or3_b32 v13, v16, v14, v13
.LBB1_3432:
	s_or_b64 exec, exec, s[6:7]
	s_nop 0
	v_mfma_f32_16x16x4f32 a[0:3], v12, v13, a[0:3]
	v_lshrrev_b32_e32 v13, 8, v19
	s_movk_i32 s4, 0x7f
	v_cmp_gt_i16_sdwa s[6:7], v13, s4 src0_sel:BYTE_0 src1_sel:DWORD
	s_mov_b64 s[4:5], 0
                                        ; implicit-def: $sgpr10
	s_and_saveexec_b64 s[8:9], s[6:7]
	s_xor_b64 s[6:7], exec, s[8:9]
	s_cbranch_execz .LBB1_3433
; %bb.17275:
	s_getpc_b64 s[14:15]
.Lpost_getpc4541:
	s_add_u32 s14, s14, (.LBB1_7529-.Lpost_getpc4541)&4294967295
	s_addc_u32 s15, s15, (.LBB1_7529-.Lpost_getpc4541)>>32
	s_setpc_b64 s[14:15]
.LBB1_3433:
	s_or_saveexec_b64 s[6:7], s[6:7]
	v_mov_b32_e32 v12, s10
	s_xor_b64 exec, exec, s[6:7]
	s_cbranch_execz .LBB1_3434
; %bb.17277:
	s_getpc_b64 s[14:15]
.Lpost_getpc4542:
	s_add_u32 s14, s14, (.LBB1_7532-.Lpost_getpc4542)&4294967295
	s_addc_u32 s15, s15, (.LBB1_7532-.Lpost_getpc4542)>>32
	s_setpc_b64 s[14:15]
.LBB1_3434:
	s_or_b64 exec, exec, s[6:7]
	s_and_saveexec_b64 s[6:7], s[4:5]
	s_cbranch_execz .LBB1_3436
.LBB1_3435:
	v_bfe_u32 v12, v19, 8, 3
	v_ffbh_u32_e32 v16, v12
	v_min_u32_e32 v16, 32, v16
	v_lshrrev_b16_e32 v14, 3, v13
	v_subrev_u32_e32 v17, 28, v16
	v_and_b32_e32 v14, 15, v14
	v_lshlrev_b32_e32 v13, v17, v13
	v_sub_u32_e32 v16, 29, v16
	v_and_b32_e32 v13, 7, v13
	v_cmp_eq_u16_e32 vcc, 0, v14
	v_cndmask_b32_e32 v12, v12, v13, vcc
	v_cndmask_b32_e32 v13, v14, v16, vcc
	v_lshlrev_b32_e32 v14, 16, v19
	v_mov_b32_e32 v16, 0x3b800000
	v_lshlrev_b32_e32 v12, 20, v12
	v_and_b32_e32 v14, 0x80000000, v14
	v_lshl_add_u32 v13, v13, 23, v16
	v_or3_b32 v12, v14, v13, v12
.LBB1_3436:
	s_or_b64 exec, exec, s[6:7]
	v_lshrrev_b32_e32 v13, 8, v15
	s_movk_i32 s4, 0x7f
	v_cmp_gt_i16_sdwa s[6:7], v13, s4 src0_sel:BYTE_0 src1_sel:DWORD
	s_mov_b64 s[4:5], 0
                                        ; implicit-def: $sgpr10
	s_and_saveexec_b64 s[8:9], s[6:7]
	s_xor_b64 s[6:7], exec, s[8:9]
	s_cbranch_execz .LBB1_3437
; %bb.17279:
	s_getpc_b64 s[14:15]
.Lpost_getpc4543:
	s_add_u32 s14, s14, (.LBB1_7533-.Lpost_getpc4543)&4294967295
	s_addc_u32 s15, s15, (.LBB1_7533-.Lpost_getpc4543)>>32
	s_setpc_b64 s[14:15]
.LBB1_3437:
	s_or_saveexec_b64 s[6:7], s[6:7]
	v_mov_b32_e32 v14, s10
	s_xor_b64 exec, exec, s[6:7]
	s_cbranch_execz .LBB1_3438
; %bb.17281:
	s_getpc_b64 s[14:15]
.Lpost_getpc4544:
	s_add_u32 s14, s14, (.LBB1_7536-.Lpost_getpc4544)&4294967295
	s_addc_u32 s15, s15, (.LBB1_7536-.Lpost_getpc4544)>>32
	s_setpc_b64 s[14:15]
.LBB1_3438:
	s_or_b64 exec, exec, s[6:7]
	s_and_saveexec_b64 s[6:7], s[4:5]
	s_cbranch_execz .LBB1_3440
.LBB1_3439:
	v_bfe_u32 v14, v15, 8, 2
	v_ffbh_u32_e32 v17, v14
	v_min_u32_e32 v17, 32, v17
	v_lshrrev_b16_e32 v16, 2, v13
	v_subrev_u32_e32 v18, 29, v17
	v_and_b32_e32 v16, 31, v16
	v_lshlrev_b32_e32 v13, v18, v13
	v_sub_u32_e32 v17, 30, v17
	v_and_b32_e32 v13, 3, v13
	v_cmp_eq_u16_e32 vcc, 0, v16
	v_cndmask_b32_e32 v13, v14, v13, vcc
	v_cndmask_b32_e32 v14, v16, v17, vcc
	v_lshlrev_b32_e32 v16, 16, v15
	v_mov_b32_e32 v17, 0x37800000
	v_lshlrev_b32_e32 v13, 21, v13
	v_and_b32_e32 v16, 0x80000000, v16
	v_lshl_add_u32 v14, v14, 23, v17
	v_or3_b32 v14, v16, v14, v13
.LBB1_3440:
	s_or_b64 exec, exec, s[6:7]
	s_nop 0
	v_mfma_f32_16x16x4f32 a[0:3], v12, v14, a[0:3]
	s_movk_i32 s4, 0xff
	v_and_b32_sdwa v13, v19, s4 dst_sel:DWORD dst_unused:UNUSED_PAD src0_sel:WORD_1 src1_sel:DWORD
	s_movk_i32 s4, 0x7f
	v_cmp_lt_i16_e32 vcc, s4, v13
	s_mov_b64 s[4:5], 0
                                        ; implicit-def: $sgpr10
	s_and_saveexec_b64 s[6:7], vcc
	s_xor_b64 s[6:7], exec, s[6:7]
	s_cbranch_execz .LBB1_3441
; %bb.17283:
	s_getpc_b64 s[14:15]
.Lpost_getpc4545:
	s_add_u32 s14, s14, (.LBB1_7537-.Lpost_getpc4545)&4294967295
	s_addc_u32 s15, s15, (.LBB1_7537-.Lpost_getpc4545)>>32
	s_setpc_b64 s[14:15]
.LBB1_3441:
	s_or_saveexec_b64 s[6:7], s[6:7]
	v_mov_b32_e32 v12, s10
	s_xor_b64 exec, exec, s[6:7]
	s_cbranch_execz .LBB1_3442
; %bb.17285:
	s_getpc_b64 s[14:15]
.Lpost_getpc4546:
	s_add_u32 s14, s14, (.LBB1_7540-.Lpost_getpc4546)&4294967295
	s_addc_u32 s15, s15, (.LBB1_7540-.Lpost_getpc4546)>>32
	s_setpc_b64 s[14:15]
.LBB1_3442:
	s_or_b64 exec, exec, s[6:7]
	s_and_saveexec_b64 s[6:7], s[4:5]
	s_cbranch_execz .LBB1_3444
.LBB1_3443:
	v_bfe_u32 v12, v19, 16, 3
	v_ffbh_u32_e32 v16, v12
	v_min_u32_e32 v16, 32, v16
	v_lshrrev_b32_e32 v13, 19, v19
	v_subrev_u32_e32 v17, 28, v16
	v_and_b32_e32 v13, 15, v13
	v_lshlrev_b32_sdwa v17, v17, v19 dst_sel:DWORD dst_unused:UNUSED_PAD src0_sel:DWORD src1_sel:WORD_1
	v_bfe_u32 v14, v19, 19, 4
	v_sub_u32_e32 v16, 29, v16
	v_and_b32_e32 v17, 7, v17
	v_cmp_eq_u16_e32 vcc, 0, v13
	v_cndmask_b32_e32 v12, v12, v17, vcc
	v_cndmask_b32_e32 v13, v14, v16, vcc
	v_lshlrev_b32_e32 v14, 8, v19
	v_mov_b32_e32 v16, 0x3b800000
	v_lshlrev_b32_e32 v12, 20, v12
	v_and_b32_e32 v14, 0x80000000, v14
	v_lshl_add_u32 v13, v13, 23, v16
	v_or3_b32 v12, v14, v13, v12
.LBB1_3444:
	s_or_b64 exec, exec, s[6:7]
	s_movk_i32 s4, 0xff
	v_and_b32_sdwa v13, v15, s4 dst_sel:DWORD dst_unused:UNUSED_PAD src0_sel:WORD_1 src1_sel:DWORD
	s_movk_i32 s4, 0x7f
	v_cmp_lt_i16_e32 vcc, s4, v13
	s_mov_b64 s[4:5], 0
                                        ; implicit-def: $sgpr10
	s_and_saveexec_b64 s[6:7], vcc
	s_xor_b64 s[6:7], exec, s[6:7]
	s_cbranch_execz .LBB1_3445
; %bb.17287:
	s_getpc_b64 s[14:15]
.Lpost_getpc4547:
	s_add_u32 s14, s14, (.LBB1_7541-.Lpost_getpc4547)&4294967295
	s_addc_u32 s15, s15, (.LBB1_7541-.Lpost_getpc4547)>>32
	s_setpc_b64 s[14:15]
.LBB1_3445:
	s_or_saveexec_b64 s[6:7], s[6:7]
	v_mov_b32_e32 v14, s10
	s_xor_b64 exec, exec, s[6:7]
	s_cbranch_execz .LBB1_3446
; %bb.17289:
	s_getpc_b64 s[14:15]
.Lpost_getpc4548:
	s_add_u32 s14, s14, (.LBB1_7544-.Lpost_getpc4548)&4294967295
	s_addc_u32 s15, s15, (.LBB1_7544-.Lpost_getpc4548)>>32
	s_setpc_b64 s[14:15]
.LBB1_3446:
	s_or_b64 exec, exec, s[6:7]
	s_and_saveexec_b64 s[6:7], s[4:5]
	s_cbranch_execz .LBB1_3448
.LBB1_3447:
	v_bfe_u32 v13, v15, 16, 2
	v_ffbh_u32_e32 v17, v13
	v_min_u32_e32 v17, 32, v17
	v_lshrrev_b32_e32 v14, 18, v15
	v_subrev_u32_e32 v18, 29, v17
	v_and_b32_e32 v14, 31, v14
	v_lshlrev_b32_sdwa v18, v18, v15 dst_sel:DWORD dst_unused:UNUSED_PAD src0_sel:DWORD src1_sel:WORD_1
	v_bfe_u32 v16, v15, 18, 5
	v_sub_u32_e32 v17, 30, v17
	v_and_b32_e32 v18, 3, v18
	v_cmp_eq_u16_e32 vcc, 0, v14
	v_cndmask_b32_e32 v13, v13, v18, vcc
	v_cndmask_b32_e32 v14, v16, v17, vcc
	v_lshlrev_b32_e32 v16, 8, v15
	v_mov_b32_e32 v17, 0x37800000
	v_lshlrev_b32_e32 v13, 21, v13
	v_and_b32_e32 v16, 0x80000000, v16
	v_lshl_add_u32 v14, v14, 23, v17
	v_or3_b32 v14, v16, v14, v13
.LBB1_3448:
	s_or_b64 exec, exec, s[6:7]
	s_nop 0
	v_mfma_f32_16x16x4f32 a[0:3], v12, v14, a[0:3]
	s_movk_i32 s4, 0x7f
	v_cmp_gt_i16_sdwa s[6:7], v19, s4 src0_sel:BYTE_3 src1_sel:DWORD
	s_mov_b64 s[4:5], 0
                                        ; implicit-def: $sgpr10
	s_and_saveexec_b64 s[8:9], s[6:7]
	s_xor_b64 s[6:7], exec, s[8:9]
	s_cbranch_execz .LBB1_3449
; %bb.17291:
	s_getpc_b64 s[14:15]
.Lpost_getpc4549:
	s_add_u32 s14, s14, (.LBB1_7545-.Lpost_getpc4549)&4294967295
	s_addc_u32 s15, s15, (.LBB1_7545-.Lpost_getpc4549)>>32
	s_setpc_b64 s[14:15]
.LBB1_3449:
	s_or_saveexec_b64 s[6:7], s[6:7]
	v_mov_b32_e32 v12, s10
	s_xor_b64 exec, exec, s[6:7]
	s_cbranch_execz .LBB1_3450
; %bb.17293:
	s_getpc_b64 s[14:15]
.Lpost_getpc4550:
	s_add_u32 s14, s14, (.LBB1_7548-.Lpost_getpc4550)&4294967295
	s_addc_u32 s15, s15, (.LBB1_7548-.Lpost_getpc4550)>>32
	s_setpc_b64 s[14:15]
.LBB1_3450:
	s_or_b64 exec, exec, s[6:7]
	s_and_saveexec_b64 s[6:7], s[4:5]
	s_cbranch_execz .LBB1_3452
.LBB1_3451:
	v_bfe_u32 v12, v19, 24, 3
	v_ffbh_u32_e32 v17, v12
	v_min_u32_e32 v17, 32, v17
	v_lshrrev_b32_e32 v14, 27, v19
	v_subrev_u32_e32 v18, 28, v17
	v_and_b32_e32 v14, 15, v14
	v_lshlrev_b32_sdwa v18, v18, v19 dst_sel:DWORD dst_unused:UNUSED_PAD src0_sel:DWORD src1_sel:BYTE_3
	v_bfe_u32 v16, v19, 27, 4
	v_sub_u32_e32 v17, 29, v17
	v_and_b32_e32 v18, 7, v18
	v_cmp_eq_u16_e32 vcc, 0, v14
	v_cndmask_b32_e32 v12, v12, v18, vcc
	v_cndmask_b32_e32 v14, v16, v17, vcc
	v_mov_b32_e32 v16, 0x3b800000
	v_and_b32_e32 v13, 0x80000000, v19
	v_lshlrev_b32_e32 v12, 20, v12
	v_lshl_add_u32 v14, v14, 23, v16
	v_or3_b32 v12, v13, v14, v12
.LBB1_3452:
	s_or_b64 exec, exec, s[6:7]
	s_movk_i32 s4, 0x7f
	v_cmp_gt_i16_sdwa s[6:7], v15, s4 src0_sel:BYTE_3 src1_sel:DWORD
	s_mov_b64 s[4:5], 0
                                        ; implicit-def: $sgpr10
	s_and_saveexec_b64 s[8:9], s[6:7]
	s_xor_b64 s[6:7], exec, s[8:9]
	s_cbranch_execz .LBB1_3453
; %bb.17295:
	s_getpc_b64 s[14:15]
.Lpost_getpc4551:
	s_add_u32 s14, s14, (.LBB1_7549-.Lpost_getpc4551)&4294967295
	s_addc_u32 s15, s15, (.LBB1_7549-.Lpost_getpc4551)>>32
	s_setpc_b64 s[14:15]
.LBB1_3453:
	s_or_saveexec_b64 s[6:7], s[6:7]
	v_mov_b32_e32 v13, s10
	s_xor_b64 exec, exec, s[6:7]
	s_cbranch_execz .LBB1_3454
; %bb.17297:
	s_getpc_b64 s[14:15]
.Lpost_getpc4552:
	s_add_u32 s14, s14, (.LBB1_7552-.Lpost_getpc4552)&4294967295
	s_addc_u32 s15, s15, (.LBB1_7552-.Lpost_getpc4552)>>32
	s_setpc_b64 s[14:15]
.LBB1_3454:
	s_or_b64 exec, exec, s[6:7]
	s_and_saveexec_b64 s[6:7], s[4:5]
	s_cbranch_execz .LBB1_3456
.LBB1_3455:
	v_bfe_u32 v13, v15, 24, 2
	v_ffbh_u32_e32 v18, v13
	v_min_u32_e32 v18, 32, v18
	v_lshrrev_b32_e32 v16, 26, v15
	v_subrev_u32_e32 v19, 29, v18
	v_and_b32_e32 v14, 0x80000000, v15
	v_and_b32_e32 v16, 31, v16
	v_bfe_u32 v17, v15, 26, 5
	v_lshlrev_b32_sdwa v15, v19, v15 dst_sel:DWORD dst_unused:UNUSED_PAD src0_sel:DWORD src1_sel:BYTE_3
	v_sub_u32_e32 v18, 30, v18
	v_and_b32_e32 v15, 3, v15
	v_cmp_eq_u16_e32 vcc, 0, v16
	v_cndmask_b32_e32 v13, v13, v15, vcc
	v_cndmask_b32_e32 v15, v17, v18, vcc
	v_mov_b32_e32 v16, 0x37800000
	v_lshlrev_b32_e32 v13, 21, v13
	v_lshl_add_u32 v15, v15, 23, v16
	v_or3_b32 v13, v14, v15, v13
.LBB1_3456:
	s_or_b64 exec, exec, s[6:7]
	s_nop 0
	v_mfma_f32_16x16x4f32 a[0:3], v12, v13, a[0:3]
	v_mov_b32_e32 v16, 8
	s_movk_i32 s4, 0x7f
                                        ; implicit-def: $sgpr10
	s_nop 7
	s_nop 0
	flat_store_dwordx4 v[10:11], a[0:3] offset:416
	flat_load_dword v14, v[0:1] offset:544
	flat_load_dwordx2 v[12:13], v[6:7]
	s_waitcnt vmcnt(0) lgkmcnt(0)
	v_ashrrev_i32_e32 v15, 31, v14
	v_add_co_u32_e32 v12, vcc, v12, v14
	v_addc_co_u32_e32 v13, vcc, v13, v15, vcc
	flat_load_dwordx4 v[12:15], v[12:13] offset:1536
	s_waitcnt vmcnt(0) lgkmcnt(0)
	v_lshrrev_b32_sdwa v20, v16, v14 dst_sel:BYTE_1 dst_unused:UNUSED_PAD src0_sel:DWORD src1_sel:DWORD
	flat_store_dwordx4 v[8:9], v[12:15]
	flat_load_dwordx4 v[16:19], v[4:5]
	s_waitcnt vmcnt(0) lgkmcnt(0)
	v_cmp_gt_i16_sdwa s[6:7], v16, s4 src0_sel:BYTE_0 src1_sel:DWORD
	s_mov_b64 s[4:5], 0
	s_and_saveexec_b64 s[8:9], s[6:7]
	s_xor_b64 s[6:7], exec, s[8:9]
	s_cbranch_execz .LBB1_3457
; %bb.17299:
	s_getpc_b64 s[14:15]
.Lpost_getpc4553:
	s_add_u32 s14, s14, (.LBB1_7553-.Lpost_getpc4553)&4294967295
	s_addc_u32 s15, s15, (.LBB1_7553-.Lpost_getpc4553)>>32
	s_setpc_b64 s[14:15]
.LBB1_3457:
	s_or_saveexec_b64 s[6:7], s[6:7]
	v_mov_b32_e32 v21, s10
	s_xor_b64 exec, exec, s[6:7]
	s_cbranch_execz .LBB1_3458
; %bb.17301:
	s_getpc_b64 s[14:15]
.Lpost_getpc4554:
	s_add_u32 s14, s14, (.LBB1_7556-.Lpost_getpc4554)&4294967295
	s_addc_u32 s15, s15, (.LBB1_7556-.Lpost_getpc4554)>>32
	s_setpc_b64 s[14:15]
.LBB1_3458:
	s_or_b64 exec, exec, s[6:7]
	s_and_saveexec_b64 s[6:7], s[4:5]
	s_cbranch_execz .LBB1_3460
.LBB1_3459:
	v_and_b32_e32 v21, 7, v16
	v_ffbh_u32_e32 v23, v21
	v_min_u32_e32 v23, 32, v23
	v_lshrrev_b16_e32 v22, 3, v16
	v_subrev_u32_e32 v24, 28, v23
	v_and_b32_e32 v22, 15, v22
	v_lshlrev_b32_e32 v24, v24, v16
	v_sub_u32_e32 v23, 29, v23
	v_and_b32_e32 v24, 7, v24
	v_cmp_eq_u16_e32 vcc, 0, v22
	v_cndmask_b32_e32 v21, v21, v24, vcc
	v_cndmask_b32_e32 v22, v22, v23, vcc
	v_lshlrev_b32_e32 v23, 24, v16
	v_mov_b32_e32 v24, 0x3b800000
	v_lshlrev_b32_e32 v21, 20, v21
	v_and_b32_e32 v23, 0x80000000, v23
	v_lshl_add_u32 v22, v22, 23, v24
	v_or3_b32 v21, v23, v22, v21
.LBB1_3460:
	s_or_b64 exec, exec, s[6:7]
	s_movk_i32 s4, 0x7f
	v_cmp_gt_i16_sdwa s[6:7], v12, s4 src0_sel:BYTE_0 src1_sel:DWORD
	s_mov_b64 s[4:5], 0
                                        ; implicit-def: $sgpr10
	s_and_saveexec_b64 s[8:9], s[6:7]
	s_xor_b64 s[6:7], exec, s[8:9]
	s_cbranch_execz .LBB1_3461
; %bb.17303:
	s_getpc_b64 s[14:15]
.Lpost_getpc4555:
	s_add_u32 s14, s14, (.LBB1_7557-.Lpost_getpc4555)&4294967295
	s_addc_u32 s15, s15, (.LBB1_7557-.Lpost_getpc4555)>>32
	s_setpc_b64 s[14:15]
.LBB1_3461:
	s_or_saveexec_b64 s[6:7], s[6:7]
	v_mov_b32_e32 v22, s10
	s_xor_b64 exec, exec, s[6:7]
	s_cbranch_execz .LBB1_3462
; %bb.17305:
	s_getpc_b64 s[14:15]
.Lpost_getpc4556:
	s_add_u32 s14, s14, (.LBB1_7560-.Lpost_getpc4556)&4294967295
	s_addc_u32 s15, s15, (.LBB1_7560-.Lpost_getpc4556)>>32
	s_setpc_b64 s[14:15]
.LBB1_3462:
	s_or_b64 exec, exec, s[6:7]
	s_and_saveexec_b64 s[6:7], s[4:5]
	s_cbranch_execz .LBB1_3464
.LBB1_3463:
	v_and_b32_e32 v22, 3, v12
	v_ffbh_u32_e32 v24, v22
	v_min_u32_e32 v24, 32, v24
	v_lshrrev_b16_e32 v23, 2, v12
	v_subrev_u32_e32 v25, 29, v24
	v_and_b32_e32 v23, 31, v23
	v_lshlrev_b32_e32 v25, v25, v12
	v_sub_u32_e32 v24, 30, v24
	v_and_b32_e32 v25, 3, v25
	v_cmp_eq_u16_e32 vcc, 0, v23
	v_cndmask_b32_e32 v22, v22, v25, vcc
	v_cndmask_b32_e32 v23, v23, v24, vcc
	v_lshlrev_b32_e32 v24, 24, v12
	v_mov_b32_e32 v25, 0x37800000
	v_lshlrev_b32_e32 v22, 21, v22
	v_and_b32_e32 v24, 0x80000000, v24
	v_lshl_add_u32 v23, v23, 23, v25
	v_or3_b32 v22, v24, v23, v22
.LBB1_3464:
	s_or_b64 exec, exec, s[6:7]
	flat_load_dwordx4 a[0:3], v[10:11] offset:432
	s_movk_i32 s4, 0x7f
                                        ; implicit-def: $sgpr10
	s_waitcnt vmcnt(0) lgkmcnt(0)
	v_mfma_f32_16x16x4f32 a[0:3], v21, v22, a[0:3]
	v_lshrrev_b32_e32 v22, 8, v16
	v_cmp_gt_i16_sdwa s[6:7], v22, s4 src0_sel:BYTE_0 src1_sel:DWORD
	s_mov_b64 s[4:5], 0
	s_and_saveexec_b64 s[8:9], s[6:7]
	s_xor_b64 s[6:7], exec, s[8:9]
	s_cbranch_execz .LBB1_3465
; %bb.17307:
	s_getpc_b64 s[14:15]
.Lpost_getpc4557:
	s_add_u32 s14, s14, (.LBB1_7561-.Lpost_getpc4557)&4294967295
	s_addc_u32 s15, s15, (.LBB1_7561-.Lpost_getpc4557)>>32
	s_setpc_b64 s[14:15]
.LBB1_3465:
	s_or_saveexec_b64 s[6:7], s[6:7]
	v_mov_b32_e32 v21, s10
	s_xor_b64 exec, exec, s[6:7]
	s_cbranch_execz .LBB1_3466
; %bb.17309:
	s_getpc_b64 s[14:15]
.Lpost_getpc4558:
	s_add_u32 s14, s14, (.LBB1_7564-.Lpost_getpc4558)&4294967295
	s_addc_u32 s15, s15, (.LBB1_7564-.Lpost_getpc4558)>>32
	s_setpc_b64 s[14:15]
.LBB1_3466:
	s_or_b64 exec, exec, s[6:7]
	s_and_saveexec_b64 s[6:7], s[4:5]
	s_cbranch_execz .LBB1_3468
.LBB1_3467:
	v_bfe_u32 v21, v16, 8, 3
	v_ffbh_u32_e32 v24, v21
	v_min_u32_e32 v24, 32, v24
	v_lshrrev_b16_e32 v23, 3, v22
	v_subrev_u32_e32 v25, 28, v24
	v_and_b32_e32 v23, 15, v23
	v_lshlrev_b32_e32 v22, v25, v22
	v_sub_u32_e32 v24, 29, v24
	v_and_b32_e32 v22, 7, v22
	v_cmp_eq_u16_e32 vcc, 0, v23
	v_cndmask_b32_e32 v21, v21, v22, vcc
	v_cndmask_b32_e32 v22, v23, v24, vcc
	v_lshlrev_b32_e32 v23, 16, v16
	v_mov_b32_e32 v24, 0x3b800000
	v_lshlrev_b32_e32 v21, 20, v21
	v_and_b32_e32 v23, 0x80000000, v23
	v_lshl_add_u32 v22, v22, 23, v24
	v_or3_b32 v21, v23, v22, v21
.LBB1_3468:
	s_or_b64 exec, exec, s[6:7]
	v_lshrrev_b32_e32 v22, 8, v12
	s_movk_i32 s4, 0x7f
	v_cmp_gt_i16_sdwa s[6:7], v22, s4 src0_sel:BYTE_0 src1_sel:DWORD
	s_mov_b64 s[4:5], 0
                                        ; implicit-def: $sgpr10
	s_and_saveexec_b64 s[8:9], s[6:7]
	s_xor_b64 s[6:7], exec, s[8:9]
	s_cbranch_execz .LBB1_3469
; %bb.17311:
	s_getpc_b64 s[14:15]
.Lpost_getpc4559:
	s_add_u32 s14, s14, (.LBB1_7565-.Lpost_getpc4559)&4294967295
	s_addc_u32 s15, s15, (.LBB1_7565-.Lpost_getpc4559)>>32
	s_setpc_b64 s[14:15]
.LBB1_3469:
	s_or_saveexec_b64 s[6:7], s[6:7]
	v_mov_b32_e32 v23, s10
	s_xor_b64 exec, exec, s[6:7]
	s_cbranch_execz .LBB1_3470
; %bb.17313:
	s_getpc_b64 s[14:15]
.Lpost_getpc4560:
	s_add_u32 s14, s14, (.LBB1_7568-.Lpost_getpc4560)&4294967295
	s_addc_u32 s15, s15, (.LBB1_7568-.Lpost_getpc4560)>>32
	s_setpc_b64 s[14:15]
.LBB1_3470:
	s_or_b64 exec, exec, s[6:7]
	s_and_saveexec_b64 s[6:7], s[4:5]
	s_cbranch_execz .LBB1_3472
.LBB1_3471:
	v_bfe_u32 v23, v12, 8, 2
	v_ffbh_u32_e32 v25, v23
	v_min_u32_e32 v25, 32, v25
	v_lshrrev_b16_e32 v24, 2, v22
	v_subrev_u32_e32 v26, 29, v25
	v_and_b32_e32 v24, 31, v24
	v_lshlrev_b32_e32 v22, v26, v22
	v_sub_u32_e32 v25, 30, v25
	v_and_b32_e32 v22, 3, v22
	v_cmp_eq_u16_e32 vcc, 0, v24
	v_cndmask_b32_e32 v22, v23, v22, vcc
	v_cndmask_b32_e32 v23, v24, v25, vcc
	v_lshlrev_b32_e32 v24, 16, v12
	v_mov_b32_e32 v25, 0x37800000
	v_lshlrev_b32_e32 v22, 21, v22
	v_and_b32_e32 v24, 0x80000000, v24
	v_lshl_add_u32 v23, v23, 23, v25
	v_or3_b32 v23, v24, v23, v22
.LBB1_3472:
	s_or_b64 exec, exec, s[6:7]
	s_nop 0
	v_mfma_f32_16x16x4f32 a[0:3], v21, v23, a[0:3]
	s_movk_i32 s4, 0xff
	v_and_b32_sdwa v22, v16, s4 dst_sel:DWORD dst_unused:UNUSED_PAD src0_sel:WORD_1 src1_sel:DWORD
	s_movk_i32 s4, 0x7f
	v_cmp_lt_i16_e32 vcc, s4, v22
	s_mov_b64 s[4:5], 0
                                        ; implicit-def: $sgpr10
	s_and_saveexec_b64 s[6:7], vcc
	s_xor_b64 s[6:7], exec, s[6:7]
	s_cbranch_execz .LBB1_3473
; %bb.17315:
	s_getpc_b64 s[14:15]
.Lpost_getpc4561:
	s_add_u32 s14, s14, (.LBB1_7569-.Lpost_getpc4561)&4294967295
	s_addc_u32 s15, s15, (.LBB1_7569-.Lpost_getpc4561)>>32
	s_setpc_b64 s[14:15]
.LBB1_3473:
	s_or_saveexec_b64 s[6:7], s[6:7]
	v_mov_b32_e32 v21, s10
	s_xor_b64 exec, exec, s[6:7]
	s_cbranch_execz .LBB1_3474
; %bb.17317:
	s_getpc_b64 s[14:15]
.Lpost_getpc4562:
	s_add_u32 s14, s14, (.LBB1_7572-.Lpost_getpc4562)&4294967295
	s_addc_u32 s15, s15, (.LBB1_7572-.Lpost_getpc4562)>>32
	s_setpc_b64 s[14:15]
.LBB1_3474:
	s_or_b64 exec, exec, s[6:7]
	s_and_saveexec_b64 s[6:7], s[4:5]
	s_cbranch_execz .LBB1_3476
.LBB1_3475:
	v_bfe_u32 v21, v16, 16, 3
	v_ffbh_u32_e32 v24, v21
	v_min_u32_e32 v24, 32, v24
	v_lshrrev_b32_e32 v22, 19, v16
	v_subrev_u32_e32 v25, 28, v24
	v_and_b32_e32 v22, 15, v22
	v_lshlrev_b32_sdwa v25, v25, v16 dst_sel:DWORD dst_unused:UNUSED_PAD src0_sel:DWORD src1_sel:WORD_1
	v_bfe_u32 v23, v16, 19, 4
	v_sub_u32_e32 v24, 29, v24
	v_and_b32_e32 v25, 7, v25
	v_cmp_eq_u16_e32 vcc, 0, v22
	v_cndmask_b32_e32 v21, v21, v25, vcc
	v_cndmask_b32_e32 v22, v23, v24, vcc
	v_lshlrev_b32_e32 v23, 8, v16
	v_mov_b32_e32 v24, 0x3b800000
	v_lshlrev_b32_e32 v21, 20, v21
	v_and_b32_e32 v23, 0x80000000, v23
	v_lshl_add_u32 v22, v22, 23, v24
	v_or3_b32 v21, v23, v22, v21
.LBB1_3476:
	s_or_b64 exec, exec, s[6:7]
	s_movk_i32 s4, 0xff
	v_and_b32_sdwa v22, v12, s4 dst_sel:DWORD dst_unused:UNUSED_PAD src0_sel:WORD_1 src1_sel:DWORD
	s_movk_i32 s4, 0x7f
	v_cmp_lt_i16_e32 vcc, s4, v22
	s_mov_b64 s[4:5], 0
                                        ; implicit-def: $sgpr10
	s_and_saveexec_b64 s[6:7], vcc
	s_xor_b64 s[6:7], exec, s[6:7]
	s_cbranch_execz .LBB1_3477
; %bb.17319:
	s_getpc_b64 s[14:15]
.Lpost_getpc4563:
	s_add_u32 s14, s14, (.LBB1_7573-.Lpost_getpc4563)&4294967295
	s_addc_u32 s15, s15, (.LBB1_7573-.Lpost_getpc4563)>>32
	s_setpc_b64 s[14:15]
.LBB1_3477:
	s_or_saveexec_b64 s[6:7], s[6:7]
	v_mov_b32_e32 v23, s10
	s_xor_b64 exec, exec, s[6:7]
	s_cbranch_execz .LBB1_3478
; %bb.17321:
	s_getpc_b64 s[14:15]
.Lpost_getpc4564:
	s_add_u32 s14, s14, (.LBB1_7576-.Lpost_getpc4564)&4294967295
	s_addc_u32 s15, s15, (.LBB1_7576-.Lpost_getpc4564)>>32
	s_setpc_b64 s[14:15]
.LBB1_3478:
	s_or_b64 exec, exec, s[6:7]
	s_and_saveexec_b64 s[6:7], s[4:5]
	s_cbranch_execz .LBB1_3480
.LBB1_3479:
	v_bfe_u32 v22, v12, 16, 2
	v_ffbh_u32_e32 v25, v22
	v_min_u32_e32 v25, 32, v25
	v_lshrrev_b32_e32 v23, 18, v12
	v_subrev_u32_e32 v26, 29, v25
	v_and_b32_e32 v23, 31, v23
	v_lshlrev_b32_sdwa v26, v26, v12 dst_sel:DWORD dst_unused:UNUSED_PAD src0_sel:DWORD src1_sel:WORD_1
	v_bfe_u32 v24, v12, 18, 5
	v_sub_u32_e32 v25, 30, v25
	v_and_b32_e32 v26, 3, v26
	v_cmp_eq_u16_e32 vcc, 0, v23
	v_cndmask_b32_e32 v22, v22, v26, vcc
	v_cndmask_b32_e32 v23, v24, v25, vcc
	v_lshlrev_b32_e32 v24, 8, v12
	v_mov_b32_e32 v25, 0x37800000
	v_lshlrev_b32_e32 v22, 21, v22
	v_and_b32_e32 v24, 0x80000000, v24
	v_lshl_add_u32 v23, v23, 23, v25
	v_or3_b32 v23, v24, v23, v22
.LBB1_3480:
	s_or_b64 exec, exec, s[6:7]
	s_nop 0
	v_mfma_f32_16x16x4f32 a[0:3], v21, v23, a[0:3]
	s_movk_i32 s4, 0x7f
	v_cmp_gt_i16_sdwa s[6:7], v16, s4 src0_sel:BYTE_3 src1_sel:DWORD
	s_mov_b64 s[4:5], 0
                                        ; implicit-def: $sgpr10
	s_and_saveexec_b64 s[8:9], s[6:7]
	s_xor_b64 s[6:7], exec, s[8:9]
	s_cbranch_execz .LBB1_3481
; %bb.17323:
	s_getpc_b64 s[14:15]
.Lpost_getpc4565:
	s_add_u32 s14, s14, (.LBB1_7577-.Lpost_getpc4565)&4294967295
	s_addc_u32 s15, s15, (.LBB1_7577-.Lpost_getpc4565)>>32
	s_setpc_b64 s[14:15]
.LBB1_3481:
	s_or_saveexec_b64 s[6:7], s[6:7]
	v_mov_b32_e32 v21, s10
	s_xor_b64 exec, exec, s[6:7]
	s_cbranch_execz .LBB1_3482
; %bb.17325:
	s_getpc_b64 s[14:15]
.Lpost_getpc4566:
	s_add_u32 s14, s14, (.LBB1_7580-.Lpost_getpc4566)&4294967295
	s_addc_u32 s15, s15, (.LBB1_7580-.Lpost_getpc4566)>>32
	s_setpc_b64 s[14:15]
.LBB1_3482:
	s_or_b64 exec, exec, s[6:7]
	s_and_saveexec_b64 s[6:7], s[4:5]
	s_cbranch_execz .LBB1_3484
.LBB1_3483:
	v_bfe_u32 v21, v16, 24, 3
	v_ffbh_u32_e32 v25, v21
	v_min_u32_e32 v25, 32, v25
	v_lshrrev_b32_e32 v23, 27, v16
	v_subrev_u32_e32 v26, 28, v25
	v_and_b32_e32 v22, 0x80000000, v16
	v_and_b32_e32 v23, 15, v23
	v_bfe_u32 v24, v16, 27, 4
	v_lshlrev_b32_sdwa v16, v26, v16 dst_sel:DWORD dst_unused:UNUSED_PAD src0_sel:DWORD src1_sel:BYTE_3
	v_sub_u32_e32 v25, 29, v25
	v_and_b32_e32 v16, 7, v16
	v_cmp_eq_u16_e32 vcc, 0, v23
	v_cndmask_b32_e32 v16, v21, v16, vcc
	v_cndmask_b32_e32 v21, v24, v25, vcc
	v_mov_b32_e32 v23, 0x3b800000
	v_lshlrev_b32_e32 v16, 20, v16
	v_lshl_add_u32 v21, v21, 23, v23
	v_or3_b32 v21, v22, v21, v16
.LBB1_3484:
	s_or_b64 exec, exec, s[6:7]
	s_movk_i32 s4, 0x7f
	v_cmp_gt_i16_sdwa s[6:7], v12, s4 src0_sel:BYTE_3 src1_sel:DWORD
	s_mov_b64 s[4:5], 0
                                        ; implicit-def: $sgpr10
	s_and_saveexec_b64 s[8:9], s[6:7]
	s_xor_b64 s[6:7], exec, s[8:9]
	s_cbranch_execz .LBB1_3485
; %bb.17327:
	s_getpc_b64 s[14:15]
.Lpost_getpc4567:
	s_add_u32 s14, s14, (.LBB1_7581-.Lpost_getpc4567)&4294967295
	s_addc_u32 s15, s15, (.LBB1_7581-.Lpost_getpc4567)>>32
	s_setpc_b64 s[14:15]
.LBB1_3485:
	s_or_saveexec_b64 s[6:7], s[6:7]
	v_mov_b32_e32 v16, s10
	s_xor_b64 exec, exec, s[6:7]
	s_cbranch_execz .LBB1_3486
; %bb.17329:
	s_getpc_b64 s[14:15]
.Lpost_getpc4568:
	s_add_u32 s14, s14, (.LBB1_7584-.Lpost_getpc4568)&4294967295
	s_addc_u32 s15, s15, (.LBB1_7584-.Lpost_getpc4568)>>32
	s_setpc_b64 s[14:15]
.LBB1_3486:
	s_or_b64 exec, exec, s[6:7]
	s_and_saveexec_b64 s[6:7], s[4:5]
	s_cbranch_execz .LBB1_3488
.LBB1_3487:
	v_bfe_u32 v16, v12, 24, 2
	v_ffbh_u32_e32 v25, v16
	v_min_u32_e32 v25, 32, v25
	v_lshrrev_b32_e32 v23, 26, v12
	v_subrev_u32_e32 v26, 29, v25
	v_and_b32_e32 v22, 0x80000000, v12
	v_and_b32_e32 v23, 31, v23
	v_bfe_u32 v24, v12, 26, 5
	v_lshlrev_b32_sdwa v12, v26, v12 dst_sel:DWORD dst_unused:UNUSED_PAD src0_sel:DWORD src1_sel:BYTE_3
	v_sub_u32_e32 v25, 30, v25
	v_and_b32_e32 v12, 3, v12
	v_cmp_eq_u16_e32 vcc, 0, v23
	v_cndmask_b32_e32 v12, v16, v12, vcc
	v_cndmask_b32_e32 v16, v24, v25, vcc
	v_mov_b32_e32 v23, 0x37800000
	v_lshlrev_b32_e32 v12, 21, v12
	v_lshl_add_u32 v16, v16, 23, v23
	v_or3_b32 v16, v22, v16, v12
.LBB1_3488:
	s_or_b64 exec, exec, s[6:7]
	s_nop 0
	v_mfma_f32_16x16x4f32 a[0:3], v21, v16, a[0:3]
	s_movk_i32 s4, 0x7f
	v_cmp_gt_i16_sdwa s[6:7], v17, s4 src0_sel:BYTE_0 src1_sel:DWORD
	s_mov_b64 s[4:5], 0
                                        ; implicit-def: $sgpr10
	s_and_saveexec_b64 s[8:9], s[6:7]
	s_xor_b64 s[6:7], exec, s[8:9]
	s_cbranch_execz .LBB1_3489
; %bb.17331:
	s_getpc_b64 s[14:15]
.Lpost_getpc4569:
	s_add_u32 s14, s14, (.LBB1_7585-.Lpost_getpc4569)&4294967295
	s_addc_u32 s15, s15, (.LBB1_7585-.Lpost_getpc4569)>>32
	s_setpc_b64 s[14:15]
.LBB1_3489:
	s_or_saveexec_b64 s[6:7], s[6:7]
	v_mov_b32_e32 v12, s10
	s_xor_b64 exec, exec, s[6:7]
	s_cbranch_execz .LBB1_3490
; %bb.17333:
	s_getpc_b64 s[14:15]
.Lpost_getpc4570:
	s_add_u32 s14, s14, (.LBB1_7588-.Lpost_getpc4570)&4294967295
	s_addc_u32 s15, s15, (.LBB1_7588-.Lpost_getpc4570)>>32
	s_setpc_b64 s[14:15]
.LBB1_3490:
	s_or_b64 exec, exec, s[6:7]
	s_and_saveexec_b64 s[6:7], s[4:5]
	s_cbranch_execz .LBB1_3492
.LBB1_3491:
	v_and_b32_e32 v12, 7, v17
	v_ffbh_u32_e32 v21, v12
	v_min_u32_e32 v21, 32, v21
	v_lshrrev_b16_e32 v16, 3, v17
	v_subrev_u32_e32 v22, 28, v21
	v_and_b32_e32 v16, 15, v16
	v_lshlrev_b32_e32 v22, v22, v17
	v_sub_u32_e32 v21, 29, v21
	v_and_b32_e32 v22, 7, v22
	v_cmp_eq_u16_e32 vcc, 0, v16
	v_cndmask_b32_e32 v12, v12, v22, vcc
	v_cndmask_b32_e32 v16, v16, v21, vcc
	v_lshlrev_b32_e32 v21, 24, v17
	v_mov_b32_e32 v22, 0x3b800000
	v_lshlrev_b32_e32 v12, 20, v12
	v_and_b32_e32 v21, 0x80000000, v21
	v_lshl_add_u32 v16, v16, 23, v22
	v_or3_b32 v12, v21, v16, v12
.LBB1_3492:
	s_or_b64 exec, exec, s[6:7]
	s_movk_i32 s4, 0x7f
	v_cmp_gt_i16_sdwa s[6:7], v13, s4 src0_sel:BYTE_0 src1_sel:DWORD
	s_mov_b64 s[4:5], 0
                                        ; implicit-def: $sgpr10
	s_and_saveexec_b64 s[8:9], s[6:7]
	s_xor_b64 s[6:7], exec, s[8:9]
	s_cbranch_execz .LBB1_3493
; %bb.17335:
	s_getpc_b64 s[14:15]
.Lpost_getpc4571:
	s_add_u32 s14, s14, (.LBB1_7589-.Lpost_getpc4571)&4294967295
	s_addc_u32 s15, s15, (.LBB1_7589-.Lpost_getpc4571)>>32
	s_setpc_b64 s[14:15]
.LBB1_3493:
	s_or_saveexec_b64 s[6:7], s[6:7]
	v_mov_b32_e32 v16, s10
	s_xor_b64 exec, exec, s[6:7]
	s_cbranch_execz .LBB1_3494
; %bb.17337:
	s_getpc_b64 s[14:15]
.Lpost_getpc4572:
	s_add_u32 s14, s14, (.LBB1_7592-.Lpost_getpc4572)&4294967295
	s_addc_u32 s15, s15, (.LBB1_7592-.Lpost_getpc4572)>>32
	s_setpc_b64 s[14:15]
.LBB1_3494:
	s_or_b64 exec, exec, s[6:7]
	s_and_saveexec_b64 s[6:7], s[4:5]
	s_cbranch_execz .LBB1_3496
.LBB1_3495:
	v_and_b32_e32 v16, 3, v13
	v_ffbh_u32_e32 v22, v16
	v_min_u32_e32 v22, 32, v22
	v_lshrrev_b16_e32 v21, 2, v13
	v_subrev_u32_e32 v23, 29, v22
	v_and_b32_e32 v21, 31, v21
	v_lshlrev_b32_e32 v23, v23, v13
	v_sub_u32_e32 v22, 30, v22
	v_and_b32_e32 v23, 3, v23
	v_cmp_eq_u16_e32 vcc, 0, v21
	v_cndmask_b32_e32 v16, v16, v23, vcc
	v_cndmask_b32_e32 v21, v21, v22, vcc
	v_lshlrev_b32_e32 v22, 24, v13
	v_mov_b32_e32 v23, 0x37800000
	v_lshlrev_b32_e32 v16, 21, v16
	v_and_b32_e32 v22, 0x80000000, v22
	v_lshl_add_u32 v21, v21, 23, v23
	v_or3_b32 v16, v22, v21, v16
.LBB1_3496:
	s_or_b64 exec, exec, s[6:7]
	s_nop 0
	v_mfma_f32_16x16x4f32 a[0:3], v12, v16, a[0:3]
	v_lshrrev_b32_e32 v16, 8, v17
	s_movk_i32 s4, 0x7f
	v_cmp_gt_i16_sdwa s[6:7], v16, s4 src0_sel:BYTE_0 src1_sel:DWORD
	s_mov_b64 s[4:5], 0
                                        ; implicit-def: $sgpr10
	s_and_saveexec_b64 s[8:9], s[6:7]
	s_xor_b64 s[6:7], exec, s[8:9]
	s_cbranch_execz .LBB1_3497
; %bb.17339:
	s_getpc_b64 s[14:15]
.Lpost_getpc4573:
	s_add_u32 s14, s14, (.LBB1_7593-.Lpost_getpc4573)&4294967295
	s_addc_u32 s15, s15, (.LBB1_7593-.Lpost_getpc4573)>>32
	s_setpc_b64 s[14:15]
.LBB1_3497:
	s_or_saveexec_b64 s[6:7], s[6:7]
	v_mov_b32_e32 v12, s10
	s_xor_b64 exec, exec, s[6:7]
	s_cbranch_execz .LBB1_3498
; %bb.17341:
	s_getpc_b64 s[14:15]
.Lpost_getpc4574:
	s_add_u32 s14, s14, (.LBB1_7596-.Lpost_getpc4574)&4294967295
	s_addc_u32 s15, s15, (.LBB1_7596-.Lpost_getpc4574)>>32
	s_setpc_b64 s[14:15]
.LBB1_3498:
	s_or_b64 exec, exec, s[6:7]
	s_and_saveexec_b64 s[6:7], s[4:5]
	s_cbranch_execz .LBB1_3500
.LBB1_3499:
	v_bfe_u32 v12, v17, 8, 3
	v_ffbh_u32_e32 v22, v12
	v_min_u32_e32 v22, 32, v22
	v_lshrrev_b16_e32 v21, 3, v16
	v_subrev_u32_e32 v23, 28, v22
	v_and_b32_e32 v21, 15, v21
	v_lshlrev_b32_e32 v16, v23, v16
	v_sub_u32_e32 v22, 29, v22
	v_and_b32_e32 v16, 7, v16
	v_cmp_eq_u16_e32 vcc, 0, v21
	v_cndmask_b32_e32 v12, v12, v16, vcc
	v_cndmask_b32_e32 v16, v21, v22, vcc
	v_lshlrev_b32_e32 v21, 16, v17
	v_mov_b32_e32 v22, 0x3b800000
	v_lshlrev_b32_e32 v12, 20, v12
	v_and_b32_e32 v21, 0x80000000, v21
	v_lshl_add_u32 v16, v16, 23, v22
	v_or3_b32 v12, v21, v16, v12
.LBB1_3500:
	s_or_b64 exec, exec, s[6:7]
	v_lshrrev_b32_e32 v16, 8, v13
	s_movk_i32 s4, 0x7f
	v_cmp_gt_i16_sdwa s[6:7], v16, s4 src0_sel:BYTE_0 src1_sel:DWORD
	s_mov_b64 s[4:5], 0
                                        ; implicit-def: $sgpr10
	s_and_saveexec_b64 s[8:9], s[6:7]
	s_xor_b64 s[6:7], exec, s[8:9]
	s_cbranch_execz .LBB1_3501
; %bb.17343:
	s_getpc_b64 s[14:15]
.Lpost_getpc4575:
	s_add_u32 s14, s14, (.LBB1_7597-.Lpost_getpc4575)&4294967295
	s_addc_u32 s15, s15, (.LBB1_7597-.Lpost_getpc4575)>>32
	s_setpc_b64 s[14:15]
.LBB1_3501:
	s_or_saveexec_b64 s[6:7], s[6:7]
	v_mov_b32_e32 v21, s10
	s_xor_b64 exec, exec, s[6:7]
	s_cbranch_execz .LBB1_3502
; %bb.17345:
	s_getpc_b64 s[14:15]
.Lpost_getpc4576:
	s_add_u32 s14, s14, (.LBB1_7600-.Lpost_getpc4576)&4294967295
	s_addc_u32 s15, s15, (.LBB1_7600-.Lpost_getpc4576)>>32
	s_setpc_b64 s[14:15]
.LBB1_3502:
	s_or_b64 exec, exec, s[6:7]
	s_and_saveexec_b64 s[6:7], s[4:5]
	s_cbranch_execz .LBB1_3504
.LBB1_3503:
	v_bfe_u32 v21, v13, 8, 2
	v_ffbh_u32_e32 v23, v21
	v_min_u32_e32 v23, 32, v23
	v_lshrrev_b16_e32 v22, 2, v16
	v_subrev_u32_e32 v24, 29, v23
	v_and_b32_e32 v22, 31, v22
	v_lshlrev_b32_e32 v16, v24, v16
	v_sub_u32_e32 v23, 30, v23
	v_and_b32_e32 v16, 3, v16
	v_cmp_eq_u16_e32 vcc, 0, v22
	v_cndmask_b32_e32 v16, v21, v16, vcc
	v_cndmask_b32_e32 v21, v22, v23, vcc
	v_lshlrev_b32_e32 v22, 16, v13
	v_mov_b32_e32 v23, 0x37800000
	v_lshlrev_b32_e32 v16, 21, v16
	v_and_b32_e32 v22, 0x80000000, v22
	v_lshl_add_u32 v21, v21, 23, v23
	v_or3_b32 v21, v22, v21, v16
.LBB1_3504:
	s_or_b64 exec, exec, s[6:7]
	s_nop 0
	v_mfma_f32_16x16x4f32 a[0:3], v12, v21, a[0:3]
	s_movk_i32 s4, 0xff
	v_and_b32_sdwa v16, v17, s4 dst_sel:DWORD dst_unused:UNUSED_PAD src0_sel:WORD_1 src1_sel:DWORD
	s_movk_i32 s4, 0x7f
	v_cmp_lt_i16_e32 vcc, s4, v16
	s_mov_b64 s[4:5], 0
                                        ; implicit-def: $sgpr10
	s_and_saveexec_b64 s[6:7], vcc
	s_xor_b64 s[6:7], exec, s[6:7]
	s_cbranch_execz .LBB1_3505
; %bb.17347:
	s_getpc_b64 s[14:15]
.Lpost_getpc4577:
	s_add_u32 s14, s14, (.LBB1_7601-.Lpost_getpc4577)&4294967295
	s_addc_u32 s15, s15, (.LBB1_7601-.Lpost_getpc4577)>>32
	s_setpc_b64 s[14:15]
.LBB1_3505:
	s_or_saveexec_b64 s[6:7], s[6:7]
	v_mov_b32_e32 v12, s10
	s_xor_b64 exec, exec, s[6:7]
	s_cbranch_execz .LBB1_3506
; %bb.17349:
	s_getpc_b64 s[14:15]
.Lpost_getpc4578:
	s_add_u32 s14, s14, (.LBB1_7604-.Lpost_getpc4578)&4294967295
	s_addc_u32 s15, s15, (.LBB1_7604-.Lpost_getpc4578)>>32
	s_setpc_b64 s[14:15]
.LBB1_3506:
	s_or_b64 exec, exec, s[6:7]
	s_and_saveexec_b64 s[6:7], s[4:5]
	s_cbranch_execz .LBB1_3508
.LBB1_3507:
	v_bfe_u32 v12, v17, 16, 3
	v_ffbh_u32_e32 v22, v12
	v_min_u32_e32 v22, 32, v22
	v_lshrrev_b32_e32 v16, 19, v17
	v_subrev_u32_e32 v23, 28, v22
	v_and_b32_e32 v16, 15, v16
	v_lshlrev_b32_sdwa v23, v23, v17 dst_sel:DWORD dst_unused:UNUSED_PAD src0_sel:DWORD src1_sel:WORD_1
	v_bfe_u32 v21, v17, 19, 4
	v_sub_u32_e32 v22, 29, v22
	v_and_b32_e32 v23, 7, v23
	v_cmp_eq_u16_e32 vcc, 0, v16
	v_cndmask_b32_e32 v12, v12, v23, vcc
	v_cndmask_b32_e32 v16, v21, v22, vcc
	v_lshlrev_b32_e32 v21, 8, v17
	v_mov_b32_e32 v22, 0x3b800000
	v_lshlrev_b32_e32 v12, 20, v12
	v_and_b32_e32 v21, 0x80000000, v21
	v_lshl_add_u32 v16, v16, 23, v22
	v_or3_b32 v12, v21, v16, v12
.LBB1_3508:
	s_or_b64 exec, exec, s[6:7]
	s_movk_i32 s4, 0xff
	v_and_b32_sdwa v16, v13, s4 dst_sel:DWORD dst_unused:UNUSED_PAD src0_sel:WORD_1 src1_sel:DWORD
	s_movk_i32 s4, 0x7f
	v_cmp_lt_i16_e32 vcc, s4, v16
	s_mov_b64 s[4:5], 0
                                        ; implicit-def: $sgpr10
	s_and_saveexec_b64 s[6:7], vcc
	s_xor_b64 s[6:7], exec, s[6:7]
	s_cbranch_execz .LBB1_3509
; %bb.17351:
	s_getpc_b64 s[14:15]
.Lpost_getpc4579:
	s_add_u32 s14, s14, (.LBB1_7605-.Lpost_getpc4579)&4294967295
	s_addc_u32 s15, s15, (.LBB1_7605-.Lpost_getpc4579)>>32
	s_setpc_b64 s[14:15]
.LBB1_3509:
	s_or_saveexec_b64 s[6:7], s[6:7]
	v_mov_b32_e32 v21, s10
	s_xor_b64 exec, exec, s[6:7]
	s_cbranch_execz .LBB1_3510
; %bb.17353:
	s_getpc_b64 s[14:15]
.Lpost_getpc4580:
	s_add_u32 s14, s14, (.LBB1_7608-.Lpost_getpc4580)&4294967295
	s_addc_u32 s15, s15, (.LBB1_7608-.Lpost_getpc4580)>>32
	s_setpc_b64 s[14:15]
.LBB1_3510:
	s_or_b64 exec, exec, s[6:7]
	s_and_saveexec_b64 s[6:7], s[4:5]
	s_cbranch_execz .LBB1_3512
.LBB1_3511:
	v_bfe_u32 v16, v13, 16, 2
	v_ffbh_u32_e32 v23, v16
	v_min_u32_e32 v23, 32, v23
	v_lshrrev_b32_e32 v21, 18, v13
	v_subrev_u32_e32 v24, 29, v23
	v_and_b32_e32 v21, 31, v21
	v_lshlrev_b32_sdwa v24, v24, v13 dst_sel:DWORD dst_unused:UNUSED_PAD src0_sel:DWORD src1_sel:WORD_1
	v_bfe_u32 v22, v13, 18, 5
	v_sub_u32_e32 v23, 30, v23
	v_and_b32_e32 v24, 3, v24
	v_cmp_eq_u16_e32 vcc, 0, v21
	v_cndmask_b32_e32 v16, v16, v24, vcc
	v_cndmask_b32_e32 v21, v22, v23, vcc
	v_lshlrev_b32_e32 v22, 8, v13
	v_mov_b32_e32 v23, 0x37800000
	v_lshlrev_b32_e32 v16, 21, v16
	v_and_b32_e32 v22, 0x80000000, v22
	v_lshl_add_u32 v21, v21, 23, v23
	v_or3_b32 v21, v22, v21, v16
.LBB1_3512:
	s_or_b64 exec, exec, s[6:7]
	s_nop 0
	v_mfma_f32_16x16x4f32 a[0:3], v12, v21, a[0:3]
	s_movk_i32 s4, 0x7f
	v_cmp_gt_i16_sdwa s[6:7], v17, s4 src0_sel:BYTE_3 src1_sel:DWORD
	s_mov_b64 s[4:5], 0
                                        ; implicit-def: $sgpr10
	s_and_saveexec_b64 s[8:9], s[6:7]
	s_xor_b64 s[6:7], exec, s[8:9]
	s_cbranch_execz .LBB1_3513
; %bb.17355:
	s_getpc_b64 s[14:15]
.Lpost_getpc4581:
	s_add_u32 s14, s14, (.LBB1_7609-.Lpost_getpc4581)&4294967295
	s_addc_u32 s15, s15, (.LBB1_7609-.Lpost_getpc4581)>>32
	s_setpc_b64 s[14:15]
.LBB1_3513:
	s_or_saveexec_b64 s[6:7], s[6:7]
	v_mov_b32_e32 v12, s10
	s_xor_b64 exec, exec, s[6:7]
	s_cbranch_execz .LBB1_3514
; %bb.17357:
	s_getpc_b64 s[14:15]
.Lpost_getpc4582:
	s_add_u32 s14, s14, (.LBB1_7612-.Lpost_getpc4582)&4294967295
	s_addc_u32 s15, s15, (.LBB1_7612-.Lpost_getpc4582)>>32
	s_setpc_b64 s[14:15]
.LBB1_3514:
	s_or_b64 exec, exec, s[6:7]
	s_and_saveexec_b64 s[6:7], s[4:5]
	s_cbranch_execz .LBB1_3516
.LBB1_3515:
	v_bfe_u32 v12, v17, 24, 3
	v_ffbh_u32_e32 v23, v12
	v_min_u32_e32 v23, 32, v23
	v_lshrrev_b32_e32 v21, 27, v17
	v_subrev_u32_e32 v24, 28, v23
	v_and_b32_e32 v16, 0x80000000, v17
	v_and_b32_e32 v21, 15, v21
	v_bfe_u32 v22, v17, 27, 4
	v_lshlrev_b32_sdwa v17, v24, v17 dst_sel:DWORD dst_unused:UNUSED_PAD src0_sel:DWORD src1_sel:BYTE_3
	v_sub_u32_e32 v23, 29, v23
	v_and_b32_e32 v17, 7, v17
	v_cmp_eq_u16_e32 vcc, 0, v21
	v_cndmask_b32_e32 v12, v12, v17, vcc
	v_cndmask_b32_e32 v17, v22, v23, vcc
	v_mov_b32_e32 v21, 0x3b800000
	v_lshlrev_b32_e32 v12, 20, v12
	v_lshl_add_u32 v17, v17, 23, v21
	v_or3_b32 v12, v16, v17, v12
.LBB1_3516:
	s_or_b64 exec, exec, s[6:7]
	s_movk_i32 s4, 0x7f
	v_cmp_gt_i16_sdwa s[6:7], v13, s4 src0_sel:BYTE_3 src1_sel:DWORD
	s_mov_b64 s[4:5], 0
                                        ; implicit-def: $sgpr10
	s_and_saveexec_b64 s[8:9], s[6:7]
	s_xor_b64 s[6:7], exec, s[8:9]
	s_cbranch_execz .LBB1_3517
; %bb.17359:
	s_getpc_b64 s[14:15]
.Lpost_getpc4583:
	s_add_u32 s14, s14, (.LBB1_7613-.Lpost_getpc4583)&4294967295
	s_addc_u32 s15, s15, (.LBB1_7613-.Lpost_getpc4583)>>32
	s_setpc_b64 s[14:15]
.LBB1_3517:
	s_or_saveexec_b64 s[6:7], s[6:7]
	v_mov_b32_e32 v16, s10
	s_xor_b64 exec, exec, s[6:7]
	s_cbranch_execz .LBB1_3518
; %bb.17361:
	s_getpc_b64 s[14:15]
.Lpost_getpc4584:
	s_add_u32 s14, s14, (.LBB1_7616-.Lpost_getpc4584)&4294967295
	s_addc_u32 s15, s15, (.LBB1_7616-.Lpost_getpc4584)>>32
	s_setpc_b64 s[14:15]
.LBB1_3518:
	s_or_b64 exec, exec, s[6:7]
	s_and_saveexec_b64 s[6:7], s[4:5]
	s_cbranch_execz .LBB1_3520
.LBB1_3519:
	v_bfe_u32 v16, v13, 24, 2
	v_ffbh_u32_e32 v23, v16
	v_min_u32_e32 v23, 32, v23
	v_lshrrev_b32_e32 v21, 26, v13
	v_subrev_u32_e32 v24, 29, v23
	v_and_b32_e32 v17, 0x80000000, v13
	v_and_b32_e32 v21, 31, v21
	v_bfe_u32 v22, v13, 26, 5
	v_lshlrev_b32_sdwa v13, v24, v13 dst_sel:DWORD dst_unused:UNUSED_PAD src0_sel:DWORD src1_sel:BYTE_3
	v_sub_u32_e32 v23, 30, v23
	v_and_b32_e32 v13, 3, v13
	v_cmp_eq_u16_e32 vcc, 0, v21
	v_cndmask_b32_e32 v13, v16, v13, vcc
	v_cndmask_b32_e32 v16, v22, v23, vcc
	v_mov_b32_e32 v21, 0x37800000
	v_lshlrev_b32_e32 v13, 21, v13
	v_lshl_add_u32 v16, v16, 23, v21
	v_or3_b32 v16, v17, v16, v13
.LBB1_3520:
	s_or_b64 exec, exec, s[6:7]
	s_nop 0
	v_mfma_f32_16x16x4f32 a[0:3], v12, v16, a[0:3]
	s_movk_i32 s4, 0x7f
	v_cmp_gt_i16_sdwa s[6:7], v18, s4 src0_sel:BYTE_0 src1_sel:DWORD
	s_mov_b64 s[4:5], 0
                                        ; implicit-def: $sgpr10
	s_and_saveexec_b64 s[8:9], s[6:7]
	s_xor_b64 s[6:7], exec, s[8:9]
	s_cbranch_execz .LBB1_3521
; %bb.17363:
	s_getpc_b64 s[14:15]
.Lpost_getpc4585:
	s_add_u32 s14, s14, (.LBB1_7617-.Lpost_getpc4585)&4294967295
	s_addc_u32 s15, s15, (.LBB1_7617-.Lpost_getpc4585)>>32
	s_setpc_b64 s[14:15]
.LBB1_3521:
	s_or_saveexec_b64 s[6:7], s[6:7]
	v_mov_b32_e32 v13, s10
	s_xor_b64 exec, exec, s[6:7]
	s_cbranch_execz .LBB1_3522
; %bb.17365:
	s_getpc_b64 s[14:15]
.Lpost_getpc4586:
	s_add_u32 s14, s14, (.LBB1_7620-.Lpost_getpc4586)&4294967295
	s_addc_u32 s15, s15, (.LBB1_7620-.Lpost_getpc4586)>>32
	s_setpc_b64 s[14:15]
.LBB1_3522:
	s_or_b64 exec, exec, s[6:7]
	s_and_saveexec_b64 s[6:7], s[4:5]
	s_cbranch_execz .LBB1_3524
.LBB1_3523:
	v_and_b32_e32 v12, 7, v18
	v_ffbh_u32_e32 v16, v12
	v_min_u32_e32 v16, 32, v16
	v_lshrrev_b16_e32 v13, 3, v18
	v_subrev_u32_e32 v17, 28, v16
	v_and_b32_e32 v13, 15, v13
	v_lshlrev_b32_e32 v17, v17, v18
	v_sub_u32_e32 v16, 29, v16
	v_and_b32_e32 v17, 7, v17
	v_cmp_eq_u16_e32 vcc, 0, v13
	v_cndmask_b32_e32 v12, v12, v17, vcc
	v_cndmask_b32_e32 v13, v13, v16, vcc
	v_lshlrev_b32_e32 v16, 24, v18
	v_mov_b32_e32 v17, 0x3b800000
	v_lshlrev_b32_e32 v12, 20, v12
	v_and_b32_e32 v16, 0x80000000, v16
	v_lshl_add_u32 v13, v13, 23, v17
	v_or3_b32 v13, v16, v13, v12
.LBB1_3524:
	s_or_b64 exec, exec, s[6:7]
	s_movk_i32 s4, 0xff
	v_mov_b32_e32 v12, 8
	v_or_b32_sdwa v16, v14, v20 dst_sel:DWORD dst_unused:UNUSED_PAD src0_sel:BYTE_0 src1_sel:DWORD
	v_lshlrev_b16_sdwa v12, v12, v14 dst_sel:DWORD dst_unused:UNUSED_PAD src0_sel:DWORD src1_sel:BYTE_3
	v_and_b32_sdwa v14, v14, s4 dst_sel:DWORD dst_unused:UNUSED_PAD src0_sel:WORD_1 src1_sel:DWORD
	s_movk_i32 s4, 0x7f
	v_or_b32_sdwa v12, v14, v12 dst_sel:WORD_1 dst_unused:UNUSED_PAD src0_sel:DWORD src1_sel:DWORD
	v_cmp_gt_i16_sdwa s[6:7], v16, s4 src0_sel:BYTE_0 src1_sel:DWORD
	s_mov_b64 s[4:5], 0
                                        ; implicit-def: $sgpr10
	s_and_saveexec_b64 s[8:9], s[6:7]
	s_xor_b64 s[6:7], exec, s[8:9]
	s_cbranch_execz .LBB1_3525
; %bb.17367:
	s_getpc_b64 s[14:15]
.Lpost_getpc4587:
	s_add_u32 s14, s14, (.LBB1_7621-.Lpost_getpc4587)&4294967295
	s_addc_u32 s15, s15, (.LBB1_7621-.Lpost_getpc4587)>>32
	s_setpc_b64 s[14:15]
.LBB1_3525:
	s_or_saveexec_b64 s[6:7], s[6:7]
	v_mov_b32_e32 v14, s10
	s_xor_b64 exec, exec, s[6:7]
	s_cbranch_execz .LBB1_3526
; %bb.17369:
	s_getpc_b64 s[14:15]
.Lpost_getpc4588:
	s_add_u32 s14, s14, (.LBB1_7624-.Lpost_getpc4588)&4294967295
	s_addc_u32 s15, s15, (.LBB1_7624-.Lpost_getpc4588)>>32
	s_setpc_b64 s[14:15]
.LBB1_3526:
	s_or_b64 exec, exec, s[6:7]
	v_or_b32_sdwa v12, v16, v12 dst_sel:DWORD dst_unused:UNUSED_PAD src0_sel:WORD_0 src1_sel:DWORD
	s_and_saveexec_b64 s[6:7], s[4:5]
	s_cbranch_execz .LBB1_3528
.LBB1_3527:
	v_and_b32_e32 v14, 3, v12
	v_ffbh_u32_e32 v17, v14
	v_min_u32_e32 v17, 32, v17
	v_lshrrev_b16_e32 v16, 2, v16
	v_subrev_u32_e32 v20, 29, v17
	v_and_b32_e32 v16, 31, v16
	v_lshlrev_b32_e32 v20, v20, v12
	v_sub_u32_e32 v17, 30, v17
	v_and_b32_e32 v20, 3, v20
	v_cmp_eq_u16_e32 vcc, 0, v16
	v_cndmask_b32_e32 v14, v14, v20, vcc
	v_cndmask_b32_e32 v16, v16, v17, vcc
	v_lshlrev_b32_e32 v17, 24, v12
	v_mov_b32_e32 v20, 0x37800000
	v_lshlrev_b32_e32 v14, 21, v14
	v_and_b32_e32 v17, 0x80000000, v17
	v_lshl_add_u32 v16, v16, 23, v20
	v_or3_b32 v14, v17, v16, v14
.LBB1_3528:
	s_or_b64 exec, exec, s[6:7]
	s_nop 0
	v_mfma_f32_16x16x4f32 a[0:3], v13, v14, a[0:3]
	v_lshrrev_b32_e32 v14, 8, v18
	s_movk_i32 s4, 0x7f
	v_cmp_gt_i16_sdwa s[6:7], v14, s4 src0_sel:BYTE_0 src1_sel:DWORD
	s_mov_b64 s[4:5], 0
                                        ; implicit-def: $sgpr10
	s_and_saveexec_b64 s[8:9], s[6:7]
	s_xor_b64 s[6:7], exec, s[8:9]
	s_cbranch_execz .LBB1_3529
; %bb.17371:
	s_getpc_b64 s[14:15]
.Lpost_getpc4589:
	s_add_u32 s14, s14, (.LBB1_7625-.Lpost_getpc4589)&4294967295
	s_addc_u32 s15, s15, (.LBB1_7625-.Lpost_getpc4589)>>32
	s_setpc_b64 s[14:15]
.LBB1_3529:
	s_or_saveexec_b64 s[6:7], s[6:7]
	v_mov_b32_e32 v13, s10
	s_xor_b64 exec, exec, s[6:7]
	s_cbranch_execz .LBB1_3530
; %bb.17373:
	s_getpc_b64 s[14:15]
.Lpost_getpc4590:
	s_add_u32 s14, s14, (.LBB1_7628-.Lpost_getpc4590)&4294967295
	s_addc_u32 s15, s15, (.LBB1_7628-.Lpost_getpc4590)>>32
	s_setpc_b64 s[14:15]
.LBB1_3530:
	s_or_b64 exec, exec, s[6:7]
	s_and_saveexec_b64 s[6:7], s[4:5]
	s_cbranch_execz .LBB1_3532
.LBB1_3531:
	v_bfe_u32 v13, v18, 8, 3
	v_ffbh_u32_e32 v17, v13
	v_min_u32_e32 v17, 32, v17
	v_lshrrev_b16_e32 v16, 3, v14
	v_subrev_u32_e32 v20, 28, v17
	v_and_b32_e32 v16, 15, v16
	v_lshlrev_b32_e32 v14, v20, v14
	v_sub_u32_e32 v17, 29, v17
	v_and_b32_e32 v14, 7, v14
	v_cmp_eq_u16_e32 vcc, 0, v16
	v_cndmask_b32_e32 v13, v13, v14, vcc
	v_cndmask_b32_e32 v14, v16, v17, vcc
	v_lshlrev_b32_e32 v16, 16, v18
	v_mov_b32_e32 v17, 0x3b800000
	v_lshlrev_b32_e32 v13, 20, v13
	v_and_b32_e32 v16, 0x80000000, v16
	v_lshl_add_u32 v14, v14, 23, v17
	v_or3_b32 v13, v16, v14, v13
.LBB1_3532:
	s_or_b64 exec, exec, s[6:7]
	v_lshrrev_b32_e32 v14, 8, v12
	s_movk_i32 s4, 0x7f
	v_cmp_gt_i16_sdwa s[6:7], v14, s4 src0_sel:BYTE_0 src1_sel:DWORD
	s_mov_b64 s[4:5], 0
                                        ; implicit-def: $sgpr10
	s_and_saveexec_b64 s[8:9], s[6:7]
	s_xor_b64 s[6:7], exec, s[8:9]
	s_cbranch_execz .LBB1_3533
; %bb.17375:
	s_getpc_b64 s[14:15]
.Lpost_getpc4591:
	s_add_u32 s14, s14, (.LBB1_7629-.Lpost_getpc4591)&4294967295
	s_addc_u32 s15, s15, (.LBB1_7629-.Lpost_getpc4591)>>32
	s_setpc_b64 s[14:15]
.LBB1_3533:
	s_or_saveexec_b64 s[6:7], s[6:7]
	v_mov_b32_e32 v16, s10
	s_xor_b64 exec, exec, s[6:7]
	s_cbranch_execz .LBB1_3534
; %bb.17377:
	s_getpc_b64 s[14:15]
.Lpost_getpc4592:
	s_add_u32 s14, s14, (.LBB1_7632-.Lpost_getpc4592)&4294967295
	s_addc_u32 s15, s15, (.LBB1_7632-.Lpost_getpc4592)>>32
	s_setpc_b64 s[14:15]
.LBB1_3534:
	s_or_b64 exec, exec, s[6:7]
	s_and_saveexec_b64 s[6:7], s[4:5]
	s_cbranch_execz .LBB1_3536
.LBB1_3535:
	v_bfe_u32 v16, v12, 8, 2
	v_ffbh_u32_e32 v20, v16
	v_min_u32_e32 v20, 32, v20
	v_lshrrev_b16_e32 v17, 2, v14
	v_subrev_u32_e32 v21, 29, v20
	v_and_b32_e32 v17, 31, v17
	v_lshlrev_b32_e32 v14, v21, v14
	v_sub_u32_e32 v20, 30, v20
	v_and_b32_e32 v14, 3, v14
	v_cmp_eq_u16_e32 vcc, 0, v17
	v_cndmask_b32_e32 v14, v16, v14, vcc
	v_cndmask_b32_e32 v16, v17, v20, vcc
	v_lshlrev_b32_e32 v17, 16, v12
	v_mov_b32_e32 v20, 0x37800000
	v_lshlrev_b32_e32 v14, 21, v14
	v_and_b32_e32 v17, 0x80000000, v17
	v_lshl_add_u32 v16, v16, 23, v20
	v_or3_b32 v16, v17, v16, v14
.LBB1_3536:
	s_or_b64 exec, exec, s[6:7]
	s_nop 0
	v_mfma_f32_16x16x4f32 a[0:3], v13, v16, a[0:3]
	s_movk_i32 s4, 0xff
	v_and_b32_sdwa v14, v18, s4 dst_sel:DWORD dst_unused:UNUSED_PAD src0_sel:WORD_1 src1_sel:DWORD
	s_movk_i32 s4, 0x7f
	v_cmp_lt_i16_e32 vcc, s4, v14
	s_mov_b64 s[4:5], 0
                                        ; implicit-def: $sgpr10
	s_and_saveexec_b64 s[6:7], vcc
	s_xor_b64 s[6:7], exec, s[6:7]
	s_cbranch_execz .LBB1_3537
; %bb.17379:
	s_getpc_b64 s[14:15]
.Lpost_getpc4593:
	s_add_u32 s14, s14, (.LBB1_7633-.Lpost_getpc4593)&4294967295
	s_addc_u32 s15, s15, (.LBB1_7633-.Lpost_getpc4593)>>32
	s_setpc_b64 s[14:15]
.LBB1_3537:
	s_or_saveexec_b64 s[6:7], s[6:7]
	v_mov_b32_e32 v13, s10
	s_xor_b64 exec, exec, s[6:7]
	s_cbranch_execz .LBB1_3538
; %bb.17381:
	s_getpc_b64 s[14:15]
.Lpost_getpc4594:
	s_add_u32 s14, s14, (.LBB1_7636-.Lpost_getpc4594)&4294967295
	s_addc_u32 s15, s15, (.LBB1_7636-.Lpost_getpc4594)>>32
	s_setpc_b64 s[14:15]
.LBB1_3538:
	s_or_b64 exec, exec, s[6:7]
	s_and_saveexec_b64 s[6:7], s[4:5]
	s_cbranch_execz .LBB1_3540
.LBB1_3539:
	v_bfe_u32 v13, v18, 16, 3
	v_ffbh_u32_e32 v17, v13
	v_min_u32_e32 v17, 32, v17
	v_lshrrev_b32_e32 v14, 19, v18
	v_subrev_u32_e32 v20, 28, v17
	v_and_b32_e32 v14, 15, v14
	v_lshlrev_b32_sdwa v20, v20, v18 dst_sel:DWORD dst_unused:UNUSED_PAD src0_sel:DWORD src1_sel:WORD_1
	v_bfe_u32 v16, v18, 19, 4
	v_sub_u32_e32 v17, 29, v17
	v_and_b32_e32 v20, 7, v20
	v_cmp_eq_u16_e32 vcc, 0, v14
	v_cndmask_b32_e32 v13, v13, v20, vcc
	v_cndmask_b32_e32 v14, v16, v17, vcc
	v_lshlrev_b32_e32 v16, 8, v18
	v_mov_b32_e32 v17, 0x3b800000
	v_lshlrev_b32_e32 v13, 20, v13
	v_and_b32_e32 v16, 0x80000000, v16
	v_lshl_add_u32 v14, v14, 23, v17
	v_or3_b32 v13, v16, v14, v13
.LBB1_3540:
	s_or_b64 exec, exec, s[6:7]
	s_movk_i32 s4, 0xff
	v_and_b32_sdwa v14, v12, s4 dst_sel:DWORD dst_unused:UNUSED_PAD src0_sel:WORD_1 src1_sel:DWORD
	s_movk_i32 s4, 0x7f
	v_cmp_lt_i16_e32 vcc, s4, v14
	s_mov_b64 s[4:5], 0
                                        ; implicit-def: $sgpr10
	s_and_saveexec_b64 s[6:7], vcc
	s_xor_b64 s[6:7], exec, s[6:7]
	s_cbranch_execz .LBB1_3541
; %bb.17383:
	s_getpc_b64 s[14:15]
.Lpost_getpc4595:
	s_add_u32 s14, s14, (.LBB1_7637-.Lpost_getpc4595)&4294967295
	s_addc_u32 s15, s15, (.LBB1_7637-.Lpost_getpc4595)>>32
	s_setpc_b64 s[14:15]
.LBB1_3541:
	s_or_saveexec_b64 s[6:7], s[6:7]
	v_mov_b32_e32 v16, s10
	s_xor_b64 exec, exec, s[6:7]
	s_cbranch_execz .LBB1_3542
; %bb.17385:
	s_getpc_b64 s[14:15]
.Lpost_getpc4596:
	s_add_u32 s14, s14, (.LBB1_7640-.Lpost_getpc4596)&4294967295
	s_addc_u32 s15, s15, (.LBB1_7640-.Lpost_getpc4596)>>32
	s_setpc_b64 s[14:15]
.LBB1_3542:
	s_or_b64 exec, exec, s[6:7]
	s_and_saveexec_b64 s[6:7], s[4:5]
	s_cbranch_execz .LBB1_3544
.LBB1_3543:
	v_bfe_u32 v14, v12, 16, 2
	v_ffbh_u32_e32 v20, v14
	v_min_u32_e32 v20, 32, v20
	v_lshrrev_b32_e32 v16, 18, v12
	v_subrev_u32_e32 v21, 29, v20
	v_and_b32_e32 v16, 31, v16
	v_lshlrev_b32_sdwa v21, v21, v12 dst_sel:DWORD dst_unused:UNUSED_PAD src0_sel:DWORD src1_sel:WORD_1
	v_bfe_u32 v17, v12, 18, 5
	v_sub_u32_e32 v20, 30, v20
	v_and_b32_e32 v21, 3, v21
	v_cmp_eq_u16_e32 vcc, 0, v16
	v_cndmask_b32_e32 v14, v14, v21, vcc
	v_cndmask_b32_e32 v16, v17, v20, vcc
	v_lshlrev_b32_e32 v17, 8, v12
	v_mov_b32_e32 v20, 0x37800000
	v_lshlrev_b32_e32 v14, 21, v14
	v_and_b32_e32 v17, 0x80000000, v17
	v_lshl_add_u32 v16, v16, 23, v20
	v_or3_b32 v16, v17, v16, v14
.LBB1_3544:
	s_or_b64 exec, exec, s[6:7]
	s_nop 0
	v_mfma_f32_16x16x4f32 a[0:3], v13, v16, a[0:3]
	s_movk_i32 s4, 0x7f
	v_cmp_gt_i16_sdwa s[6:7], v18, s4 src0_sel:BYTE_3 src1_sel:DWORD
	s_mov_b64 s[4:5], 0
                                        ; implicit-def: $sgpr10
	s_and_saveexec_b64 s[8:9], s[6:7]
	s_xor_b64 s[6:7], exec, s[8:9]
	s_cbranch_execz .LBB1_3545
; %bb.17387:
	s_getpc_b64 s[14:15]
.Lpost_getpc4597:
	s_add_u32 s14, s14, (.LBB1_7641-.Lpost_getpc4597)&4294967295
	s_addc_u32 s15, s15, (.LBB1_7641-.Lpost_getpc4597)>>32
	s_setpc_b64 s[14:15]
.LBB1_3545:
	s_or_saveexec_b64 s[6:7], s[6:7]
	v_mov_b32_e32 v13, s10
	s_xor_b64 exec, exec, s[6:7]
	s_cbranch_execz .LBB1_3546
; %bb.17389:
	s_getpc_b64 s[14:15]
.Lpost_getpc4598:
	s_add_u32 s14, s14, (.LBB1_7644-.Lpost_getpc4598)&4294967295
	s_addc_u32 s15, s15, (.LBB1_7644-.Lpost_getpc4598)>>32
	s_setpc_b64 s[14:15]
.LBB1_3546:
	s_or_b64 exec, exec, s[6:7]
	s_and_saveexec_b64 s[6:7], s[4:5]
	s_cbranch_execz .LBB1_3548
.LBB1_3547:
	v_bfe_u32 v13, v18, 24, 3
	v_ffbh_u32_e32 v20, v13
	v_min_u32_e32 v20, 32, v20
	v_lshrrev_b32_e32 v16, 27, v18
	v_subrev_u32_e32 v21, 28, v20
	v_and_b32_e32 v14, 0x80000000, v18
	v_and_b32_e32 v16, 15, v16
	v_bfe_u32 v17, v18, 27, 4
	v_lshlrev_b32_sdwa v18, v21, v18 dst_sel:DWORD dst_unused:UNUSED_PAD src0_sel:DWORD src1_sel:BYTE_3
	v_sub_u32_e32 v20, 29, v20
	v_and_b32_e32 v18, 7, v18
	v_cmp_eq_u16_e32 vcc, 0, v16
	v_cndmask_b32_e32 v13, v13, v18, vcc
	v_cndmask_b32_e32 v16, v17, v20, vcc
	v_mov_b32_e32 v17, 0x3b800000
	v_lshlrev_b32_e32 v13, 20, v13
	v_lshl_add_u32 v16, v16, 23, v17
	v_or3_b32 v13, v14, v16, v13
.LBB1_3548:
	s_or_b64 exec, exec, s[6:7]
	s_movk_i32 s4, 0x7f
	v_cmp_gt_i16_sdwa s[6:7], v12, s4 src0_sel:BYTE_3 src1_sel:DWORD
	s_mov_b64 s[4:5], 0
                                        ; implicit-def: $sgpr10
	s_and_saveexec_b64 s[8:9], s[6:7]
	s_xor_b64 s[6:7], exec, s[8:9]
	s_cbranch_execz .LBB1_3549
; %bb.17391:
	s_getpc_b64 s[14:15]
.Lpost_getpc4599:
	s_add_u32 s14, s14, (.LBB1_7645-.Lpost_getpc4599)&4294967295
	s_addc_u32 s15, s15, (.LBB1_7645-.Lpost_getpc4599)>>32
	s_setpc_b64 s[14:15]
.LBB1_3549:
	s_or_saveexec_b64 s[6:7], s[6:7]
	v_mov_b32_e32 v14, s10
	s_xor_b64 exec, exec, s[6:7]
	s_cbranch_execz .LBB1_3550
; %bb.17393:
	s_getpc_b64 s[14:15]
.Lpost_getpc4600:
	s_add_u32 s14, s14, (.LBB1_7648-.Lpost_getpc4600)&4294967295
	s_addc_u32 s15, s15, (.LBB1_7648-.Lpost_getpc4600)>>32
	s_setpc_b64 s[14:15]
.LBB1_3550:
	s_or_b64 exec, exec, s[6:7]
	s_and_saveexec_b64 s[6:7], s[4:5]
	s_cbranch_execz .LBB1_3552
.LBB1_3551:
	v_bfe_u32 v14, v12, 24, 2
	v_ffbh_u32_e32 v20, v14
	v_min_u32_e32 v20, 32, v20
	v_lshrrev_b32_e32 v17, 26, v12
	v_subrev_u32_e32 v21, 29, v20
	v_and_b32_e32 v16, 0x80000000, v12
	v_and_b32_e32 v17, 31, v17
	v_bfe_u32 v18, v12, 26, 5
	v_lshlrev_b32_sdwa v12, v21, v12 dst_sel:DWORD dst_unused:UNUSED_PAD src0_sel:DWORD src1_sel:BYTE_3
	v_sub_u32_e32 v20, 30, v20
	v_and_b32_e32 v12, 3, v12
	v_cmp_eq_u16_e32 vcc, 0, v17
	v_cndmask_b32_e32 v12, v14, v12, vcc
	v_cndmask_b32_e32 v14, v18, v20, vcc
	v_mov_b32_e32 v17, 0x37800000
	v_lshlrev_b32_e32 v12, 21, v12
	v_lshl_add_u32 v14, v14, 23, v17
	v_or3_b32 v14, v16, v14, v12
.LBB1_3552:
	s_or_b64 exec, exec, s[6:7]
	s_nop 0
	v_mfma_f32_16x16x4f32 a[0:3], v13, v14, a[0:3]
	s_movk_i32 s4, 0x7f
	v_cmp_gt_i16_sdwa s[6:7], v19, s4 src0_sel:BYTE_0 src1_sel:DWORD
	s_mov_b64 s[4:5], 0
                                        ; implicit-def: $sgpr10
	s_and_saveexec_b64 s[8:9], s[6:7]
	s_xor_b64 s[6:7], exec, s[8:9]
	s_cbranch_execz .LBB1_3553
; %bb.17395:
	s_getpc_b64 s[14:15]
.Lpost_getpc4601:
	s_add_u32 s14, s14, (.LBB1_7649-.Lpost_getpc4601)&4294967295
	s_addc_u32 s15, s15, (.LBB1_7649-.Lpost_getpc4601)>>32
	s_setpc_b64 s[14:15]
.LBB1_3553:
	s_or_saveexec_b64 s[6:7], s[6:7]
	v_mov_b32_e32 v12, s10
	s_xor_b64 exec, exec, s[6:7]
	s_cbranch_execz .LBB1_3554
; %bb.17397:
	s_getpc_b64 s[14:15]
.Lpost_getpc4602:
	s_add_u32 s14, s14, (.LBB1_7652-.Lpost_getpc4602)&4294967295
	s_addc_u32 s15, s15, (.LBB1_7652-.Lpost_getpc4602)>>32
	s_setpc_b64 s[14:15]
.LBB1_3554:
	s_or_b64 exec, exec, s[6:7]
	s_and_saveexec_b64 s[6:7], s[4:5]
	s_cbranch_execz .LBB1_3556
.LBB1_3555:
	v_mov_b32_e32 v12, 8
	v_and_b32_e32 v13, 7, v19
	v_lshrrev_b32_sdwa v12, v12, v19 dst_sel:BYTE_1 dst_unused:UNUSED_PAD src0_sel:DWORD src1_sel:DWORD
	v_ffbh_u32_e32 v14, v13
	v_or_b32_sdwa v12, v19, v12 dst_sel:DWORD dst_unused:UNUSED_PAD src0_sel:BYTE_0 src1_sel:DWORD
	v_min_u32_e32 v14, 32, v14
	v_lshrrev_b16_e32 v12, 3, v12
	v_subrev_u32_e32 v16, 28, v14
	v_and_b32_e32 v12, 15, v12
	v_lshlrev_b32_e32 v16, v16, v19
	v_sub_u32_e32 v14, 29, v14
	v_and_b32_e32 v16, 7, v16
	v_cmp_eq_u16_e32 vcc, 0, v12
	v_cndmask_b32_e32 v13, v13, v16, vcc
	v_cndmask_b32_e32 v12, v12, v14, vcc
	v_lshlrev_b32_e32 v14, 24, v19
	v_mov_b32_e32 v16, 0x3b800000
	v_lshlrev_b32_e32 v13, 20, v13
	v_and_b32_e32 v14, 0x80000000, v14
	v_lshl_add_u32 v12, v12, 23, v16
	v_or3_b32 v12, v14, v12, v13
.LBB1_3556:
	s_or_b64 exec, exec, s[6:7]
	s_movk_i32 s4, 0x7f
	v_cmp_gt_i16_sdwa s[6:7], v15, s4 src0_sel:BYTE_0 src1_sel:DWORD
	s_mov_b64 s[4:5], 0
                                        ; implicit-def: $sgpr10
	s_and_saveexec_b64 s[8:9], s[6:7]
	s_xor_b64 s[6:7], exec, s[8:9]
	s_cbranch_execz .LBB1_3557
; %bb.17399:
	s_getpc_b64 s[14:15]
.Lpost_getpc4603:
	s_add_u32 s14, s14, (.LBB1_7653-.Lpost_getpc4603)&4294967295
	s_addc_u32 s15, s15, (.LBB1_7653-.Lpost_getpc4603)>>32
	s_setpc_b64 s[14:15]
.LBB1_3557:
	s_or_saveexec_b64 s[6:7], s[6:7]
	v_mov_b32_e32 v13, s10
	s_xor_b64 exec, exec, s[6:7]
	s_cbranch_execz .LBB1_3558
; %bb.17401:
	s_getpc_b64 s[14:15]
.Lpost_getpc4604:
	s_add_u32 s14, s14, (.LBB1_7656-.Lpost_getpc4604)&4294967295
	s_addc_u32 s15, s15, (.LBB1_7656-.Lpost_getpc4604)>>32
	s_setpc_b64 s[14:15]
.LBB1_3558:
	s_or_b64 exec, exec, s[6:7]
	s_and_saveexec_b64 s[6:7], s[4:5]
	s_cbranch_execz .LBB1_3560
.LBB1_3559:
	v_and_b32_e32 v13, 3, v15
	v_ffbh_u32_e32 v16, v13
	v_min_u32_e32 v16, 32, v16
	v_lshrrev_b16_e32 v14, 2, v15
	v_subrev_u32_e32 v17, 29, v16
	v_and_b32_e32 v14, 31, v14
	v_lshlrev_b32_e32 v17, v17, v15
	v_sub_u32_e32 v16, 30, v16
	v_and_b32_e32 v17, 3, v17
	v_cmp_eq_u16_e32 vcc, 0, v14
	v_cndmask_b32_e32 v13, v13, v17, vcc
	v_cndmask_b32_e32 v14, v14, v16, vcc
	v_lshlrev_b32_e32 v16, 24, v15
	v_mov_b32_e32 v17, 0x37800000
	v_lshlrev_b32_e32 v13, 21, v13
	v_and_b32_e32 v16, 0x80000000, v16
	v_lshl_add_u32 v14, v14, 23, v17
	v_or3_b32 v13, v16, v14, v13
.LBB1_3560:
	s_or_b64 exec, exec, s[6:7]
	s_nop 0
	v_mfma_f32_16x16x4f32 a[0:3], v12, v13, a[0:3]
	v_lshrrev_b32_e32 v13, 8, v19
	s_movk_i32 s4, 0x7f
	v_cmp_gt_i16_sdwa s[6:7], v13, s4 src0_sel:BYTE_0 src1_sel:DWORD
	s_mov_b64 s[4:5], 0
                                        ; implicit-def: $sgpr10
	s_and_saveexec_b64 s[8:9], s[6:7]
	s_xor_b64 s[6:7], exec, s[8:9]
	s_cbranch_execz .LBB1_3561
; %bb.17403:
	s_getpc_b64 s[14:15]
.Lpost_getpc4605:
	s_add_u32 s14, s14, (.LBB1_7657-.Lpost_getpc4605)&4294967295
	s_addc_u32 s15, s15, (.LBB1_7657-.Lpost_getpc4605)>>32
	s_setpc_b64 s[14:15]
.LBB1_3561:
	s_or_saveexec_b64 s[6:7], s[6:7]
	v_mov_b32_e32 v12, s10
	s_xor_b64 exec, exec, s[6:7]
	s_cbranch_execz .LBB1_3562
; %bb.17405:
	s_getpc_b64 s[14:15]
.Lpost_getpc4606:
	s_add_u32 s14, s14, (.LBB1_7660-.Lpost_getpc4606)&4294967295
	s_addc_u32 s15, s15, (.LBB1_7660-.Lpost_getpc4606)>>32
	s_setpc_b64 s[14:15]
.LBB1_3562:
	s_or_b64 exec, exec, s[6:7]
	s_and_saveexec_b64 s[6:7], s[4:5]
	s_cbranch_execz .LBB1_3564
.LBB1_3563:
	v_bfe_u32 v12, v19, 8, 3
	v_ffbh_u32_e32 v16, v12
	v_min_u32_e32 v16, 32, v16
	v_lshrrev_b16_e32 v14, 3, v13
	v_subrev_u32_e32 v17, 28, v16
	v_and_b32_e32 v14, 15, v14
	v_lshlrev_b32_e32 v13, v17, v13
	v_sub_u32_e32 v16, 29, v16
	v_and_b32_e32 v13, 7, v13
	v_cmp_eq_u16_e32 vcc, 0, v14
	v_cndmask_b32_e32 v12, v12, v13, vcc
	v_cndmask_b32_e32 v13, v14, v16, vcc
	v_lshlrev_b32_e32 v14, 16, v19
	v_mov_b32_e32 v16, 0x3b800000
	v_lshlrev_b32_e32 v12, 20, v12
	v_and_b32_e32 v14, 0x80000000, v14
	v_lshl_add_u32 v13, v13, 23, v16
	v_or3_b32 v12, v14, v13, v12
.LBB1_3564:
	s_or_b64 exec, exec, s[6:7]
	v_lshrrev_b32_e32 v13, 8, v15
	s_movk_i32 s4, 0x7f
	v_cmp_gt_i16_sdwa s[6:7], v13, s4 src0_sel:BYTE_0 src1_sel:DWORD
	s_mov_b64 s[4:5], 0
                                        ; implicit-def: $sgpr10
	s_and_saveexec_b64 s[8:9], s[6:7]
	s_xor_b64 s[6:7], exec, s[8:9]
	s_cbranch_execz .LBB1_3565
; %bb.17407:
	s_getpc_b64 s[14:15]
.Lpost_getpc4607:
	s_add_u32 s14, s14, (.LBB1_7661-.Lpost_getpc4607)&4294967295
	s_addc_u32 s15, s15, (.LBB1_7661-.Lpost_getpc4607)>>32
	s_setpc_b64 s[14:15]
.LBB1_3565:
	s_or_saveexec_b64 s[6:7], s[6:7]
	v_mov_b32_e32 v14, s10
	s_xor_b64 exec, exec, s[6:7]
	s_cbranch_execz .LBB1_3566
; %bb.17409:
	s_getpc_b64 s[14:15]
.Lpost_getpc4608:
	s_add_u32 s14, s14, (.LBB1_7664-.Lpost_getpc4608)&4294967295
	s_addc_u32 s15, s15, (.LBB1_7664-.Lpost_getpc4608)>>32
	s_setpc_b64 s[14:15]
.LBB1_3566:
	s_or_b64 exec, exec, s[6:7]
	s_and_saveexec_b64 s[6:7], s[4:5]
	s_cbranch_execz .LBB1_3568
.LBB1_3567:
	v_bfe_u32 v14, v15, 8, 2
	v_ffbh_u32_e32 v17, v14
	v_min_u32_e32 v17, 32, v17
	v_lshrrev_b16_e32 v16, 2, v13
	v_subrev_u32_e32 v18, 29, v17
	v_and_b32_e32 v16, 31, v16
	v_lshlrev_b32_e32 v13, v18, v13
	v_sub_u32_e32 v17, 30, v17
	v_and_b32_e32 v13, 3, v13
	v_cmp_eq_u16_e32 vcc, 0, v16
	v_cndmask_b32_e32 v13, v14, v13, vcc
	v_cndmask_b32_e32 v14, v16, v17, vcc
	v_lshlrev_b32_e32 v16, 16, v15
	v_mov_b32_e32 v17, 0x37800000
	v_lshlrev_b32_e32 v13, 21, v13
	v_and_b32_e32 v16, 0x80000000, v16
	v_lshl_add_u32 v14, v14, 23, v17
	v_or3_b32 v14, v16, v14, v13
.LBB1_3568:
	s_or_b64 exec, exec, s[6:7]
	s_nop 0
	v_mfma_f32_16x16x4f32 a[0:3], v12, v14, a[0:3]
	s_movk_i32 s4, 0xff
	v_and_b32_sdwa v13, v19, s4 dst_sel:DWORD dst_unused:UNUSED_PAD src0_sel:WORD_1 src1_sel:DWORD
	s_movk_i32 s4, 0x7f
	v_cmp_lt_i16_e32 vcc, s4, v13
	s_mov_b64 s[4:5], 0
                                        ; implicit-def: $sgpr10
	s_and_saveexec_b64 s[6:7], vcc
	s_xor_b64 s[6:7], exec, s[6:7]
	s_cbranch_execz .LBB1_3569
; %bb.17411:
	s_getpc_b64 s[14:15]
.Lpost_getpc4609:
	s_add_u32 s14, s14, (.LBB1_7665-.Lpost_getpc4609)&4294967295
	s_addc_u32 s15, s15, (.LBB1_7665-.Lpost_getpc4609)>>32
	s_setpc_b64 s[14:15]
.LBB1_3569:
	s_or_saveexec_b64 s[6:7], s[6:7]
	v_mov_b32_e32 v12, s10
	s_xor_b64 exec, exec, s[6:7]
	s_cbranch_execz .LBB1_3570
; %bb.17413:
	s_getpc_b64 s[14:15]
.Lpost_getpc4610:
	s_add_u32 s14, s14, (.LBB1_7668-.Lpost_getpc4610)&4294967295
	s_addc_u32 s15, s15, (.LBB1_7668-.Lpost_getpc4610)>>32
	s_setpc_b64 s[14:15]
.LBB1_3570:
	s_or_b64 exec, exec, s[6:7]
	s_and_saveexec_b64 s[6:7], s[4:5]
	s_cbranch_execz .LBB1_3572
.LBB1_3571:
	v_bfe_u32 v12, v19, 16, 3
	v_ffbh_u32_e32 v16, v12
	v_min_u32_e32 v16, 32, v16
	v_lshrrev_b32_e32 v13, 19, v19
	v_subrev_u32_e32 v17, 28, v16
	v_and_b32_e32 v13, 15, v13
	v_lshlrev_b32_sdwa v17, v17, v19 dst_sel:DWORD dst_unused:UNUSED_PAD src0_sel:DWORD src1_sel:WORD_1
	v_bfe_u32 v14, v19, 19, 4
	v_sub_u32_e32 v16, 29, v16
	v_and_b32_e32 v17, 7, v17
	v_cmp_eq_u16_e32 vcc, 0, v13
	v_cndmask_b32_e32 v12, v12, v17, vcc
	v_cndmask_b32_e32 v13, v14, v16, vcc
	v_lshlrev_b32_e32 v14, 8, v19
	v_mov_b32_e32 v16, 0x3b800000
	v_lshlrev_b32_e32 v12, 20, v12
	v_and_b32_e32 v14, 0x80000000, v14
	v_lshl_add_u32 v13, v13, 23, v16
	v_or3_b32 v12, v14, v13, v12
.LBB1_3572:
	s_or_b64 exec, exec, s[6:7]
	s_movk_i32 s4, 0xff
	v_and_b32_sdwa v13, v15, s4 dst_sel:DWORD dst_unused:UNUSED_PAD src0_sel:WORD_1 src1_sel:DWORD
	s_movk_i32 s4, 0x7f
	v_cmp_lt_i16_e32 vcc, s4, v13
	s_mov_b64 s[4:5], 0
                                        ; implicit-def: $sgpr10
	s_and_saveexec_b64 s[6:7], vcc
	s_xor_b64 s[6:7], exec, s[6:7]
	s_cbranch_execz .LBB1_3573
; %bb.17415:
	s_getpc_b64 s[14:15]
.Lpost_getpc4611:
	s_add_u32 s14, s14, (.LBB1_7669-.Lpost_getpc4611)&4294967295
	s_addc_u32 s15, s15, (.LBB1_7669-.Lpost_getpc4611)>>32
	s_setpc_b64 s[14:15]
.LBB1_3573:
	s_or_saveexec_b64 s[6:7], s[6:7]
	v_mov_b32_e32 v14, s10
	s_xor_b64 exec, exec, s[6:7]
	s_cbranch_execz .LBB1_3574
; %bb.17417:
	s_getpc_b64 s[14:15]
.Lpost_getpc4612:
	s_add_u32 s14, s14, (.LBB1_7672-.Lpost_getpc4612)&4294967295
	s_addc_u32 s15, s15, (.LBB1_7672-.Lpost_getpc4612)>>32
	s_setpc_b64 s[14:15]
.LBB1_3574:
	s_or_b64 exec, exec, s[6:7]
	s_and_saveexec_b64 s[6:7], s[4:5]
	s_cbranch_execz .LBB1_3576
.LBB1_3575:
	v_bfe_u32 v13, v15, 16, 2
	v_ffbh_u32_e32 v17, v13
	v_min_u32_e32 v17, 32, v17
	v_lshrrev_b32_e32 v14, 18, v15
	v_subrev_u32_e32 v18, 29, v17
	v_and_b32_e32 v14, 31, v14
	v_lshlrev_b32_sdwa v18, v18, v15 dst_sel:DWORD dst_unused:UNUSED_PAD src0_sel:DWORD src1_sel:WORD_1
	v_bfe_u32 v16, v15, 18, 5
	v_sub_u32_e32 v17, 30, v17
	v_and_b32_e32 v18, 3, v18
	v_cmp_eq_u16_e32 vcc, 0, v14
	v_cndmask_b32_e32 v13, v13, v18, vcc
	v_cndmask_b32_e32 v14, v16, v17, vcc
	v_lshlrev_b32_e32 v16, 8, v15
	v_mov_b32_e32 v17, 0x37800000
	v_lshlrev_b32_e32 v13, 21, v13
	v_and_b32_e32 v16, 0x80000000, v16
	v_lshl_add_u32 v14, v14, 23, v17
	v_or3_b32 v14, v16, v14, v13
.LBB1_3576:
	s_or_b64 exec, exec, s[6:7]
	s_nop 0
	v_mfma_f32_16x16x4f32 a[0:3], v12, v14, a[0:3]
	s_movk_i32 s4, 0x7f
	v_cmp_gt_i16_sdwa s[6:7], v19, s4 src0_sel:BYTE_3 src1_sel:DWORD
	s_mov_b64 s[4:5], 0
                                        ; implicit-def: $sgpr10
	s_and_saveexec_b64 s[8:9], s[6:7]
	s_xor_b64 s[6:7], exec, s[8:9]
	s_cbranch_execz .LBB1_3577
; %bb.17419:
	s_getpc_b64 s[14:15]
.Lpost_getpc4613:
	s_add_u32 s14, s14, (.LBB1_7673-.Lpost_getpc4613)&4294967295
	s_addc_u32 s15, s15, (.LBB1_7673-.Lpost_getpc4613)>>32
	s_setpc_b64 s[14:15]
.LBB1_3577:
	s_or_saveexec_b64 s[6:7], s[6:7]
	v_mov_b32_e32 v12, s10
	s_xor_b64 exec, exec, s[6:7]
	s_cbranch_execz .LBB1_3578
; %bb.17421:
	s_getpc_b64 s[14:15]
.Lpost_getpc4614:
	s_add_u32 s14, s14, (.LBB1_7676-.Lpost_getpc4614)&4294967295
	s_addc_u32 s15, s15, (.LBB1_7676-.Lpost_getpc4614)>>32
	s_setpc_b64 s[14:15]
.LBB1_3578:
	s_or_b64 exec, exec, s[6:7]
	s_and_saveexec_b64 s[6:7], s[4:5]
	s_cbranch_execz .LBB1_3580
.LBB1_3579:
	v_bfe_u32 v12, v19, 24, 3
	v_ffbh_u32_e32 v17, v12
	v_min_u32_e32 v17, 32, v17
	v_lshrrev_b32_e32 v14, 27, v19
	v_subrev_u32_e32 v18, 28, v17
	v_and_b32_e32 v14, 15, v14
	v_lshlrev_b32_sdwa v18, v18, v19 dst_sel:DWORD dst_unused:UNUSED_PAD src0_sel:DWORD src1_sel:BYTE_3
	v_bfe_u32 v16, v19, 27, 4
	v_sub_u32_e32 v17, 29, v17
	v_and_b32_e32 v18, 7, v18
	v_cmp_eq_u16_e32 vcc, 0, v14
	v_cndmask_b32_e32 v12, v12, v18, vcc
	v_cndmask_b32_e32 v14, v16, v17, vcc
	v_mov_b32_e32 v16, 0x3b800000
	v_and_b32_e32 v13, 0x80000000, v19
	v_lshlrev_b32_e32 v12, 20, v12
	v_lshl_add_u32 v14, v14, 23, v16
	v_or3_b32 v12, v13, v14, v12
.LBB1_3580:
	s_or_b64 exec, exec, s[6:7]
	s_movk_i32 s4, 0x7f
	v_cmp_gt_i16_sdwa s[6:7], v15, s4 src0_sel:BYTE_3 src1_sel:DWORD
	s_mov_b64 s[4:5], 0
                                        ; implicit-def: $sgpr10
	s_and_saveexec_b64 s[8:9], s[6:7]
	s_xor_b64 s[6:7], exec, s[8:9]
	s_cbranch_execz .LBB1_3581
; %bb.17423:
	s_getpc_b64 s[14:15]
.Lpost_getpc4615:
	s_add_u32 s14, s14, (.LBB1_7677-.Lpost_getpc4615)&4294967295
	s_addc_u32 s15, s15, (.LBB1_7677-.Lpost_getpc4615)>>32
	s_setpc_b64 s[14:15]
.LBB1_3581:
	s_or_saveexec_b64 s[6:7], s[6:7]
	v_mov_b32_e32 v13, s10
	s_xor_b64 exec, exec, s[6:7]
	s_cbranch_execz .LBB1_3582
; %bb.17425:
	s_getpc_b64 s[14:15]
.Lpost_getpc4616:
	s_add_u32 s14, s14, (.LBB1_7680-.Lpost_getpc4616)&4294967295
	s_addc_u32 s15, s15, (.LBB1_7680-.Lpost_getpc4616)>>32
	s_setpc_b64 s[14:15]
.LBB1_3582:
	s_or_b64 exec, exec, s[6:7]
	s_and_saveexec_b64 s[6:7], s[4:5]
	s_cbranch_execz .LBB1_3584
.LBB1_3583:
	v_bfe_u32 v13, v15, 24, 2
	v_ffbh_u32_e32 v18, v13
	v_min_u32_e32 v18, 32, v18
	v_lshrrev_b32_e32 v16, 26, v15
	v_subrev_u32_e32 v19, 29, v18
	v_and_b32_e32 v14, 0x80000000, v15
	v_and_b32_e32 v16, 31, v16
	v_bfe_u32 v17, v15, 26, 5
	v_lshlrev_b32_sdwa v15, v19, v15 dst_sel:DWORD dst_unused:UNUSED_PAD src0_sel:DWORD src1_sel:BYTE_3
	v_sub_u32_e32 v18, 30, v18
	v_and_b32_e32 v15, 3, v15
	v_cmp_eq_u16_e32 vcc, 0, v16
	v_cndmask_b32_e32 v13, v13, v15, vcc
	v_cndmask_b32_e32 v15, v17, v18, vcc
	v_mov_b32_e32 v16, 0x37800000
	v_lshlrev_b32_e32 v13, 21, v13
	v_lshl_add_u32 v15, v15, 23, v16
	v_or3_b32 v13, v14, v15, v13
.LBB1_3584:
	s_or_b64 exec, exec, s[6:7]
	s_nop 0
	v_mfma_f32_16x16x4f32 a[0:3], v12, v13, a[0:3]
	s_movk_i32 s4, 0x7f
                                        ; implicit-def: $sgpr10
	s_nop 7
	s_nop 1
	flat_store_dwordx4 v[10:11], a[0:3] offset:432
	flat_load_dword v14, v[0:1] offset:512
	flat_load_dwordx2 v[12:13], v[2:3]
	s_waitcnt vmcnt(0) lgkmcnt(0)
	v_ashrrev_i32_e32 v3, 31, v14
	v_add_co_u32_e32 v2, vcc, v12, v14
	v_addc_co_u32_e32 v3, vcc, v13, v3, vcc
	flat_load_dwordx4 v[12:15], v[2:3] offset:3584
	s_waitcnt vmcnt(0) lgkmcnt(0)
	flat_store_dwordx4 v[4:5], v[12:15]
	flat_load_dword v12, v[0:1] offset:544
	s_nop 0
	flat_load_dwordx2 v[2:3], v[6:7]
	s_waitcnt vmcnt(0) lgkmcnt(0)
	v_ashrrev_i32_e32 v13, 31, v12
	v_add_co_u32_e32 v2, vcc, v2, v12
	v_addc_co_u32_e32 v3, vcc, v3, v13, vcc
	flat_load_dwordx4 v[12:15], v[2:3]
	v_mov_b32_e32 v2, 8
	s_waitcnt vmcnt(0) lgkmcnt(0)
	flat_store_dwordx4 v[8:9], v[12:15]
	flat_load_dwordx4 v[16:19], v[4:5]
	v_lshrrev_b32_sdwa v2, v2, v14 dst_sel:BYTE_1 dst_unused:UNUSED_PAD src0_sel:DWORD src1_sel:DWORD
	s_waitcnt vmcnt(0) lgkmcnt(0)
	v_cmp_gt_i16_sdwa s[6:7], v16, s4 src0_sel:BYTE_0 src1_sel:DWORD
	s_mov_b64 s[4:5], 0
	s_and_saveexec_b64 s[8:9], s[6:7]
	s_xor_b64 s[6:7], exec, s[8:9]
	s_cbranch_execz .LBB1_3585
; %bb.17427:
	s_getpc_b64 s[14:15]
.Lpost_getpc4617:
	s_add_u32 s14, s14, (.LBB1_7681-.Lpost_getpc4617)&4294967295
	s_addc_u32 s15, s15, (.LBB1_7681-.Lpost_getpc4617)>>32
	s_setpc_b64 s[14:15]
.LBB1_3585:
	s_or_saveexec_b64 s[6:7], s[6:7]
	v_mov_b32_e32 v3, s10
	s_xor_b64 exec, exec, s[6:7]
	s_cbranch_execz .LBB1_3586
; %bb.17429:
	s_getpc_b64 s[14:15]
.Lpost_getpc4618:
	s_add_u32 s14, s14, (.LBB1_7684-.Lpost_getpc4618)&4294967295
	s_addc_u32 s15, s15, (.LBB1_7684-.Lpost_getpc4618)>>32
	s_setpc_b64 s[14:15]
.LBB1_3586:
	s_or_b64 exec, exec, s[6:7]
	s_and_saveexec_b64 s[6:7], s[4:5]
	s_cbranch_execz .LBB1_3588
.LBB1_3587:
	v_and_b32_e32 v3, 7, v16
	v_ffbh_u32_e32 v21, v3
	v_min_u32_e32 v21, 32, v21
	v_lshrrev_b16_e32 v20, 3, v16
	v_subrev_u32_e32 v22, 28, v21
	v_and_b32_e32 v20, 15, v20
	v_lshlrev_b32_e32 v22, v22, v16
	v_sub_u32_e32 v21, 29, v21
	v_and_b32_e32 v22, 7, v22
	v_cmp_eq_u16_e32 vcc, 0, v20
	v_cndmask_b32_e32 v3, v3, v22, vcc
	v_cndmask_b32_e32 v20, v20, v21, vcc
	v_lshlrev_b32_e32 v21, 24, v16
	v_mov_b32_e32 v22, 0x3b800000
	v_lshlrev_b32_e32 v3, 20, v3
	v_and_b32_e32 v21, 0x80000000, v21
	v_lshl_add_u32 v20, v20, 23, v22
	v_or3_b32 v3, v21, v20, v3
.LBB1_3588:
	s_or_b64 exec, exec, s[6:7]
	s_movk_i32 s4, 0x7f
	v_cmp_gt_i16_sdwa s[6:7], v12, s4 src0_sel:BYTE_0 src1_sel:DWORD
	s_mov_b64 s[4:5], 0
                                        ; implicit-def: $sgpr10
	s_and_saveexec_b64 s[8:9], s[6:7]
	s_xor_b64 s[6:7], exec, s[8:9]
	s_cbranch_execz .LBB1_3589
; %bb.17431:
	s_getpc_b64 s[14:15]
.Lpost_getpc4619:
	s_add_u32 s14, s14, (.LBB1_7685-.Lpost_getpc4619)&4294967295
	s_addc_u32 s15, s15, (.LBB1_7685-.Lpost_getpc4619)>>32
	s_setpc_b64 s[14:15]
.LBB1_3589:
	s_or_saveexec_b64 s[6:7], s[6:7]
	v_mov_b32_e32 v20, s10
	s_xor_b64 exec, exec, s[6:7]
	s_cbranch_execz .LBB1_3590
; %bb.17433:
	s_getpc_b64 s[14:15]
.Lpost_getpc4620:
	s_add_u32 s14, s14, (.LBB1_7688-.Lpost_getpc4620)&4294967295
	s_addc_u32 s15, s15, (.LBB1_7688-.Lpost_getpc4620)>>32
	s_setpc_b64 s[14:15]
.LBB1_3590:
	s_or_b64 exec, exec, s[6:7]
	s_and_saveexec_b64 s[6:7], s[4:5]
	s_cbranch_execz .LBB1_3592
.LBB1_3591:
	v_and_b32_e32 v20, 3, v12
	v_ffbh_u32_e32 v22, v20
	v_min_u32_e32 v22, 32, v22
	v_lshrrev_b16_e32 v21, 2, v12
	v_subrev_u32_e32 v23, 29, v22
	v_and_b32_e32 v21, 31, v21
	v_lshlrev_b32_e32 v23, v23, v12
	v_sub_u32_e32 v22, 30, v22
	v_and_b32_e32 v23, 3, v23
	v_cmp_eq_u16_e32 vcc, 0, v21
	v_cndmask_b32_e32 v20, v20, v23, vcc
	v_cndmask_b32_e32 v21, v21, v22, vcc
	v_lshlrev_b32_e32 v22, 24, v12
	v_mov_b32_e32 v23, 0x37800000
	v_lshlrev_b32_e32 v20, 21, v20
	v_and_b32_e32 v22, 0x80000000, v22
	v_lshl_add_u32 v21, v21, 23, v23
	v_or3_b32 v20, v22, v21, v20
.LBB1_3592:
	s_or_b64 exec, exec, s[6:7]
	flat_load_dwordx4 a[0:3], v[10:11] offset:448
	s_movk_i32 s4, 0x7f
                                        ; implicit-def: $sgpr10
	s_waitcnt vmcnt(0) lgkmcnt(0)
	v_mfma_f32_16x16x4f32 a[0:3], v3, v20, a[0:3]
	v_lshrrev_b32_e32 v20, 8, v16
	v_cmp_gt_i16_sdwa s[6:7], v20, s4 src0_sel:BYTE_0 src1_sel:DWORD
	s_mov_b64 s[4:5], 0
	s_and_saveexec_b64 s[8:9], s[6:7]
	s_xor_b64 s[6:7], exec, s[8:9]
	s_cbranch_execz .LBB1_3593
; %bb.17435:
	s_getpc_b64 s[14:15]
.Lpost_getpc4621:
	s_add_u32 s14, s14, (.LBB1_7689-.Lpost_getpc4621)&4294967295
	s_addc_u32 s15, s15, (.LBB1_7689-.Lpost_getpc4621)>>32
	s_setpc_b64 s[14:15]
.LBB1_3593:
	s_or_saveexec_b64 s[6:7], s[6:7]
	v_mov_b32_e32 v3, s10
	s_xor_b64 exec, exec, s[6:7]
	s_cbranch_execz .LBB1_3594
; %bb.17437:
	s_getpc_b64 s[14:15]
.Lpost_getpc4622:
	s_add_u32 s14, s14, (.LBB1_7692-.Lpost_getpc4622)&4294967295
	s_addc_u32 s15, s15, (.LBB1_7692-.Lpost_getpc4622)>>32
	s_setpc_b64 s[14:15]
.LBB1_3594:
	s_or_b64 exec, exec, s[6:7]
	s_and_saveexec_b64 s[6:7], s[4:5]
	s_cbranch_execz .LBB1_3596
.LBB1_3595:
	v_bfe_u32 v3, v16, 8, 3
	v_ffbh_u32_e32 v22, v3
	v_min_u32_e32 v22, 32, v22
	v_lshrrev_b16_e32 v21, 3, v20
	v_subrev_u32_e32 v23, 28, v22
	v_and_b32_e32 v21, 15, v21
	v_lshlrev_b32_e32 v20, v23, v20
	v_sub_u32_e32 v22, 29, v22
	v_and_b32_e32 v20, 7, v20
	v_cmp_eq_u16_e32 vcc, 0, v21
	v_cndmask_b32_e32 v3, v3, v20, vcc
	v_cndmask_b32_e32 v20, v21, v22, vcc
	v_lshlrev_b32_e32 v21, 16, v16
	v_mov_b32_e32 v22, 0x3b800000
	v_lshlrev_b32_e32 v3, 20, v3
	v_and_b32_e32 v21, 0x80000000, v21
	v_lshl_add_u32 v20, v20, 23, v22
	v_or3_b32 v3, v21, v20, v3
.LBB1_3596:
	s_or_b64 exec, exec, s[6:7]
	v_lshrrev_b32_e32 v20, 8, v12
	s_movk_i32 s4, 0x7f
	v_cmp_gt_i16_sdwa s[6:7], v20, s4 src0_sel:BYTE_0 src1_sel:DWORD
	s_mov_b64 s[4:5], 0
                                        ; implicit-def: $sgpr10
	s_and_saveexec_b64 s[8:9], s[6:7]
	s_xor_b64 s[6:7], exec, s[8:9]
	s_cbranch_execz .LBB1_3597
; %bb.17439:
	s_getpc_b64 s[14:15]
.Lpost_getpc4623:
	s_add_u32 s14, s14, (.LBB1_7693-.Lpost_getpc4623)&4294967295
	s_addc_u32 s15, s15, (.LBB1_7693-.Lpost_getpc4623)>>32
	s_setpc_b64 s[14:15]
.LBB1_3597:
	s_or_saveexec_b64 s[6:7], s[6:7]
	v_mov_b32_e32 v21, s10
	s_xor_b64 exec, exec, s[6:7]
	s_cbranch_execz .LBB1_3598
; %bb.17441:
	s_getpc_b64 s[14:15]
.Lpost_getpc4624:
	s_add_u32 s14, s14, (.LBB1_7696-.Lpost_getpc4624)&4294967295
	s_addc_u32 s15, s15, (.LBB1_7696-.Lpost_getpc4624)>>32
	s_setpc_b64 s[14:15]
.LBB1_3598:
	s_or_b64 exec, exec, s[6:7]
	s_and_saveexec_b64 s[6:7], s[4:5]
	s_cbranch_execz .LBB1_3600
.LBB1_3599:
	v_bfe_u32 v21, v12, 8, 2
	v_ffbh_u32_e32 v23, v21
	v_min_u32_e32 v23, 32, v23
	v_lshrrev_b16_e32 v22, 2, v20
	v_subrev_u32_e32 v24, 29, v23
	v_and_b32_e32 v22, 31, v22
	v_lshlrev_b32_e32 v20, v24, v20
	v_sub_u32_e32 v23, 30, v23
	v_and_b32_e32 v20, 3, v20
	v_cmp_eq_u16_e32 vcc, 0, v22
	v_cndmask_b32_e32 v20, v21, v20, vcc
	v_cndmask_b32_e32 v21, v22, v23, vcc
	v_lshlrev_b32_e32 v22, 16, v12
	v_mov_b32_e32 v23, 0x37800000
	v_lshlrev_b32_e32 v20, 21, v20
	v_and_b32_e32 v22, 0x80000000, v22
	v_lshl_add_u32 v21, v21, 23, v23
	v_or3_b32 v21, v22, v21, v20
.LBB1_3600:
	s_or_b64 exec, exec, s[6:7]
	s_nop 0
	v_mfma_f32_16x16x4f32 a[0:3], v3, v21, a[0:3]
	s_movk_i32 s4, 0xff
	v_and_b32_sdwa v20, v16, s4 dst_sel:DWORD dst_unused:UNUSED_PAD src0_sel:WORD_1 src1_sel:DWORD
	s_movk_i32 s4, 0x7f
	v_cmp_lt_i16_e32 vcc, s4, v20
	s_mov_b64 s[4:5], 0
                                        ; implicit-def: $sgpr10
	s_and_saveexec_b64 s[6:7], vcc
	s_xor_b64 s[6:7], exec, s[6:7]
	s_cbranch_execz .LBB1_3601
; %bb.17443:
	s_getpc_b64 s[14:15]
.Lpost_getpc4625:
	s_add_u32 s14, s14, (.LBB1_7697-.Lpost_getpc4625)&4294967295
	s_addc_u32 s15, s15, (.LBB1_7697-.Lpost_getpc4625)>>32
	s_setpc_b64 s[14:15]
.LBB1_3601:
	s_or_saveexec_b64 s[6:7], s[6:7]
	v_mov_b32_e32 v3, s10
	s_xor_b64 exec, exec, s[6:7]
	s_cbranch_execz .LBB1_3602
; %bb.17445:
	s_getpc_b64 s[14:15]
.Lpost_getpc4626:
	s_add_u32 s14, s14, (.LBB1_7700-.Lpost_getpc4626)&4294967295
	s_addc_u32 s15, s15, (.LBB1_7700-.Lpost_getpc4626)>>32
	s_setpc_b64 s[14:15]
.LBB1_3602:
	s_or_b64 exec, exec, s[6:7]
	s_and_saveexec_b64 s[6:7], s[4:5]
	s_cbranch_execz .LBB1_3604
.LBB1_3603:
	v_bfe_u32 v3, v16, 16, 3
	v_ffbh_u32_e32 v22, v3
	v_min_u32_e32 v22, 32, v22
	v_lshrrev_b32_e32 v20, 19, v16
	v_subrev_u32_e32 v23, 28, v22
	v_and_b32_e32 v20, 15, v20
	v_lshlrev_b32_sdwa v23, v23, v16 dst_sel:DWORD dst_unused:UNUSED_PAD src0_sel:DWORD src1_sel:WORD_1
	v_bfe_u32 v21, v16, 19, 4
	v_sub_u32_e32 v22, 29, v22
	v_and_b32_e32 v23, 7, v23
	v_cmp_eq_u16_e32 vcc, 0, v20
	v_cndmask_b32_e32 v3, v3, v23, vcc
	v_cndmask_b32_e32 v20, v21, v22, vcc
	v_lshlrev_b32_e32 v21, 8, v16
	v_mov_b32_e32 v22, 0x3b800000
	v_lshlrev_b32_e32 v3, 20, v3
	v_and_b32_e32 v21, 0x80000000, v21
	v_lshl_add_u32 v20, v20, 23, v22
	v_or3_b32 v3, v21, v20, v3
.LBB1_3604:
	s_or_b64 exec, exec, s[6:7]
	s_movk_i32 s4, 0xff
	v_and_b32_sdwa v20, v12, s4 dst_sel:DWORD dst_unused:UNUSED_PAD src0_sel:WORD_1 src1_sel:DWORD
	s_movk_i32 s4, 0x7f
	v_cmp_lt_i16_e32 vcc, s4, v20
	s_mov_b64 s[4:5], 0
                                        ; implicit-def: $sgpr10
	s_and_saveexec_b64 s[6:7], vcc
	s_xor_b64 s[6:7], exec, s[6:7]
	s_cbranch_execz .LBB1_3605
; %bb.17941:
	s_getpc_b64 s[14:15]
.Lpost_getpc4874:
	s_add_u32 s14, s14, (.LBB1_7701-.Lpost_getpc4874)&4294967295
	s_addc_u32 s15, s15, (.LBB1_7701-.Lpost_getpc4874)>>32
	s_setpc_b64 s[14:15]
.LBB1_3605:
	s_or_saveexec_b64 s[6:7], s[6:7]
	v_mov_b32_e32 v21, s10
	s_xor_b64 exec, exec, s[6:7]
	s_cbranch_execz .LBB1_3606
; %bb.17943:
	s_getpc_b64 s[14:15]
.Lpost_getpc4875:
	s_add_u32 s14, s14, (.LBB1_7704-.Lpost_getpc4875)&4294967295
	s_addc_u32 s15, s15, (.LBB1_7704-.Lpost_getpc4875)>>32
	s_setpc_b64 s[14:15]
.LBB1_3606:
	s_or_b64 exec, exec, s[6:7]
	s_and_saveexec_b64 s[6:7], s[4:5]
	s_cbranch_execz .LBB1_3608
.LBB1_3607:
	v_bfe_u32 v20, v12, 16, 2
	v_ffbh_u32_e32 v23, v20
	v_min_u32_e32 v23, 32, v23
	v_lshrrev_b32_e32 v21, 18, v12
	v_subrev_u32_e32 v24, 29, v23
	v_and_b32_e32 v21, 31, v21
	v_lshlrev_b32_sdwa v24, v24, v12 dst_sel:DWORD dst_unused:UNUSED_PAD src0_sel:DWORD src1_sel:WORD_1
	v_bfe_u32 v22, v12, 18, 5
	v_sub_u32_e32 v23, 30, v23
	v_and_b32_e32 v24, 3, v24
	v_cmp_eq_u16_e32 vcc, 0, v21
	v_cndmask_b32_e32 v20, v20, v24, vcc
	v_cndmask_b32_e32 v21, v22, v23, vcc
	v_lshlrev_b32_e32 v22, 8, v12
	v_mov_b32_e32 v23, 0x37800000
	v_lshlrev_b32_e32 v20, 21, v20
	v_and_b32_e32 v22, 0x80000000, v22
	v_lshl_add_u32 v21, v21, 23, v23
	v_or3_b32 v21, v22, v21, v20
.LBB1_3608:
	s_or_b64 exec, exec, s[6:7]
	s_nop 0
	v_mfma_f32_16x16x4f32 a[0:3], v3, v21, a[0:3]
	s_movk_i32 s4, 0x7f
	v_cmp_gt_i16_sdwa s[6:7], v16, s4 src0_sel:BYTE_3 src1_sel:DWORD
	s_mov_b64 s[4:5], 0
                                        ; implicit-def: $sgpr10
	s_and_saveexec_b64 s[8:9], s[6:7]
	s_xor_b64 s[6:7], exec, s[8:9]
	s_cbranch_execz .LBB1_3609
; %bb.17945:
	s_getpc_b64 s[14:15]
.Lpost_getpc4876:
	s_add_u32 s14, s14, (.LBB1_7705-.Lpost_getpc4876)&4294967295
	s_addc_u32 s15, s15, (.LBB1_7705-.Lpost_getpc4876)>>32
	s_setpc_b64 s[14:15]
.LBB1_3609:
	s_or_saveexec_b64 s[6:7], s[6:7]
	v_mov_b32_e32 v3, s10
	s_xor_b64 exec, exec, s[6:7]
	s_cbranch_execz .LBB1_3610
; %bb.17947:
	s_getpc_b64 s[14:15]
.Lpost_getpc4877:
	s_add_u32 s14, s14, (.LBB1_7708-.Lpost_getpc4877)&4294967295
	s_addc_u32 s15, s15, (.LBB1_7708-.Lpost_getpc4877)>>32
	s_setpc_b64 s[14:15]
.LBB1_3610:
	s_or_b64 exec, exec, s[6:7]
	s_and_saveexec_b64 s[6:7], s[4:5]
	s_cbranch_execz .LBB1_3612
.LBB1_3611:
	v_bfe_u32 v3, v16, 24, 3
	v_ffbh_u32_e32 v23, v3
	v_min_u32_e32 v23, 32, v23
	v_lshrrev_b32_e32 v21, 27, v16
	v_subrev_u32_e32 v24, 28, v23
	v_and_b32_e32 v20, 0x80000000, v16
	v_and_b32_e32 v21, 15, v21
	v_bfe_u32 v22, v16, 27, 4
	v_lshlrev_b32_sdwa v16, v24, v16 dst_sel:DWORD dst_unused:UNUSED_PAD src0_sel:DWORD src1_sel:BYTE_3
	v_sub_u32_e32 v23, 29, v23
	v_and_b32_e32 v16, 7, v16
	v_cmp_eq_u16_e32 vcc, 0, v21
	v_cndmask_b32_e32 v3, v3, v16, vcc
	v_cndmask_b32_e32 v16, v22, v23, vcc
	v_mov_b32_e32 v21, 0x3b800000
	v_lshlrev_b32_e32 v3, 20, v3
	v_lshl_add_u32 v16, v16, 23, v21
	v_or3_b32 v3, v20, v16, v3
.LBB1_3612:
	s_or_b64 exec, exec, s[6:7]
	s_movk_i32 s4, 0x7f
	v_cmp_gt_i16_sdwa s[6:7], v12, s4 src0_sel:BYTE_3 src1_sel:DWORD
	s_mov_b64 s[4:5], 0
                                        ; implicit-def: $sgpr10
	s_and_saveexec_b64 s[8:9], s[6:7]
	s_xor_b64 s[6:7], exec, s[8:9]
	s_cbranch_execz .LBB1_3613
; %bb.17949:
	s_getpc_b64 s[14:15]
.Lpost_getpc4878:
	s_add_u32 s14, s14, (.LBB1_7709-.Lpost_getpc4878)&4294967295
	s_addc_u32 s15, s15, (.LBB1_7709-.Lpost_getpc4878)>>32
	s_setpc_b64 s[14:15]
.LBB1_3613:
	s_or_saveexec_b64 s[6:7], s[6:7]
	v_mov_b32_e32 v16, s10
	s_xor_b64 exec, exec, s[6:7]
	s_cbranch_execz .LBB1_3614
; %bb.17951:
	s_getpc_b64 s[14:15]
.Lpost_getpc4879:
	s_add_u32 s14, s14, (.LBB1_7712-.Lpost_getpc4879)&4294967295
	s_addc_u32 s15, s15, (.LBB1_7712-.Lpost_getpc4879)>>32
	s_setpc_b64 s[14:15]
.LBB1_3614:
	s_or_b64 exec, exec, s[6:7]
	s_and_saveexec_b64 s[6:7], s[4:5]
	s_cbranch_execz .LBB1_3616
.LBB1_3615:
	v_bfe_u32 v16, v12, 24, 2
	v_ffbh_u32_e32 v23, v16
	v_min_u32_e32 v23, 32, v23
	v_lshrrev_b32_e32 v21, 26, v12
	v_subrev_u32_e32 v24, 29, v23
	v_and_b32_e32 v20, 0x80000000, v12
	v_and_b32_e32 v21, 31, v21
	v_bfe_u32 v22, v12, 26, 5
	v_lshlrev_b32_sdwa v12, v24, v12 dst_sel:DWORD dst_unused:UNUSED_PAD src0_sel:DWORD src1_sel:BYTE_3
	v_sub_u32_e32 v23, 30, v23
	v_and_b32_e32 v12, 3, v12
	v_cmp_eq_u16_e32 vcc, 0, v21
	v_cndmask_b32_e32 v12, v16, v12, vcc
	v_cndmask_b32_e32 v16, v22, v23, vcc
	v_mov_b32_e32 v21, 0x37800000
	v_lshlrev_b32_e32 v12, 21, v12
	v_lshl_add_u32 v16, v16, 23, v21
	v_or3_b32 v16, v20, v16, v12
.LBB1_3616:
	s_or_b64 exec, exec, s[6:7]
	s_nop 0
	v_mfma_f32_16x16x4f32 a[0:3], v3, v16, a[0:3]
	s_movk_i32 s4, 0x7f
	v_cmp_gt_i16_sdwa s[6:7], v17, s4 src0_sel:BYTE_0 src1_sel:DWORD
	s_mov_b64 s[4:5], 0
                                        ; implicit-def: $sgpr10
	s_and_saveexec_b64 s[8:9], s[6:7]
	s_xor_b64 s[6:7], exec, s[8:9]
	s_cbranch_execz .LBB1_3617
; %bb.17953:
	s_getpc_b64 s[14:15]
.Lpost_getpc4880:
	s_add_u32 s14, s14, (.LBB1_7713-.Lpost_getpc4880)&4294967295
	s_addc_u32 s15, s15, (.LBB1_7713-.Lpost_getpc4880)>>32
	s_setpc_b64 s[14:15]
.LBB1_3617:
	s_or_saveexec_b64 s[6:7], s[6:7]
	v_mov_b32_e32 v3, s10
	s_xor_b64 exec, exec, s[6:7]
	s_cbranch_execz .LBB1_3618
; %bb.17955:
	s_getpc_b64 s[14:15]
.Lpost_getpc4881:
	s_add_u32 s14, s14, (.LBB1_7716-.Lpost_getpc4881)&4294967295
	s_addc_u32 s15, s15, (.LBB1_7716-.Lpost_getpc4881)>>32
	s_setpc_b64 s[14:15]
.LBB1_3618:
	s_or_b64 exec, exec, s[6:7]
	s_and_saveexec_b64 s[6:7], s[4:5]
	s_cbranch_execz .LBB1_3620
.LBB1_3619:
	v_and_b32_e32 v3, 7, v17
	v_ffbh_u32_e32 v16, v3
	v_min_u32_e32 v16, 32, v16
	v_lshrrev_b16_e32 v12, 3, v17
	v_subrev_u32_e32 v20, 28, v16
	v_and_b32_e32 v12, 15, v12
	v_lshlrev_b32_e32 v20, v20, v17
	v_sub_u32_e32 v16, 29, v16
	v_and_b32_e32 v20, 7, v20
	v_cmp_eq_u16_e32 vcc, 0, v12
	v_cndmask_b32_e32 v3, v3, v20, vcc
	v_cndmask_b32_e32 v12, v12, v16, vcc
	v_lshlrev_b32_e32 v16, 24, v17
	v_mov_b32_e32 v20, 0x3b800000
	v_lshlrev_b32_e32 v3, 20, v3
	v_and_b32_e32 v16, 0x80000000, v16
	v_lshl_add_u32 v12, v12, 23, v20
	v_or3_b32 v3, v16, v12, v3
.LBB1_3620:
	s_or_b64 exec, exec, s[6:7]
	s_movk_i32 s4, 0x7f
	v_cmp_gt_i16_sdwa s[6:7], v13, s4 src0_sel:BYTE_0 src1_sel:DWORD
	s_mov_b64 s[4:5], 0
                                        ; implicit-def: $sgpr10
	s_and_saveexec_b64 s[8:9], s[6:7]
	s_xor_b64 s[6:7], exec, s[8:9]
	s_cbranch_execz .LBB1_3621
; %bb.17957:
	s_getpc_b64 s[14:15]
.Lpost_getpc4882:
	s_add_u32 s14, s14, (.LBB1_7717-.Lpost_getpc4882)&4294967295
	s_addc_u32 s15, s15, (.LBB1_7717-.Lpost_getpc4882)>>32
	s_setpc_b64 s[14:15]
.LBB1_3621:
	s_or_saveexec_b64 s[6:7], s[6:7]
	v_mov_b32_e32 v12, s10
	s_xor_b64 exec, exec, s[6:7]
	s_cbranch_execz .LBB1_3622
; %bb.17959:
	s_getpc_b64 s[14:15]
.Lpost_getpc4883:
	s_add_u32 s14, s14, (.LBB1_7720-.Lpost_getpc4883)&4294967295
	s_addc_u32 s15, s15, (.LBB1_7720-.Lpost_getpc4883)>>32
	s_setpc_b64 s[14:15]
.LBB1_3622:
	s_or_b64 exec, exec, s[6:7]
	s_and_saveexec_b64 s[6:7], s[4:5]
	s_cbranch_execz .LBB1_3624
.LBB1_3623:
	v_and_b32_e32 v12, 3, v13
	v_ffbh_u32_e32 v20, v12
	v_min_u32_e32 v20, 32, v20
	v_lshrrev_b16_e32 v16, 2, v13
	v_subrev_u32_e32 v21, 29, v20
	v_and_b32_e32 v16, 31, v16
	v_lshlrev_b32_e32 v21, v21, v13
	v_sub_u32_e32 v20, 30, v20
	v_and_b32_e32 v21, 3, v21
	v_cmp_eq_u16_e32 vcc, 0, v16
	v_cndmask_b32_e32 v12, v12, v21, vcc
	v_cndmask_b32_e32 v16, v16, v20, vcc
	v_lshlrev_b32_e32 v20, 24, v13
	v_mov_b32_e32 v21, 0x37800000
	v_lshlrev_b32_e32 v12, 21, v12
	v_and_b32_e32 v20, 0x80000000, v20
	v_lshl_add_u32 v16, v16, 23, v21
	v_or3_b32 v12, v20, v16, v12
.LBB1_3624:
	s_or_b64 exec, exec, s[6:7]
	s_nop 0
	v_mfma_f32_16x16x4f32 a[0:3], v3, v12, a[0:3]
	v_lshrrev_b32_e32 v12, 8, v17
	s_movk_i32 s4, 0x7f
	v_cmp_gt_i16_sdwa s[6:7], v12, s4 src0_sel:BYTE_0 src1_sel:DWORD
	s_mov_b64 s[4:5], 0
                                        ; implicit-def: $sgpr10
	s_and_saveexec_b64 s[8:9], s[6:7]
	s_xor_b64 s[6:7], exec, s[8:9]
	s_cbranch_execz .LBB1_3625
; %bb.17961:
	s_getpc_b64 s[14:15]
.Lpost_getpc4884:
	s_add_u32 s14, s14, (.LBB1_7721-.Lpost_getpc4884)&4294967295
	s_addc_u32 s15, s15, (.LBB1_7721-.Lpost_getpc4884)>>32
	s_setpc_b64 s[14:15]
.LBB1_3625:
	s_or_saveexec_b64 s[6:7], s[6:7]
	v_mov_b32_e32 v3, s10
	s_xor_b64 exec, exec, s[6:7]
	s_cbranch_execz .LBB1_3626
; %bb.17963:
	s_getpc_b64 s[14:15]
.Lpost_getpc4885:
	s_add_u32 s14, s14, (.LBB1_7724-.Lpost_getpc4885)&4294967295
	s_addc_u32 s15, s15, (.LBB1_7724-.Lpost_getpc4885)>>32
	s_setpc_b64 s[14:15]
.LBB1_3626:
	s_or_b64 exec, exec, s[6:7]
	s_and_saveexec_b64 s[6:7], s[4:5]
	s_cbranch_execz .LBB1_3628
.LBB1_3627:
	v_bfe_u32 v3, v17, 8, 3
	v_ffbh_u32_e32 v20, v3
	v_min_u32_e32 v20, 32, v20
	v_lshrrev_b16_e32 v16, 3, v12
	v_subrev_u32_e32 v21, 28, v20
	v_and_b32_e32 v16, 15, v16
	v_lshlrev_b32_e32 v12, v21, v12
	v_sub_u32_e32 v20, 29, v20
	v_and_b32_e32 v12, 7, v12
	v_cmp_eq_u16_e32 vcc, 0, v16
	v_cndmask_b32_e32 v3, v3, v12, vcc
	v_cndmask_b32_e32 v12, v16, v20, vcc
	v_lshlrev_b32_e32 v16, 16, v17
	v_mov_b32_e32 v20, 0x3b800000
	v_lshlrev_b32_e32 v3, 20, v3
	v_and_b32_e32 v16, 0x80000000, v16
	v_lshl_add_u32 v12, v12, 23, v20
	v_or3_b32 v3, v16, v12, v3
.LBB1_3628:
	s_or_b64 exec, exec, s[6:7]
	v_lshrrev_b32_e32 v12, 8, v13
	s_movk_i32 s4, 0x7f
	v_cmp_gt_i16_sdwa s[6:7], v12, s4 src0_sel:BYTE_0 src1_sel:DWORD
	s_mov_b64 s[4:5], 0
                                        ; implicit-def: $sgpr10
	s_and_saveexec_b64 s[8:9], s[6:7]
	s_xor_b64 s[6:7], exec, s[8:9]
	s_cbranch_execz .LBB1_3629
; %bb.17965:
	s_getpc_b64 s[14:15]
.Lpost_getpc4886:
	s_add_u32 s14, s14, (.LBB1_7725-.Lpost_getpc4886)&4294967295
	s_addc_u32 s15, s15, (.LBB1_7725-.Lpost_getpc4886)>>32
	s_setpc_b64 s[14:15]
.LBB1_3629:
	s_or_saveexec_b64 s[6:7], s[6:7]
	v_mov_b32_e32 v16, s10
	s_xor_b64 exec, exec, s[6:7]
	s_cbranch_execz .LBB1_3630
; %bb.17967:
	s_getpc_b64 s[14:15]
.Lpost_getpc4887:
	s_add_u32 s14, s14, (.LBB1_7728-.Lpost_getpc4887)&4294967295
	s_addc_u32 s15, s15, (.LBB1_7728-.Lpost_getpc4887)>>32
	s_setpc_b64 s[14:15]
.LBB1_3630:
	s_or_b64 exec, exec, s[6:7]
	s_and_saveexec_b64 s[6:7], s[4:5]
	s_cbranch_execz .LBB1_3632
.LBB1_3631:
	v_bfe_u32 v16, v13, 8, 2
	v_ffbh_u32_e32 v21, v16
	v_min_u32_e32 v21, 32, v21
	v_lshrrev_b16_e32 v20, 2, v12
	v_subrev_u32_e32 v22, 29, v21
	v_and_b32_e32 v20, 31, v20
	v_lshlrev_b32_e32 v12, v22, v12
	v_sub_u32_e32 v21, 30, v21
	v_and_b32_e32 v12, 3, v12
	v_cmp_eq_u16_e32 vcc, 0, v20
	v_cndmask_b32_e32 v12, v16, v12, vcc
	v_cndmask_b32_e32 v16, v20, v21, vcc
	v_lshlrev_b32_e32 v20, 16, v13
	v_mov_b32_e32 v21, 0x37800000
	v_lshlrev_b32_e32 v12, 21, v12
	v_and_b32_e32 v20, 0x80000000, v20
	v_lshl_add_u32 v16, v16, 23, v21
	v_or3_b32 v16, v20, v16, v12
.LBB1_3632:
	s_or_b64 exec, exec, s[6:7]
	s_nop 0
	v_mfma_f32_16x16x4f32 a[0:3], v3, v16, a[0:3]
	s_movk_i32 s4, 0xff
	v_and_b32_sdwa v12, v17, s4 dst_sel:DWORD dst_unused:UNUSED_PAD src0_sel:WORD_1 src1_sel:DWORD
	s_movk_i32 s4, 0x7f
	v_cmp_lt_i16_e32 vcc, s4, v12
	s_mov_b64 s[4:5], 0
                                        ; implicit-def: $sgpr10
	s_and_saveexec_b64 s[6:7], vcc
	s_xor_b64 s[6:7], exec, s[6:7]
	s_cbranch_execz .LBB1_3633
; %bb.17969:
	s_getpc_b64 s[14:15]
.Lpost_getpc4888:
	s_add_u32 s14, s14, (.LBB1_7729-.Lpost_getpc4888)&4294967295
	s_addc_u32 s15, s15, (.LBB1_7729-.Lpost_getpc4888)>>32
	s_setpc_b64 s[14:15]
.LBB1_3633:
	s_or_saveexec_b64 s[6:7], s[6:7]
	v_mov_b32_e32 v3, s10
	s_xor_b64 exec, exec, s[6:7]
	s_cbranch_execz .LBB1_3634
; %bb.17971:
	s_getpc_b64 s[14:15]
.Lpost_getpc4889:
	s_add_u32 s14, s14, (.LBB1_7732-.Lpost_getpc4889)&4294967295
	s_addc_u32 s15, s15, (.LBB1_7732-.Lpost_getpc4889)>>32
	s_setpc_b64 s[14:15]
.LBB1_3634:
	s_or_b64 exec, exec, s[6:7]
	s_and_saveexec_b64 s[6:7], s[4:5]
	s_cbranch_execz .LBB1_3636
.LBB1_3635:
	v_bfe_u32 v3, v17, 16, 3
	v_ffbh_u32_e32 v20, v3
	v_min_u32_e32 v20, 32, v20
	v_lshrrev_b32_e32 v12, 19, v17
	v_subrev_u32_e32 v21, 28, v20
	v_and_b32_e32 v12, 15, v12
	v_lshlrev_b32_sdwa v21, v21, v17 dst_sel:DWORD dst_unused:UNUSED_PAD src0_sel:DWORD src1_sel:WORD_1
	v_bfe_u32 v16, v17, 19, 4
	v_sub_u32_e32 v20, 29, v20
	v_and_b32_e32 v21, 7, v21
	v_cmp_eq_u16_e32 vcc, 0, v12
	v_cndmask_b32_e32 v3, v3, v21, vcc
	v_cndmask_b32_e32 v12, v16, v20, vcc
	v_lshlrev_b32_e32 v16, 8, v17
	v_mov_b32_e32 v20, 0x3b800000
	v_lshlrev_b32_e32 v3, 20, v3
	v_and_b32_e32 v16, 0x80000000, v16
	v_lshl_add_u32 v12, v12, 23, v20
	v_or3_b32 v3, v16, v12, v3
.LBB1_3636:
	s_or_b64 exec, exec, s[6:7]
	s_movk_i32 s4, 0xff
	v_and_b32_sdwa v12, v13, s4 dst_sel:DWORD dst_unused:UNUSED_PAD src0_sel:WORD_1 src1_sel:DWORD
	s_movk_i32 s4, 0x7f
	v_cmp_lt_i16_e32 vcc, s4, v12
	s_mov_b64 s[4:5], 0
                                        ; implicit-def: $sgpr10
	s_and_saveexec_b64 s[6:7], vcc
	s_xor_b64 s[6:7], exec, s[6:7]
	s_cbranch_execz .LBB1_3637
; %bb.17973:
	s_getpc_b64 s[14:15]
.Lpost_getpc4890:
	s_add_u32 s14, s14, (.LBB1_7733-.Lpost_getpc4890)&4294967295
	s_addc_u32 s15, s15, (.LBB1_7733-.Lpost_getpc4890)>>32
	s_setpc_b64 s[14:15]
.LBB1_3637:
	s_or_saveexec_b64 s[6:7], s[6:7]
	v_mov_b32_e32 v16, s10
	s_xor_b64 exec, exec, s[6:7]
	s_cbranch_execz .LBB1_3638
; %bb.17975:
	s_getpc_b64 s[14:15]
.Lpost_getpc4891:
	s_add_u32 s14, s14, (.LBB1_7736-.Lpost_getpc4891)&4294967295
	s_addc_u32 s15, s15, (.LBB1_7736-.Lpost_getpc4891)>>32
	s_setpc_b64 s[14:15]
.LBB1_3638:
	s_or_b64 exec, exec, s[6:7]
	s_and_saveexec_b64 s[6:7], s[4:5]
	s_cbranch_execz .LBB1_3640
.LBB1_3639:
	v_bfe_u32 v12, v13, 16, 2
	v_ffbh_u32_e32 v21, v12
	v_min_u32_e32 v21, 32, v21
	v_lshrrev_b32_e32 v16, 18, v13
	v_subrev_u32_e32 v22, 29, v21
	v_and_b32_e32 v16, 31, v16
	v_lshlrev_b32_sdwa v22, v22, v13 dst_sel:DWORD dst_unused:UNUSED_PAD src0_sel:DWORD src1_sel:WORD_1
	v_bfe_u32 v20, v13, 18, 5
	v_sub_u32_e32 v21, 30, v21
	v_and_b32_e32 v22, 3, v22
	v_cmp_eq_u16_e32 vcc, 0, v16
	v_cndmask_b32_e32 v12, v12, v22, vcc
	v_cndmask_b32_e32 v16, v20, v21, vcc
	v_lshlrev_b32_e32 v20, 8, v13
	v_mov_b32_e32 v21, 0x37800000
	v_lshlrev_b32_e32 v12, 21, v12
	v_and_b32_e32 v20, 0x80000000, v20
	v_lshl_add_u32 v16, v16, 23, v21
	v_or3_b32 v16, v20, v16, v12
.LBB1_3640:
	s_or_b64 exec, exec, s[6:7]
	s_nop 0
	v_mfma_f32_16x16x4f32 a[0:3], v3, v16, a[0:3]
	s_movk_i32 s4, 0x7f
	v_cmp_gt_i16_sdwa s[6:7], v17, s4 src0_sel:BYTE_3 src1_sel:DWORD
	s_mov_b64 s[4:5], 0
                                        ; implicit-def: $sgpr10
	s_and_saveexec_b64 s[8:9], s[6:7]
	s_xor_b64 s[6:7], exec, s[8:9]
	s_cbranch_execz .LBB1_3641
; %bb.17977:
	s_getpc_b64 s[14:15]
.Lpost_getpc4892:
	s_add_u32 s14, s14, (.LBB1_7737-.Lpost_getpc4892)&4294967295
	s_addc_u32 s15, s15, (.LBB1_7737-.Lpost_getpc4892)>>32
	s_setpc_b64 s[14:15]
.LBB1_3641:
	s_or_saveexec_b64 s[6:7], s[6:7]
	v_mov_b32_e32 v3, s10
	s_xor_b64 exec, exec, s[6:7]
	s_cbranch_execz .LBB1_3642
; %bb.17979:
	s_getpc_b64 s[14:15]
.Lpost_getpc4893:
	s_add_u32 s14, s14, (.LBB1_7740-.Lpost_getpc4893)&4294967295
	s_addc_u32 s15, s15, (.LBB1_7740-.Lpost_getpc4893)>>32
	s_setpc_b64 s[14:15]
.LBB1_3642:
	s_or_b64 exec, exec, s[6:7]
	s_and_saveexec_b64 s[6:7], s[4:5]
	s_cbranch_execz .LBB1_3644
.LBB1_3643:
	v_bfe_u32 v3, v17, 24, 3
	v_ffbh_u32_e32 v21, v3
	v_min_u32_e32 v21, 32, v21
	v_lshrrev_b32_e32 v16, 27, v17
	v_subrev_u32_e32 v22, 28, v21
	v_and_b32_e32 v12, 0x80000000, v17
	v_and_b32_e32 v16, 15, v16
	v_bfe_u32 v20, v17, 27, 4
	v_lshlrev_b32_sdwa v17, v22, v17 dst_sel:DWORD dst_unused:UNUSED_PAD src0_sel:DWORD src1_sel:BYTE_3
	v_sub_u32_e32 v21, 29, v21
	v_and_b32_e32 v17, 7, v17
	v_cmp_eq_u16_e32 vcc, 0, v16
	v_cndmask_b32_e32 v3, v3, v17, vcc
	v_cndmask_b32_e32 v16, v20, v21, vcc
	v_mov_b32_e32 v17, 0x3b800000
	v_lshlrev_b32_e32 v3, 20, v3
	v_lshl_add_u32 v16, v16, 23, v17
	v_or3_b32 v3, v12, v16, v3
.LBB1_3644:
	s_or_b64 exec, exec, s[6:7]
	s_movk_i32 s4, 0x7f
	v_cmp_gt_i16_sdwa s[6:7], v13, s4 src0_sel:BYTE_3 src1_sel:DWORD
	s_mov_b64 s[4:5], 0
                                        ; implicit-def: $sgpr10
	s_and_saveexec_b64 s[8:9], s[6:7]
	s_xor_b64 s[6:7], exec, s[8:9]
	s_cbranch_execz .LBB1_3645
; %bb.17981:
	s_getpc_b64 s[14:15]
.Lpost_getpc4894:
	s_add_u32 s14, s14, (.LBB1_7741-.Lpost_getpc4894)&4294967295
	s_addc_u32 s15, s15, (.LBB1_7741-.Lpost_getpc4894)>>32
	s_setpc_b64 s[14:15]
.LBB1_3645:
	s_or_saveexec_b64 s[6:7], s[6:7]
	v_mov_b32_e32 v12, s10
	s_xor_b64 exec, exec, s[6:7]
	s_cbranch_execz .LBB1_3646
; %bb.17983:
	s_getpc_b64 s[14:15]
.Lpost_getpc4895:
	s_add_u32 s14, s14, (.LBB1_7744-.Lpost_getpc4895)&4294967295
	s_addc_u32 s15, s15, (.LBB1_7744-.Lpost_getpc4895)>>32
	s_setpc_b64 s[14:15]
.LBB1_3646:
	s_or_b64 exec, exec, s[6:7]
	s_and_saveexec_b64 s[6:7], s[4:5]
	s_cbranch_execz .LBB1_3648
.LBB1_3647:
	v_bfe_u32 v12, v13, 24, 2
	v_ffbh_u32_e32 v21, v12
	v_min_u32_e32 v21, 32, v21
	v_lshrrev_b32_e32 v17, 26, v13
	v_subrev_u32_e32 v22, 29, v21
	v_and_b32_e32 v16, 0x80000000, v13
	v_and_b32_e32 v17, 31, v17
	v_bfe_u32 v20, v13, 26, 5
	v_lshlrev_b32_sdwa v13, v22, v13 dst_sel:DWORD dst_unused:UNUSED_PAD src0_sel:DWORD src1_sel:BYTE_3
	v_sub_u32_e32 v21, 30, v21
	v_and_b32_e32 v13, 3, v13
	v_cmp_eq_u16_e32 vcc, 0, v17
	v_cndmask_b32_e32 v12, v12, v13, vcc
	v_cndmask_b32_e32 v13, v20, v21, vcc
	v_mov_b32_e32 v17, 0x37800000
	v_lshlrev_b32_e32 v12, 21, v12
	v_lshl_add_u32 v13, v13, 23, v17
	v_or3_b32 v12, v16, v13, v12
.LBB1_3648:
	s_or_b64 exec, exec, s[6:7]
	s_nop 0
	v_mfma_f32_16x16x4f32 a[0:3], v3, v12, a[0:3]
	s_movk_i32 s4, 0x7f
	v_cmp_gt_i16_sdwa s[6:7], v18, s4 src0_sel:BYTE_0 src1_sel:DWORD
	s_mov_b64 s[4:5], 0
                                        ; implicit-def: $sgpr10
	s_and_saveexec_b64 s[8:9], s[6:7]
	s_xor_b64 s[6:7], exec, s[8:9]
	s_cbranch_execz .LBB1_3649
; %bb.17985:
	s_getpc_b64 s[14:15]
.Lpost_getpc4896:
	s_add_u32 s14, s14, (.LBB1_7745-.Lpost_getpc4896)&4294967295
	s_addc_u32 s15, s15, (.LBB1_7745-.Lpost_getpc4896)>>32
	s_setpc_b64 s[14:15]
.LBB1_3649:
	s_or_saveexec_b64 s[6:7], s[6:7]
	v_mov_b32_e32 v3, s10
	s_xor_b64 exec, exec, s[6:7]
	s_cbranch_execz .LBB1_3650
; %bb.17987:
	s_getpc_b64 s[14:15]
.Lpost_getpc4897:
	s_add_u32 s14, s14, (.LBB1_7748-.Lpost_getpc4897)&4294967295
	s_addc_u32 s15, s15, (.LBB1_7748-.Lpost_getpc4897)>>32
	s_setpc_b64 s[14:15]
.LBB1_3650:
	s_or_b64 exec, exec, s[6:7]
	s_and_saveexec_b64 s[6:7], s[4:5]
	s_cbranch_execz .LBB1_3652
.LBB1_3651:
	v_and_b32_e32 v3, 7, v18
	v_ffbh_u32_e32 v13, v3
	v_min_u32_e32 v13, 32, v13
	v_lshrrev_b16_e32 v12, 3, v18
	v_subrev_u32_e32 v16, 28, v13
	v_and_b32_e32 v12, 15, v12
	v_lshlrev_b32_e32 v16, v16, v18
	v_sub_u32_e32 v13, 29, v13
	v_and_b32_e32 v16, 7, v16
	v_cmp_eq_u16_e32 vcc, 0, v12
	v_cndmask_b32_e32 v3, v3, v16, vcc
	v_cndmask_b32_e32 v12, v12, v13, vcc
	v_lshlrev_b32_e32 v13, 24, v18
	v_mov_b32_e32 v16, 0x3b800000
	v_lshlrev_b32_e32 v3, 20, v3
	v_and_b32_e32 v13, 0x80000000, v13
	v_lshl_add_u32 v12, v12, 23, v16
	v_or3_b32 v3, v13, v12, v3
.LBB1_3652:
	s_or_b64 exec, exec, s[6:7]
	s_movk_i32 s4, 0xff
	v_or_b32_sdwa v12, v14, v2 dst_sel:DWORD dst_unused:UNUSED_PAD src0_sel:BYTE_0 src1_sel:DWORD
	v_mov_b32_e32 v2, 8
	v_lshlrev_b16_sdwa v2, v2, v14 dst_sel:DWORD dst_unused:UNUSED_PAD src0_sel:DWORD src1_sel:BYTE_3
	v_and_b32_sdwa v13, v14, s4 dst_sel:DWORD dst_unused:UNUSED_PAD src0_sel:WORD_1 src1_sel:DWORD
	s_movk_i32 s4, 0x7f
	v_or_b32_sdwa v2, v13, v2 dst_sel:WORD_1 dst_unused:UNUSED_PAD src0_sel:DWORD src1_sel:DWORD
	v_cmp_gt_i16_sdwa s[6:7], v12, s4 src0_sel:BYTE_0 src1_sel:DWORD
	s_mov_b64 s[4:5], 0
                                        ; implicit-def: $sgpr10
	s_and_saveexec_b64 s[8:9], s[6:7]
	s_xor_b64 s[6:7], exec, s[8:9]
	s_cbranch_execz .LBB1_3653
; %bb.17989:
	s_getpc_b64 s[14:15]
.Lpost_getpc4898:
	s_add_u32 s14, s14, (.LBB1_7749-.Lpost_getpc4898)&4294967295
	s_addc_u32 s15, s15, (.LBB1_7749-.Lpost_getpc4898)>>32
	s_setpc_b64 s[14:15]
.LBB1_3653:
	s_or_saveexec_b64 s[6:7], s[6:7]
	v_mov_b32_e32 v13, s10
	s_xor_b64 exec, exec, s[6:7]
	s_cbranch_execz .LBB1_3654
; %bb.17991:
	s_getpc_b64 s[14:15]
.Lpost_getpc4899:
	s_add_u32 s14, s14, (.LBB1_7752-.Lpost_getpc4899)&4294967295
	s_addc_u32 s15, s15, (.LBB1_7752-.Lpost_getpc4899)>>32
	s_setpc_b64 s[14:15]
.LBB1_3654:
	s_or_b64 exec, exec, s[6:7]
	v_or_b32_sdwa v2, v12, v2 dst_sel:DWORD dst_unused:UNUSED_PAD src0_sel:WORD_0 src1_sel:DWORD
	s_and_saveexec_b64 s[6:7], s[4:5]
	s_cbranch_execz .LBB1_3656
.LBB1_3655:
	v_and_b32_e32 v13, 3, v2
	v_ffbh_u32_e32 v14, v13
	v_min_u32_e32 v14, 32, v14
	v_lshrrev_b16_e32 v12, 2, v12
	v_subrev_u32_e32 v16, 29, v14
	v_and_b32_e32 v12, 31, v12
	v_lshlrev_b32_e32 v16, v16, v2
	v_sub_u32_e32 v14, 30, v14
	v_and_b32_e32 v16, 3, v16
	v_cmp_eq_u16_e32 vcc, 0, v12
	v_cndmask_b32_e32 v13, v13, v16, vcc
	v_cndmask_b32_e32 v12, v12, v14, vcc
	v_lshlrev_b32_e32 v14, 24, v2
	v_mov_b32_e32 v16, 0x37800000
	v_lshlrev_b32_e32 v13, 21, v13
	v_and_b32_e32 v14, 0x80000000, v14
	v_lshl_add_u32 v12, v12, 23, v16
	v_or3_b32 v13, v14, v12, v13
.LBB1_3656:
	s_or_b64 exec, exec, s[6:7]
	s_nop 0
	v_mfma_f32_16x16x4f32 a[0:3], v3, v13, a[0:3]
	v_lshrrev_b32_e32 v12, 8, v18
	s_movk_i32 s4, 0x7f
	v_cmp_gt_i16_sdwa s[6:7], v12, s4 src0_sel:BYTE_0 src1_sel:DWORD
	s_mov_b64 s[4:5], 0
                                        ; implicit-def: $sgpr10
	s_and_saveexec_b64 s[8:9], s[6:7]
	s_xor_b64 s[6:7], exec, s[8:9]
	s_cbranch_execz .LBB1_3657
; %bb.17993:
	s_getpc_b64 s[14:15]
.Lpost_getpc4900:
	s_add_u32 s14, s14, (.LBB1_7753-.Lpost_getpc4900)&4294967295
	s_addc_u32 s15, s15, (.LBB1_7753-.Lpost_getpc4900)>>32
	s_setpc_b64 s[14:15]
.LBB1_3657:
	s_or_saveexec_b64 s[6:7], s[6:7]
	v_mov_b32_e32 v3, s10
	s_xor_b64 exec, exec, s[6:7]
	s_cbranch_execz .LBB1_3658
; %bb.17995:
	s_getpc_b64 s[14:15]
.Lpost_getpc4901:
	s_add_u32 s14, s14, (.LBB1_7756-.Lpost_getpc4901)&4294967295
	s_addc_u32 s15, s15, (.LBB1_7756-.Lpost_getpc4901)>>32
	s_setpc_b64 s[14:15]
.LBB1_3658:
	s_or_b64 exec, exec, s[6:7]
	s_and_saveexec_b64 s[6:7], s[4:5]
	s_cbranch_execz .LBB1_3660
.LBB1_3659:
	v_bfe_u32 v3, v18, 8, 3
	v_ffbh_u32_e32 v14, v3
	v_min_u32_e32 v14, 32, v14
	v_lshrrev_b16_e32 v13, 3, v12
	v_subrev_u32_e32 v16, 28, v14
	v_and_b32_e32 v13, 15, v13
	v_lshlrev_b32_e32 v12, v16, v12
	v_sub_u32_e32 v14, 29, v14
	v_and_b32_e32 v12, 7, v12
	v_cmp_eq_u16_e32 vcc, 0, v13
	v_cndmask_b32_e32 v3, v3, v12, vcc
	v_cndmask_b32_e32 v12, v13, v14, vcc
	v_lshlrev_b32_e32 v13, 16, v18
	v_mov_b32_e32 v14, 0x3b800000
	v_lshlrev_b32_e32 v3, 20, v3
	v_and_b32_e32 v13, 0x80000000, v13
	v_lshl_add_u32 v12, v12, 23, v14
	v_or3_b32 v3, v13, v12, v3
.LBB1_3660:
	s_or_b64 exec, exec, s[6:7]
	v_lshrrev_b32_e32 v12, 8, v2
	s_movk_i32 s4, 0x7f
	v_cmp_gt_i16_sdwa s[6:7], v12, s4 src0_sel:BYTE_0 src1_sel:DWORD
	s_mov_b64 s[4:5], 0
                                        ; implicit-def: $sgpr10
	s_and_saveexec_b64 s[8:9], s[6:7]
	s_xor_b64 s[6:7], exec, s[8:9]
	s_cbranch_execz .LBB1_3661
; %bb.17997:
	s_getpc_b64 s[14:15]
.Lpost_getpc4902:
	s_add_u32 s14, s14, (.LBB1_7757-.Lpost_getpc4902)&4294967295
	s_addc_u32 s15, s15, (.LBB1_7757-.Lpost_getpc4902)>>32
	s_setpc_b64 s[14:15]
.LBB1_3661:
	s_or_saveexec_b64 s[6:7], s[6:7]
	v_mov_b32_e32 v13, s10
	s_xor_b64 exec, exec, s[6:7]
	s_cbranch_execz .LBB1_3662
; %bb.17999:
	s_getpc_b64 s[14:15]
.Lpost_getpc4903:
	s_add_u32 s14, s14, (.LBB1_7760-.Lpost_getpc4903)&4294967295
	s_addc_u32 s15, s15, (.LBB1_7760-.Lpost_getpc4903)>>32
	s_setpc_b64 s[14:15]
.LBB1_3662:
	s_or_b64 exec, exec, s[6:7]
	s_and_saveexec_b64 s[6:7], s[4:5]
	s_cbranch_execz .LBB1_3664
.LBB1_3663:
	v_bfe_u32 v13, v2, 8, 2
	v_ffbh_u32_e32 v16, v13
	v_min_u32_e32 v16, 32, v16
	v_lshrrev_b16_e32 v14, 2, v12
	v_subrev_u32_e32 v17, 29, v16
	v_and_b32_e32 v14, 31, v14
	v_lshlrev_b32_e32 v12, v17, v12
	v_sub_u32_e32 v16, 30, v16
	v_and_b32_e32 v12, 3, v12
	v_cmp_eq_u16_e32 vcc, 0, v14
	v_cndmask_b32_e32 v12, v13, v12, vcc
	v_cndmask_b32_e32 v13, v14, v16, vcc
	v_lshlrev_b32_e32 v14, 16, v2
	v_mov_b32_e32 v16, 0x37800000
	v_lshlrev_b32_e32 v12, 21, v12
	v_and_b32_e32 v14, 0x80000000, v14
	v_lshl_add_u32 v13, v13, 23, v16
	v_or3_b32 v13, v14, v13, v12
.LBB1_3664:
	s_or_b64 exec, exec, s[6:7]
	s_nop 0
	v_mfma_f32_16x16x4f32 a[0:3], v3, v13, a[0:3]
	s_movk_i32 s4, 0xff
	v_and_b32_sdwa v12, v18, s4 dst_sel:DWORD dst_unused:UNUSED_PAD src0_sel:WORD_1 src1_sel:DWORD
	s_movk_i32 s4, 0x7f
	v_cmp_lt_i16_e32 vcc, s4, v12
	s_mov_b64 s[4:5], 0
                                        ; implicit-def: $sgpr10
	s_and_saveexec_b64 s[6:7], vcc
	s_xor_b64 s[6:7], exec, s[6:7]
	s_cbranch_execz .LBB1_3665
; %bb.18001:
	s_getpc_b64 s[14:15]
.Lpost_getpc4904:
	s_add_u32 s14, s14, (.LBB1_7761-.Lpost_getpc4904)&4294967295
	s_addc_u32 s15, s15, (.LBB1_7761-.Lpost_getpc4904)>>32
	s_setpc_b64 s[14:15]
.LBB1_3665:
	s_or_saveexec_b64 s[6:7], s[6:7]
	v_mov_b32_e32 v3, s10
	s_xor_b64 exec, exec, s[6:7]
	s_cbranch_execz .LBB1_3666
; %bb.18003:
	s_getpc_b64 s[14:15]
.Lpost_getpc4905:
	s_add_u32 s14, s14, (.LBB1_7764-.Lpost_getpc4905)&4294967295
	s_addc_u32 s15, s15, (.LBB1_7764-.Lpost_getpc4905)>>32
	s_setpc_b64 s[14:15]
.LBB1_3666:
	s_or_b64 exec, exec, s[6:7]
	s_and_saveexec_b64 s[6:7], s[4:5]
	s_cbranch_execz .LBB1_3668
.LBB1_3667:
	v_bfe_u32 v3, v18, 16, 3
	v_ffbh_u32_e32 v14, v3
	v_min_u32_e32 v14, 32, v14
	v_lshrrev_b32_e32 v12, 19, v18
	v_subrev_u32_e32 v16, 28, v14
	v_and_b32_e32 v12, 15, v12
	v_lshlrev_b32_sdwa v16, v16, v18 dst_sel:DWORD dst_unused:UNUSED_PAD src0_sel:DWORD src1_sel:WORD_1
	v_bfe_u32 v13, v18, 19, 4
	v_sub_u32_e32 v14, 29, v14
	v_and_b32_e32 v16, 7, v16
	v_cmp_eq_u16_e32 vcc, 0, v12
	v_cndmask_b32_e32 v3, v3, v16, vcc
	v_cndmask_b32_e32 v12, v13, v14, vcc
	v_lshlrev_b32_e32 v13, 8, v18
	v_mov_b32_e32 v14, 0x3b800000
	v_lshlrev_b32_e32 v3, 20, v3
	v_and_b32_e32 v13, 0x80000000, v13
	v_lshl_add_u32 v12, v12, 23, v14
	v_or3_b32 v3, v13, v12, v3
.LBB1_3668:
	s_or_b64 exec, exec, s[6:7]
	s_movk_i32 s4, 0xff
	v_and_b32_sdwa v12, v2, s4 dst_sel:DWORD dst_unused:UNUSED_PAD src0_sel:WORD_1 src1_sel:DWORD
	s_movk_i32 s4, 0x7f
	v_cmp_lt_i16_e32 vcc, s4, v12
	s_mov_b64 s[4:5], 0
                                        ; implicit-def: $sgpr10
	s_and_saveexec_b64 s[6:7], vcc
	s_xor_b64 s[6:7], exec, s[6:7]
	s_cbranch_execz .LBB1_3669
; %bb.18005:
	s_getpc_b64 s[14:15]
.Lpost_getpc4906:
	s_add_u32 s14, s14, (.LBB1_7765-.Lpost_getpc4906)&4294967295
	s_addc_u32 s15, s15, (.LBB1_7765-.Lpost_getpc4906)>>32
	s_setpc_b64 s[14:15]
.LBB1_3669:
	s_or_saveexec_b64 s[6:7], s[6:7]
	v_mov_b32_e32 v13, s10
	s_xor_b64 exec, exec, s[6:7]
	s_cbranch_execz .LBB1_3670
; %bb.18007:
	s_getpc_b64 s[14:15]
.Lpost_getpc4907:
	s_add_u32 s14, s14, (.LBB1_7768-.Lpost_getpc4907)&4294967295
	s_addc_u32 s15, s15, (.LBB1_7768-.Lpost_getpc4907)>>32
	s_setpc_b64 s[14:15]
.LBB1_3670:
	s_or_b64 exec, exec, s[6:7]
	s_and_saveexec_b64 s[6:7], s[4:5]
	s_cbranch_execz .LBB1_3672
.LBB1_3671:
	v_bfe_u32 v12, v2, 16, 2
	v_ffbh_u32_e32 v16, v12
	v_min_u32_e32 v16, 32, v16
	v_lshrrev_b32_e32 v13, 18, v2
	v_subrev_u32_e32 v17, 29, v16
	v_and_b32_e32 v13, 31, v13
	v_lshlrev_b32_sdwa v17, v17, v2 dst_sel:DWORD dst_unused:UNUSED_PAD src0_sel:DWORD src1_sel:WORD_1
	v_bfe_u32 v14, v2, 18, 5
	v_sub_u32_e32 v16, 30, v16
	v_and_b32_e32 v17, 3, v17
	v_cmp_eq_u16_e32 vcc, 0, v13
	v_cndmask_b32_e32 v12, v12, v17, vcc
	v_cndmask_b32_e32 v13, v14, v16, vcc
	v_lshlrev_b32_e32 v14, 8, v2
	v_mov_b32_e32 v16, 0x37800000
	v_lshlrev_b32_e32 v12, 21, v12
	v_and_b32_e32 v14, 0x80000000, v14
	v_lshl_add_u32 v13, v13, 23, v16
	v_or3_b32 v13, v14, v13, v12
.LBB1_3672:
	s_or_b64 exec, exec, s[6:7]
	s_nop 0
	v_mfma_f32_16x16x4f32 a[0:3], v3, v13, a[0:3]
	s_movk_i32 s4, 0x7f
	v_cmp_gt_i16_sdwa s[6:7], v18, s4 src0_sel:BYTE_3 src1_sel:DWORD
	s_mov_b64 s[4:5], 0
                                        ; implicit-def: $sgpr10
	s_and_saveexec_b64 s[8:9], s[6:7]
	s_xor_b64 s[6:7], exec, s[8:9]
	s_cbranch_execz .LBB1_3673
; %bb.18009:
	s_getpc_b64 s[14:15]
.Lpost_getpc4908:
	s_add_u32 s14, s14, (.LBB1_7769-.Lpost_getpc4908)&4294967295
	s_addc_u32 s15, s15, (.LBB1_7769-.Lpost_getpc4908)>>32
	s_setpc_b64 s[14:15]
.LBB1_3673:
	s_or_saveexec_b64 s[6:7], s[6:7]
	v_mov_b32_e32 v3, s10
	s_xor_b64 exec, exec, s[6:7]
	s_cbranch_execz .LBB1_3674
; %bb.18011:
	s_getpc_b64 s[14:15]
.Lpost_getpc4909:
	s_add_u32 s14, s14, (.LBB1_7772-.Lpost_getpc4909)&4294967295
	s_addc_u32 s15, s15, (.LBB1_7772-.Lpost_getpc4909)>>32
	s_setpc_b64 s[14:15]
.LBB1_3674:
	s_or_b64 exec, exec, s[6:7]
	s_and_saveexec_b64 s[6:7], s[4:5]
	s_cbranch_execz .LBB1_3676
.LBB1_3675:
	v_bfe_u32 v3, v18, 24, 3
	v_ffbh_u32_e32 v16, v3
	v_min_u32_e32 v16, 32, v16
	v_lshrrev_b32_e32 v13, 27, v18
	v_subrev_u32_e32 v17, 28, v16
	v_and_b32_e32 v13, 15, v13
	v_lshlrev_b32_sdwa v17, v17, v18 dst_sel:DWORD dst_unused:UNUSED_PAD src0_sel:DWORD src1_sel:BYTE_3
	v_bfe_u32 v14, v18, 27, 4
	v_sub_u32_e32 v16, 29, v16
	v_and_b32_e32 v17, 7, v17
	v_cmp_eq_u16_e32 vcc, 0, v13
	v_cndmask_b32_e32 v3, v3, v17, vcc
	v_cndmask_b32_e32 v13, v14, v16, vcc
	v_mov_b32_e32 v14, 0x3b800000
	v_and_b32_e32 v12, 0x80000000, v18
	v_lshlrev_b32_e32 v3, 20, v3
	v_lshl_add_u32 v13, v13, 23, v14
	v_or3_b32 v3, v12, v13, v3
.LBB1_3676:
	s_or_b64 exec, exec, s[6:7]
	s_movk_i32 s4, 0x7f
	v_cmp_gt_i16_sdwa s[6:7], v2, s4 src0_sel:BYTE_3 src1_sel:DWORD
	s_mov_b64 s[4:5], 0
                                        ; implicit-def: $sgpr10
	s_and_saveexec_b64 s[8:9], s[6:7]
	s_xor_b64 s[6:7], exec, s[8:9]
	s_cbranch_execz .LBB1_3677
; %bb.18013:
	s_getpc_b64 s[14:15]
.Lpost_getpc4910:
	s_add_u32 s14, s14, (.LBB1_7773-.Lpost_getpc4910)&4294967295
	s_addc_u32 s15, s15, (.LBB1_7773-.Lpost_getpc4910)>>32
	s_setpc_b64 s[14:15]
.LBB1_3677:
	s_or_saveexec_b64 s[6:7], s[6:7]
	v_mov_b32_e32 v12, s10
	s_xor_b64 exec, exec, s[6:7]
	s_cbranch_execz .LBB1_3678
; %bb.18015:
	s_getpc_b64 s[14:15]
.Lpost_getpc4911:
	s_add_u32 s14, s14, (.LBB1_7776-.Lpost_getpc4911)&4294967295
	s_addc_u32 s15, s15, (.LBB1_7776-.Lpost_getpc4911)>>32
	s_setpc_b64 s[14:15]
.LBB1_3678:
	s_or_b64 exec, exec, s[6:7]
	s_and_saveexec_b64 s[6:7], s[4:5]
	s_cbranch_execz .LBB1_3680
.LBB1_3679:
	v_bfe_u32 v12, v2, 24, 2
	v_ffbh_u32_e32 v17, v12
	v_min_u32_e32 v17, 32, v17
	v_lshrrev_b32_e32 v14, 26, v2
	v_subrev_u32_e32 v18, 29, v17
	v_and_b32_e32 v13, 0x80000000, v2
	v_and_b32_e32 v14, 31, v14
	v_bfe_u32 v16, v2, 26, 5
	v_lshlrev_b32_sdwa v2, v18, v2 dst_sel:DWORD dst_unused:UNUSED_PAD src0_sel:DWORD src1_sel:BYTE_3
	v_sub_u32_e32 v17, 30, v17
	v_and_b32_e32 v2, 3, v2
	v_cmp_eq_u16_e32 vcc, 0, v14
	v_cndmask_b32_e32 v2, v12, v2, vcc
	v_cndmask_b32_e32 v12, v16, v17, vcc
	v_mov_b32_e32 v14, 0x37800000
	v_lshlrev_b32_e32 v2, 21, v2
	v_lshl_add_u32 v12, v12, 23, v14
	v_or3_b32 v12, v13, v12, v2
.LBB1_3680:
	s_or_b64 exec, exec, s[6:7]
	s_nop 0
	v_mfma_f32_16x16x4f32 a[0:3], v3, v12, a[0:3]
	s_movk_i32 s4, 0x7f
	v_cmp_gt_i16_sdwa s[6:7], v19, s4 src0_sel:BYTE_0 src1_sel:DWORD
	s_mov_b64 s[4:5], 0
                                        ; implicit-def: $sgpr10
	s_and_saveexec_b64 s[8:9], s[6:7]
	s_xor_b64 s[6:7], exec, s[8:9]
	s_cbranch_execz .LBB1_3681
; %bb.18017:
	s_getpc_b64 s[14:15]
.Lpost_getpc4912:
	s_add_u32 s14, s14, (.LBB1_7777-.Lpost_getpc4912)&4294967295
	s_addc_u32 s15, s15, (.LBB1_7777-.Lpost_getpc4912)>>32
	s_setpc_b64 s[14:15]
.LBB1_3681:
	s_or_saveexec_b64 s[6:7], s[6:7]
	v_mov_b32_e32 v2, s10
	s_xor_b64 exec, exec, s[6:7]
	s_cbranch_execz .LBB1_3682
; %bb.18019:
	s_getpc_b64 s[14:15]
.Lpost_getpc4913:
	s_add_u32 s14, s14, (.LBB1_7780-.Lpost_getpc4913)&4294967295
	s_addc_u32 s15, s15, (.LBB1_7780-.Lpost_getpc4913)>>32
	s_setpc_b64 s[14:15]
.LBB1_3682:
	s_or_b64 exec, exec, s[6:7]
	s_and_saveexec_b64 s[6:7], s[4:5]
	s_cbranch_execz .LBB1_3684
.LBB1_3683:
	v_mov_b32_e32 v2, 8
	v_and_b32_e32 v3, 7, v19
	v_lshrrev_b32_sdwa v2, v2, v19 dst_sel:BYTE_1 dst_unused:UNUSED_PAD src0_sel:DWORD src1_sel:DWORD
	v_ffbh_u32_e32 v12, v3
	v_or_b32_sdwa v2, v19, v2 dst_sel:DWORD dst_unused:UNUSED_PAD src0_sel:BYTE_0 src1_sel:DWORD
	v_min_u32_e32 v12, 32, v12
	v_lshrrev_b16_e32 v2, 3, v2
	v_subrev_u32_e32 v13, 28, v12
	v_and_b32_e32 v2, 15, v2
	v_lshlrev_b32_e32 v13, v13, v19
	v_sub_u32_e32 v12, 29, v12
	v_and_b32_e32 v13, 7, v13
	v_cmp_eq_u16_e32 vcc, 0, v2
	v_cndmask_b32_e32 v3, v3, v13, vcc
	v_cndmask_b32_e32 v2, v2, v12, vcc
	v_lshlrev_b32_e32 v12, 24, v19
	v_mov_b32_e32 v13, 0x3b800000
	v_lshlrev_b32_e32 v3, 20, v3
	v_and_b32_e32 v12, 0x80000000, v12
	v_lshl_add_u32 v2, v2, 23, v13
	v_or3_b32 v2, v12, v2, v3
.LBB1_3684:
	s_or_b64 exec, exec, s[6:7]
	s_movk_i32 s4, 0x7f
	v_cmp_gt_i16_sdwa s[6:7], v15, s4 src0_sel:BYTE_0 src1_sel:DWORD
	s_mov_b64 s[4:5], 0
                                        ; implicit-def: $sgpr10
	s_and_saveexec_b64 s[8:9], s[6:7]
	s_xor_b64 s[6:7], exec, s[8:9]
	s_cbranch_execz .LBB1_3685
; %bb.18021:
	s_getpc_b64 s[14:15]
.Lpost_getpc4914:
	s_add_u32 s14, s14, (.LBB1_7781-.Lpost_getpc4914)&4294967295
	s_addc_u32 s15, s15, (.LBB1_7781-.Lpost_getpc4914)>>32
	s_setpc_b64 s[14:15]
.LBB1_3685:
	s_or_saveexec_b64 s[6:7], s[6:7]
	v_mov_b32_e32 v3, s10
	s_xor_b64 exec, exec, s[6:7]
	s_cbranch_execz .LBB1_3686
; %bb.18023:
	s_getpc_b64 s[14:15]
.Lpost_getpc4915:
	s_add_u32 s14, s14, (.LBB1_7784-.Lpost_getpc4915)&4294967295
	s_addc_u32 s15, s15, (.LBB1_7784-.Lpost_getpc4915)>>32
	s_setpc_b64 s[14:15]
.LBB1_3686:
	s_or_b64 exec, exec, s[6:7]
	s_and_saveexec_b64 s[6:7], s[4:5]
	s_cbranch_execz .LBB1_3688
.LBB1_3687:
	v_and_b32_e32 v3, 3, v15
	v_ffbh_u32_e32 v13, v3
	v_min_u32_e32 v13, 32, v13
	v_lshrrev_b16_e32 v12, 2, v15
	v_subrev_u32_e32 v14, 29, v13
	v_and_b32_e32 v12, 31, v12
	v_lshlrev_b32_e32 v14, v14, v15
	v_sub_u32_e32 v13, 30, v13
	v_and_b32_e32 v14, 3, v14
	v_cmp_eq_u16_e32 vcc, 0, v12
	v_cndmask_b32_e32 v3, v3, v14, vcc
	v_cndmask_b32_e32 v12, v12, v13, vcc
	v_lshlrev_b32_e32 v13, 24, v15
	v_mov_b32_e32 v14, 0x37800000
	v_lshlrev_b32_e32 v3, 21, v3
	v_and_b32_e32 v13, 0x80000000, v13
	v_lshl_add_u32 v12, v12, 23, v14
	v_or3_b32 v3, v13, v12, v3
.LBB1_3688:
	s_or_b64 exec, exec, s[6:7]
	s_nop 0
	v_mfma_f32_16x16x4f32 a[0:3], v2, v3, a[0:3]
	v_lshrrev_b32_e32 v3, 8, v19
	s_movk_i32 s4, 0x7f
	v_cmp_gt_i16_sdwa s[6:7], v3, s4 src0_sel:BYTE_0 src1_sel:DWORD
	s_mov_b64 s[4:5], 0
                                        ; implicit-def: $sgpr10
	s_and_saveexec_b64 s[8:9], s[6:7]
	s_xor_b64 s[6:7], exec, s[8:9]
	s_cbranch_execz .LBB1_3689
; %bb.18025:
	s_getpc_b64 s[14:15]
.Lpost_getpc4916:
	s_add_u32 s14, s14, (.LBB1_7785-.Lpost_getpc4916)&4294967295
	s_addc_u32 s15, s15, (.LBB1_7785-.Lpost_getpc4916)>>32
	s_setpc_b64 s[14:15]
.LBB1_3689:
	s_or_saveexec_b64 s[6:7], s[6:7]
	v_mov_b32_e32 v2, s10
	s_xor_b64 exec, exec, s[6:7]
	s_cbranch_execz .LBB1_3690
; %bb.18027:
	s_getpc_b64 s[14:15]
.Lpost_getpc4917:
	s_add_u32 s14, s14, (.LBB1_7788-.Lpost_getpc4917)&4294967295
	s_addc_u32 s15, s15, (.LBB1_7788-.Lpost_getpc4917)>>32
	s_setpc_b64 s[14:15]
.LBB1_3690:
	s_or_b64 exec, exec, s[6:7]
	s_and_saveexec_b64 s[6:7], s[4:5]
	s_cbranch_execz .LBB1_3692
.LBB1_3691:
	v_bfe_u32 v2, v19, 8, 3
	v_ffbh_u32_e32 v13, v2
	v_min_u32_e32 v13, 32, v13
	v_lshrrev_b16_e32 v12, 3, v3
	v_subrev_u32_e32 v14, 28, v13
	v_and_b32_e32 v12, 15, v12
	v_lshlrev_b32_e32 v3, v14, v3
	v_sub_u32_e32 v13, 29, v13
	v_and_b32_e32 v3, 7, v3
	v_cmp_eq_u16_e32 vcc, 0, v12
	v_cndmask_b32_e32 v2, v2, v3, vcc
	v_cndmask_b32_e32 v3, v12, v13, vcc
	v_lshlrev_b32_e32 v12, 16, v19
	v_mov_b32_e32 v13, 0x3b800000
	v_lshlrev_b32_e32 v2, 20, v2
	v_and_b32_e32 v12, 0x80000000, v12
	v_lshl_add_u32 v3, v3, 23, v13
	v_or3_b32 v2, v12, v3, v2
.LBB1_3692:
	s_or_b64 exec, exec, s[6:7]
	v_lshrrev_b32_e32 v3, 8, v15
	s_movk_i32 s4, 0x7f
	v_cmp_gt_i16_sdwa s[6:7], v3, s4 src0_sel:BYTE_0 src1_sel:DWORD
	s_mov_b64 s[4:5], 0
                                        ; implicit-def: $sgpr10
	s_and_saveexec_b64 s[8:9], s[6:7]
	s_xor_b64 s[6:7], exec, s[8:9]
	s_cbranch_execz .LBB1_3693
; %bb.18029:
	s_getpc_b64 s[14:15]
.Lpost_getpc4918:
	s_add_u32 s14, s14, (.LBB1_7789-.Lpost_getpc4918)&4294967295
	s_addc_u32 s15, s15, (.LBB1_7789-.Lpost_getpc4918)>>32
	s_setpc_b64 s[14:15]
.LBB1_3693:
	s_or_saveexec_b64 s[6:7], s[6:7]
	v_mov_b32_e32 v12, s10
	s_xor_b64 exec, exec, s[6:7]
	s_cbranch_execz .LBB1_3694
; %bb.18031:
	s_getpc_b64 s[14:15]
.Lpost_getpc4919:
	s_add_u32 s14, s14, (.LBB1_7792-.Lpost_getpc4919)&4294967295
	s_addc_u32 s15, s15, (.LBB1_7792-.Lpost_getpc4919)>>32
	s_setpc_b64 s[14:15]
.LBB1_3694:
	s_or_b64 exec, exec, s[6:7]
	s_and_saveexec_b64 s[6:7], s[4:5]
	s_cbranch_execz .LBB1_3696
.LBB1_3695:
	v_bfe_u32 v12, v15, 8, 2
	v_ffbh_u32_e32 v14, v12
	v_min_u32_e32 v14, 32, v14
	v_lshrrev_b16_e32 v13, 2, v3
	v_subrev_u32_e32 v16, 29, v14
	v_and_b32_e32 v13, 31, v13
	v_lshlrev_b32_e32 v3, v16, v3
	v_sub_u32_e32 v14, 30, v14
	v_and_b32_e32 v3, 3, v3
	v_cmp_eq_u16_e32 vcc, 0, v13
	v_cndmask_b32_e32 v3, v12, v3, vcc
	v_cndmask_b32_e32 v12, v13, v14, vcc
	v_lshlrev_b32_e32 v13, 16, v15
	v_mov_b32_e32 v14, 0x37800000
	v_lshlrev_b32_e32 v3, 21, v3
	v_and_b32_e32 v13, 0x80000000, v13
	v_lshl_add_u32 v12, v12, 23, v14
	v_or3_b32 v12, v13, v12, v3
.LBB1_3696:
	s_or_b64 exec, exec, s[6:7]
	s_nop 0
	v_mfma_f32_16x16x4f32 a[0:3], v2, v12, a[0:3]
	s_movk_i32 s4, 0xff
	v_and_b32_sdwa v3, v19, s4 dst_sel:DWORD dst_unused:UNUSED_PAD src0_sel:WORD_1 src1_sel:DWORD
	s_movk_i32 s4, 0x7f
	v_cmp_lt_i16_e32 vcc, s4, v3
	s_mov_b64 s[4:5], 0
                                        ; implicit-def: $sgpr10
	s_and_saveexec_b64 s[6:7], vcc
	s_xor_b64 s[6:7], exec, s[6:7]
	s_cbranch_execz .LBB1_3697
; %bb.18033:
	s_getpc_b64 s[14:15]
.Lpost_getpc4920:
	s_add_u32 s14, s14, (.LBB1_7793-.Lpost_getpc4920)&4294967295
	s_addc_u32 s15, s15, (.LBB1_7793-.Lpost_getpc4920)>>32
	s_setpc_b64 s[14:15]
.LBB1_3697:
	s_or_saveexec_b64 s[6:7], s[6:7]
	v_mov_b32_e32 v2, s10
	s_xor_b64 exec, exec, s[6:7]
	s_cbranch_execz .LBB1_3698
; %bb.18035:
	s_getpc_b64 s[14:15]
.Lpost_getpc4921:
	s_add_u32 s14, s14, (.LBB1_7796-.Lpost_getpc4921)&4294967295
	s_addc_u32 s15, s15, (.LBB1_7796-.Lpost_getpc4921)>>32
	s_setpc_b64 s[14:15]
.LBB1_3698:
	s_or_b64 exec, exec, s[6:7]
	s_and_saveexec_b64 s[6:7], s[4:5]
	s_cbranch_execz .LBB1_3700
.LBB1_3699:
	v_bfe_u32 v2, v19, 16, 3
	v_ffbh_u32_e32 v13, v2
	v_min_u32_e32 v13, 32, v13
	v_lshrrev_b32_e32 v3, 19, v19
	v_subrev_u32_e32 v14, 28, v13
	v_and_b32_e32 v3, 15, v3
	v_lshlrev_b32_sdwa v14, v14, v19 dst_sel:DWORD dst_unused:UNUSED_PAD src0_sel:DWORD src1_sel:WORD_1
	v_bfe_u32 v12, v19, 19, 4
	v_sub_u32_e32 v13, 29, v13
	v_and_b32_e32 v14, 7, v14
	v_cmp_eq_u16_e32 vcc, 0, v3
	v_cndmask_b32_e32 v2, v2, v14, vcc
	v_cndmask_b32_e32 v3, v12, v13, vcc
	v_lshlrev_b32_e32 v12, 8, v19
	v_mov_b32_e32 v13, 0x3b800000
	v_lshlrev_b32_e32 v2, 20, v2
	v_and_b32_e32 v12, 0x80000000, v12
	v_lshl_add_u32 v3, v3, 23, v13
	v_or3_b32 v2, v12, v3, v2
.LBB1_3700:
	s_or_b64 exec, exec, s[6:7]
	s_movk_i32 s4, 0xff
	v_and_b32_sdwa v3, v15, s4 dst_sel:DWORD dst_unused:UNUSED_PAD src0_sel:WORD_1 src1_sel:DWORD
	s_movk_i32 s4, 0x7f
	v_cmp_lt_i16_e32 vcc, s4, v3
	s_mov_b64 s[4:5], 0
                                        ; implicit-def: $sgpr10
	s_and_saveexec_b64 s[6:7], vcc
	s_xor_b64 s[6:7], exec, s[6:7]
	s_cbranch_execz .LBB1_3701
; %bb.18037:
	s_getpc_b64 s[14:15]
.Lpost_getpc4922:
	s_add_u32 s14, s14, (.LBB1_7797-.Lpost_getpc4922)&4294967295
	s_addc_u32 s15, s15, (.LBB1_7797-.Lpost_getpc4922)>>32
	s_setpc_b64 s[14:15]
.LBB1_3701:
	s_or_saveexec_b64 s[6:7], s[6:7]
	v_mov_b32_e32 v12, s10
	s_xor_b64 exec, exec, s[6:7]
	s_cbranch_execz .LBB1_3702
; %bb.18039:
	s_getpc_b64 s[14:15]
.Lpost_getpc4923:
	s_add_u32 s14, s14, (.LBB1_7800-.Lpost_getpc4923)&4294967295
	s_addc_u32 s15, s15, (.LBB1_7800-.Lpost_getpc4923)>>32
	s_setpc_b64 s[14:15]
.LBB1_3702:
	s_or_b64 exec, exec, s[6:7]
	s_and_saveexec_b64 s[6:7], s[4:5]
	s_cbranch_execz .LBB1_3704
.LBB1_3703:
	v_bfe_u32 v3, v15, 16, 2
	v_ffbh_u32_e32 v14, v3
	v_min_u32_e32 v14, 32, v14
	v_lshrrev_b32_e32 v12, 18, v15
	v_subrev_u32_e32 v16, 29, v14
	v_and_b32_e32 v12, 31, v12
	v_lshlrev_b32_sdwa v16, v16, v15 dst_sel:DWORD dst_unused:UNUSED_PAD src0_sel:DWORD src1_sel:WORD_1
	v_bfe_u32 v13, v15, 18, 5
	v_sub_u32_e32 v14, 30, v14
	v_and_b32_e32 v16, 3, v16
	v_cmp_eq_u16_e32 vcc, 0, v12
	v_cndmask_b32_e32 v3, v3, v16, vcc
	v_cndmask_b32_e32 v12, v13, v14, vcc
	v_lshlrev_b32_e32 v13, 8, v15
	v_mov_b32_e32 v14, 0x37800000
	v_lshlrev_b32_e32 v3, 21, v3
	v_and_b32_e32 v13, 0x80000000, v13
	v_lshl_add_u32 v12, v12, 23, v14
	v_or3_b32 v12, v13, v12, v3
.LBB1_3704:
	s_or_b64 exec, exec, s[6:7]
	s_nop 0
	v_mfma_f32_16x16x4f32 a[0:3], v2, v12, a[0:3]
	s_movk_i32 s4, 0x7f
	v_cmp_gt_i16_sdwa s[6:7], v19, s4 src0_sel:BYTE_3 src1_sel:DWORD
	s_mov_b64 s[4:5], 0
                                        ; implicit-def: $sgpr10
	s_and_saveexec_b64 s[8:9], s[6:7]
	s_xor_b64 s[6:7], exec, s[8:9]
	s_cbranch_execz .LBB1_3705
; %bb.18041:
	s_getpc_b64 s[14:15]
.Lpost_getpc4924:
	s_add_u32 s14, s14, (.LBB1_7801-.Lpost_getpc4924)&4294967295
	s_addc_u32 s15, s15, (.LBB1_7801-.Lpost_getpc4924)>>32
	s_setpc_b64 s[14:15]
.LBB1_3705:
	s_or_saveexec_b64 s[6:7], s[6:7]
	v_mov_b32_e32 v2, s10
	s_xor_b64 exec, exec, s[6:7]
	s_cbranch_execz .LBB1_3706
; %bb.18043:
	s_getpc_b64 s[14:15]
.Lpost_getpc4925:
	s_add_u32 s14, s14, (.LBB1_7804-.Lpost_getpc4925)&4294967295
	s_addc_u32 s15, s15, (.LBB1_7804-.Lpost_getpc4925)>>32
	s_setpc_b64 s[14:15]
.LBB1_3706:
	s_or_b64 exec, exec, s[6:7]
	s_and_saveexec_b64 s[6:7], s[4:5]
	s_cbranch_execz .LBB1_3708
.LBB1_3707:
	v_bfe_u32 v2, v19, 24, 3
	v_ffbh_u32_e32 v14, v2
	v_min_u32_e32 v14, 32, v14
	v_lshrrev_b32_e32 v12, 27, v19
	v_subrev_u32_e32 v16, 28, v14
	v_and_b32_e32 v12, 15, v12
	v_lshlrev_b32_sdwa v16, v16, v19 dst_sel:DWORD dst_unused:UNUSED_PAD src0_sel:DWORD src1_sel:BYTE_3
	v_bfe_u32 v13, v19, 27, 4
	v_sub_u32_e32 v14, 29, v14
	v_and_b32_e32 v16, 7, v16
	v_cmp_eq_u16_e32 vcc, 0, v12
	v_cndmask_b32_e32 v2, v2, v16, vcc
	v_cndmask_b32_e32 v12, v13, v14, vcc
	v_mov_b32_e32 v13, 0x3b800000
	v_and_b32_e32 v3, 0x80000000, v19
	v_lshlrev_b32_e32 v2, 20, v2
	v_lshl_add_u32 v12, v12, 23, v13
	v_or3_b32 v2, v3, v12, v2
.LBB1_3708:
	s_or_b64 exec, exec, s[6:7]
	s_movk_i32 s4, 0x7f
	v_cmp_gt_i16_sdwa s[6:7], v15, s4 src0_sel:BYTE_3 src1_sel:DWORD
	s_mov_b64 s[4:5], 0
                                        ; implicit-def: $sgpr10
	s_and_saveexec_b64 s[8:9], s[6:7]
	s_xor_b64 s[6:7], exec, s[8:9]
	s_cbranch_execz .LBB1_3709
; %bb.18045:
	s_getpc_b64 s[14:15]
.Lpost_getpc4926:
	s_add_u32 s14, s14, (.LBB1_7805-.Lpost_getpc4926)&4294967295
	s_addc_u32 s15, s15, (.LBB1_7805-.Lpost_getpc4926)>>32
	s_setpc_b64 s[14:15]
.LBB1_3709:
	s_or_saveexec_b64 s[6:7], s[6:7]
	v_mov_b32_e32 v3, s10
	s_xor_b64 exec, exec, s[6:7]
	s_cbranch_execz .LBB1_3710
; %bb.18047:
	s_getpc_b64 s[14:15]
.Lpost_getpc4927:
	s_add_u32 s14, s14, (.LBB1_7808-.Lpost_getpc4927)&4294967295
	s_addc_u32 s15, s15, (.LBB1_7808-.Lpost_getpc4927)>>32
	s_setpc_b64 s[14:15]
.LBB1_3710:
	s_or_b64 exec, exec, s[6:7]
	s_and_saveexec_b64 s[6:7], s[4:5]
	s_cbranch_execz .LBB1_3712
.LBB1_3711:
	v_bfe_u32 v3, v15, 24, 2
	v_ffbh_u32_e32 v16, v3
	v_min_u32_e32 v16, 32, v16
	v_lshrrev_b32_e32 v13, 26, v15
	v_subrev_u32_e32 v17, 29, v16
	v_and_b32_e32 v12, 0x80000000, v15
	v_and_b32_e32 v13, 31, v13
	v_bfe_u32 v14, v15, 26, 5
	v_lshlrev_b32_sdwa v15, v17, v15 dst_sel:DWORD dst_unused:UNUSED_PAD src0_sel:DWORD src1_sel:BYTE_3
	v_sub_u32_e32 v16, 30, v16
	v_and_b32_e32 v15, 3, v15
	v_cmp_eq_u16_e32 vcc, 0, v13
	v_cndmask_b32_e32 v3, v3, v15, vcc
	v_cndmask_b32_e32 v13, v14, v16, vcc
	v_mov_b32_e32 v14, 0x37800000
	v_lshlrev_b32_e32 v3, 21, v3
	v_lshl_add_u32 v13, v13, 23, v14
	v_or3_b32 v3, v12, v13, v3
.LBB1_3712:
	s_or_b64 exec, exec, s[6:7]
	s_nop 0
	v_mfma_f32_16x16x4f32 a[0:3], v2, v3, a[0:3]
	s_movk_i32 s4, 0x7f
                                        ; implicit-def: $sgpr10
	s_nop 7
	s_nop 1
	flat_store_dwordx4 v[10:11], a[0:3] offset:448
	flat_load_dword v12, v[0:1] offset:544
	flat_load_dwordx2 v[2:3], v[6:7]
	s_waitcnt vmcnt(0) lgkmcnt(0)
	v_ashrrev_i32_e32 v13, 31, v12
	v_add_co_u32_e32 v2, vcc, v2, v12
	v_addc_co_u32_e32 v3, vcc, v3, v13, vcc
	flat_load_dwordx4 v[12:15], v[2:3] offset:512
	v_mov_b32_e32 v2, 8
	s_waitcnt vmcnt(0) lgkmcnt(0)
	flat_store_dwordx4 v[8:9], v[12:15]
	flat_load_dwordx4 v[16:19], v[4:5]
	v_lshrrev_b32_sdwa v2, v2, v14 dst_sel:BYTE_1 dst_unused:UNUSED_PAD src0_sel:DWORD src1_sel:DWORD
	s_waitcnt vmcnt(0) lgkmcnt(0)
	v_cmp_gt_i16_sdwa s[6:7], v16, s4 src0_sel:BYTE_0 src1_sel:DWORD
	s_mov_b64 s[4:5], 0
	s_and_saveexec_b64 s[8:9], s[6:7]
	s_xor_b64 s[6:7], exec, s[8:9]
	s_cbranch_execz .LBB1_3713
; %bb.18049:
	s_getpc_b64 s[14:15]
.Lpost_getpc4928:
	s_add_u32 s14, s14, (.LBB1_7809-.Lpost_getpc4928)&4294967295
	s_addc_u32 s15, s15, (.LBB1_7809-.Lpost_getpc4928)>>32
	s_setpc_b64 s[14:15]
.LBB1_3713:
	s_or_saveexec_b64 s[6:7], s[6:7]
	v_mov_b32_e32 v3, s10
	s_xor_b64 exec, exec, s[6:7]
	s_cbranch_execz .LBB1_3714
; %bb.18051:
	s_getpc_b64 s[14:15]
.Lpost_getpc4929:
	s_add_u32 s14, s14, (.LBB1_7812-.Lpost_getpc4929)&4294967295
	s_addc_u32 s15, s15, (.LBB1_7812-.Lpost_getpc4929)>>32
	s_setpc_b64 s[14:15]
.LBB1_3714:
	s_or_b64 exec, exec, s[6:7]
	s_and_saveexec_b64 s[6:7], s[4:5]
	s_cbranch_execz .LBB1_3716
.LBB1_3715:
	v_and_b32_e32 v3, 7, v16
	v_ffbh_u32_e32 v21, v3
	v_min_u32_e32 v21, 32, v21
	v_lshrrev_b16_e32 v20, 3, v16
	v_subrev_u32_e32 v22, 28, v21
	v_and_b32_e32 v20, 15, v20
	v_lshlrev_b32_e32 v22, v22, v16
	v_sub_u32_e32 v21, 29, v21
	v_and_b32_e32 v22, 7, v22
	v_cmp_eq_u16_e32 vcc, 0, v20
	v_cndmask_b32_e32 v3, v3, v22, vcc
	v_cndmask_b32_e32 v20, v20, v21, vcc
	v_lshlrev_b32_e32 v21, 24, v16
	v_mov_b32_e32 v22, 0x3b800000
	v_lshlrev_b32_e32 v3, 20, v3
	v_and_b32_e32 v21, 0x80000000, v21
	v_lshl_add_u32 v20, v20, 23, v22
	v_or3_b32 v3, v21, v20, v3
.LBB1_3716:
	s_or_b64 exec, exec, s[6:7]
	s_movk_i32 s4, 0x7f
	v_cmp_gt_i16_sdwa s[6:7], v12, s4 src0_sel:BYTE_0 src1_sel:DWORD
	s_mov_b64 s[4:5], 0
                                        ; implicit-def: $sgpr10
	s_and_saveexec_b64 s[8:9], s[6:7]
	s_xor_b64 s[6:7], exec, s[8:9]
	s_cbranch_execz .LBB1_3717
; %bb.18053:
	s_getpc_b64 s[14:15]
.Lpost_getpc4930:
	s_add_u32 s14, s14, (.LBB1_7813-.Lpost_getpc4930)&4294967295
	s_addc_u32 s15, s15, (.LBB1_7813-.Lpost_getpc4930)>>32
	s_setpc_b64 s[14:15]
.LBB1_3717:
	s_or_saveexec_b64 s[6:7], s[6:7]
	v_mov_b32_e32 v20, s10
	s_xor_b64 exec, exec, s[6:7]
	s_cbranch_execz .LBB1_3718
; %bb.18055:
	s_getpc_b64 s[14:15]
.Lpost_getpc4931:
	s_add_u32 s14, s14, (.LBB1_7816-.Lpost_getpc4931)&4294967295
	s_addc_u32 s15, s15, (.LBB1_7816-.Lpost_getpc4931)>>32
	s_setpc_b64 s[14:15]
.LBB1_3718:
	s_or_b64 exec, exec, s[6:7]
	s_and_saveexec_b64 s[6:7], s[4:5]
	s_cbranch_execz .LBB1_3720
.LBB1_3719:
	v_and_b32_e32 v20, 3, v12
	v_ffbh_u32_e32 v22, v20
	v_min_u32_e32 v22, 32, v22
	v_lshrrev_b16_e32 v21, 2, v12
	v_subrev_u32_e32 v23, 29, v22
	v_and_b32_e32 v21, 31, v21
	v_lshlrev_b32_e32 v23, v23, v12
	v_sub_u32_e32 v22, 30, v22
	v_and_b32_e32 v23, 3, v23
	v_cmp_eq_u16_e32 vcc, 0, v21
	v_cndmask_b32_e32 v20, v20, v23, vcc
	v_cndmask_b32_e32 v21, v21, v22, vcc
	v_lshlrev_b32_e32 v22, 24, v12
	v_mov_b32_e32 v23, 0x37800000
	v_lshlrev_b32_e32 v20, 21, v20
	v_and_b32_e32 v22, 0x80000000, v22
	v_lshl_add_u32 v21, v21, 23, v23
	v_or3_b32 v20, v22, v21, v20
.LBB1_3720:
	s_or_b64 exec, exec, s[6:7]
	flat_load_dwordx4 a[0:3], v[10:11] offset:464
	s_movk_i32 s4, 0x7f
                                        ; implicit-def: $sgpr10
	s_waitcnt vmcnt(0) lgkmcnt(0)
	v_mfma_f32_16x16x4f32 a[0:3], v3, v20, a[0:3]
	v_lshrrev_b32_e32 v20, 8, v16
	v_cmp_gt_i16_sdwa s[6:7], v20, s4 src0_sel:BYTE_0 src1_sel:DWORD
	s_mov_b64 s[4:5], 0
	s_and_saveexec_b64 s[8:9], s[6:7]
	s_xor_b64 s[6:7], exec, s[8:9]
	s_cbranch_execz .LBB1_3721
; %bb.18057:
	s_getpc_b64 s[14:15]
.Lpost_getpc4932:
	s_add_u32 s14, s14, (.LBB1_7817-.Lpost_getpc4932)&4294967295
	s_addc_u32 s15, s15, (.LBB1_7817-.Lpost_getpc4932)>>32
	s_setpc_b64 s[14:15]
.LBB1_3721:
	s_or_saveexec_b64 s[6:7], s[6:7]
	v_mov_b32_e32 v3, s10
	s_xor_b64 exec, exec, s[6:7]
	s_cbranch_execz .LBB1_3722
; %bb.18059:
	s_getpc_b64 s[14:15]
.Lpost_getpc4933:
	s_add_u32 s14, s14, (.LBB1_7820-.Lpost_getpc4933)&4294967295
	s_addc_u32 s15, s15, (.LBB1_7820-.Lpost_getpc4933)>>32
	s_setpc_b64 s[14:15]
.LBB1_3722:
	s_or_b64 exec, exec, s[6:7]
	s_and_saveexec_b64 s[6:7], s[4:5]
	s_cbranch_execz .LBB1_3724
.LBB1_3723:
	v_bfe_u32 v3, v16, 8, 3
	v_ffbh_u32_e32 v22, v3
	v_min_u32_e32 v22, 32, v22
	v_lshrrev_b16_e32 v21, 3, v20
	v_subrev_u32_e32 v23, 28, v22
	v_and_b32_e32 v21, 15, v21
	v_lshlrev_b32_e32 v20, v23, v20
	v_sub_u32_e32 v22, 29, v22
	v_and_b32_e32 v20, 7, v20
	v_cmp_eq_u16_e32 vcc, 0, v21
	v_cndmask_b32_e32 v3, v3, v20, vcc
	v_cndmask_b32_e32 v20, v21, v22, vcc
	v_lshlrev_b32_e32 v21, 16, v16
	v_mov_b32_e32 v22, 0x3b800000
	v_lshlrev_b32_e32 v3, 20, v3
	v_and_b32_e32 v21, 0x80000000, v21
	v_lshl_add_u32 v20, v20, 23, v22
	v_or3_b32 v3, v21, v20, v3
.LBB1_3724:
	s_or_b64 exec, exec, s[6:7]
	v_lshrrev_b32_e32 v20, 8, v12
	s_movk_i32 s4, 0x7f
	v_cmp_gt_i16_sdwa s[6:7], v20, s4 src0_sel:BYTE_0 src1_sel:DWORD
	s_mov_b64 s[4:5], 0
                                        ; implicit-def: $sgpr10
	s_and_saveexec_b64 s[8:9], s[6:7]
	s_xor_b64 s[6:7], exec, s[8:9]
	s_cbranch_execz .LBB1_3725
; %bb.18061:
	s_getpc_b64 s[14:15]
.Lpost_getpc4934:
	s_add_u32 s14, s14, (.LBB1_7821-.Lpost_getpc4934)&4294967295
	s_addc_u32 s15, s15, (.LBB1_7821-.Lpost_getpc4934)>>32
	s_setpc_b64 s[14:15]
.LBB1_3725:
	s_or_saveexec_b64 s[6:7], s[6:7]
	v_mov_b32_e32 v21, s10
	s_xor_b64 exec, exec, s[6:7]
	s_cbranch_execz .LBB1_3726
; %bb.18063:
	s_getpc_b64 s[14:15]
.Lpost_getpc4935:
	s_add_u32 s14, s14, (.LBB1_7824-.Lpost_getpc4935)&4294967295
	s_addc_u32 s15, s15, (.LBB1_7824-.Lpost_getpc4935)>>32
	s_setpc_b64 s[14:15]
.LBB1_3726:
	s_or_b64 exec, exec, s[6:7]
	s_and_saveexec_b64 s[6:7], s[4:5]
	s_cbranch_execz .LBB1_3728
.LBB1_3727:
	v_bfe_u32 v21, v12, 8, 2
	v_ffbh_u32_e32 v23, v21
	v_min_u32_e32 v23, 32, v23
	v_lshrrev_b16_e32 v22, 2, v20
	v_subrev_u32_e32 v24, 29, v23
	v_and_b32_e32 v22, 31, v22
	v_lshlrev_b32_e32 v20, v24, v20
	v_sub_u32_e32 v23, 30, v23
	v_and_b32_e32 v20, 3, v20
	v_cmp_eq_u16_e32 vcc, 0, v22
	v_cndmask_b32_e32 v20, v21, v20, vcc
	v_cndmask_b32_e32 v21, v22, v23, vcc
	v_lshlrev_b32_e32 v22, 16, v12
	v_mov_b32_e32 v23, 0x37800000
	v_lshlrev_b32_e32 v20, 21, v20
	v_and_b32_e32 v22, 0x80000000, v22
	v_lshl_add_u32 v21, v21, 23, v23
	v_or3_b32 v21, v22, v21, v20
.LBB1_3728:
	s_or_b64 exec, exec, s[6:7]
	s_nop 0
	v_mfma_f32_16x16x4f32 a[0:3], v3, v21, a[0:3]
	s_movk_i32 s4, 0xff
	v_and_b32_sdwa v20, v16, s4 dst_sel:DWORD dst_unused:UNUSED_PAD src0_sel:WORD_1 src1_sel:DWORD
	s_movk_i32 s4, 0x7f
	v_cmp_lt_i16_e32 vcc, s4, v20
	s_mov_b64 s[4:5], 0
                                        ; implicit-def: $sgpr10
	s_and_saveexec_b64 s[6:7], vcc
	s_xor_b64 s[6:7], exec, s[6:7]
	s_cbranch_execz .LBB1_3729
; %bb.18065:
	s_getpc_b64 s[14:15]
.Lpost_getpc4936:
	s_add_u32 s14, s14, (.LBB1_7825-.Lpost_getpc4936)&4294967295
	s_addc_u32 s15, s15, (.LBB1_7825-.Lpost_getpc4936)>>32
	s_setpc_b64 s[14:15]
.LBB1_3729:
	s_or_saveexec_b64 s[6:7], s[6:7]
	v_mov_b32_e32 v3, s10
	s_xor_b64 exec, exec, s[6:7]
	s_cbranch_execz .LBB1_3730
; %bb.18067:
	s_getpc_b64 s[14:15]
.Lpost_getpc4937:
	s_add_u32 s14, s14, (.LBB1_7828-.Lpost_getpc4937)&4294967295
	s_addc_u32 s15, s15, (.LBB1_7828-.Lpost_getpc4937)>>32
	s_setpc_b64 s[14:15]
.LBB1_3730:
	s_or_b64 exec, exec, s[6:7]
	s_and_saveexec_b64 s[6:7], s[4:5]
	s_cbranch_execz .LBB1_3732
.LBB1_3731:
	v_bfe_u32 v3, v16, 16, 3
	v_ffbh_u32_e32 v22, v3
	v_min_u32_e32 v22, 32, v22
	v_lshrrev_b32_e32 v20, 19, v16
	v_subrev_u32_e32 v23, 28, v22
	v_and_b32_e32 v20, 15, v20
	v_lshlrev_b32_sdwa v23, v23, v16 dst_sel:DWORD dst_unused:UNUSED_PAD src0_sel:DWORD src1_sel:WORD_1
	v_bfe_u32 v21, v16, 19, 4
	v_sub_u32_e32 v22, 29, v22
	v_and_b32_e32 v23, 7, v23
	v_cmp_eq_u16_e32 vcc, 0, v20
	v_cndmask_b32_e32 v3, v3, v23, vcc
	v_cndmask_b32_e32 v20, v21, v22, vcc
	v_lshlrev_b32_e32 v21, 8, v16
	v_mov_b32_e32 v22, 0x3b800000
	v_lshlrev_b32_e32 v3, 20, v3
	v_and_b32_e32 v21, 0x80000000, v21
	v_lshl_add_u32 v20, v20, 23, v22
	v_or3_b32 v3, v21, v20, v3
.LBB1_3732:
	s_or_b64 exec, exec, s[6:7]
	s_movk_i32 s4, 0xff
	v_and_b32_sdwa v20, v12, s4 dst_sel:DWORD dst_unused:UNUSED_PAD src0_sel:WORD_1 src1_sel:DWORD
	s_movk_i32 s4, 0x7f
	v_cmp_lt_i16_e32 vcc, s4, v20
	s_mov_b64 s[4:5], 0
                                        ; implicit-def: $sgpr10
	s_and_saveexec_b64 s[6:7], vcc
	s_xor_b64 s[6:7], exec, s[6:7]
	s_cbranch_execz .LBB1_3733
; %bb.18069:
	s_getpc_b64 s[14:15]
.Lpost_getpc4938:
	s_add_u32 s14, s14, (.LBB1_7829-.Lpost_getpc4938)&4294967295
	s_addc_u32 s15, s15, (.LBB1_7829-.Lpost_getpc4938)>>32
	s_setpc_b64 s[14:15]
.LBB1_3733:
	s_or_saveexec_b64 s[6:7], s[6:7]
	v_mov_b32_e32 v21, s10
	s_xor_b64 exec, exec, s[6:7]
	s_cbranch_execz .LBB1_3734
; %bb.18071:
	s_getpc_b64 s[14:15]
.Lpost_getpc4939:
	s_add_u32 s14, s14, (.LBB1_7832-.Lpost_getpc4939)&4294967295
	s_addc_u32 s15, s15, (.LBB1_7832-.Lpost_getpc4939)>>32
	s_setpc_b64 s[14:15]
.LBB1_3734:
	s_or_b64 exec, exec, s[6:7]
	s_and_saveexec_b64 s[6:7], s[4:5]
	s_cbranch_execz .LBB1_3736
.LBB1_3735:
	v_bfe_u32 v20, v12, 16, 2
	v_ffbh_u32_e32 v23, v20
	v_min_u32_e32 v23, 32, v23
	v_lshrrev_b32_e32 v21, 18, v12
	v_subrev_u32_e32 v24, 29, v23
	v_and_b32_e32 v21, 31, v21
	v_lshlrev_b32_sdwa v24, v24, v12 dst_sel:DWORD dst_unused:UNUSED_PAD src0_sel:DWORD src1_sel:WORD_1
	v_bfe_u32 v22, v12, 18, 5
	v_sub_u32_e32 v23, 30, v23
	v_and_b32_e32 v24, 3, v24
	v_cmp_eq_u16_e32 vcc, 0, v21
	v_cndmask_b32_e32 v20, v20, v24, vcc
	v_cndmask_b32_e32 v21, v22, v23, vcc
	v_lshlrev_b32_e32 v22, 8, v12
	v_mov_b32_e32 v23, 0x37800000
	v_lshlrev_b32_e32 v20, 21, v20
	v_and_b32_e32 v22, 0x80000000, v22
	v_lshl_add_u32 v21, v21, 23, v23
	v_or3_b32 v21, v22, v21, v20
.LBB1_3736:
	s_or_b64 exec, exec, s[6:7]
	s_nop 0
	v_mfma_f32_16x16x4f32 a[0:3], v3, v21, a[0:3]
	s_movk_i32 s4, 0x7f
	v_cmp_gt_i16_sdwa s[6:7], v16, s4 src0_sel:BYTE_3 src1_sel:DWORD
	s_mov_b64 s[4:5], 0
                                        ; implicit-def: $sgpr10
	s_and_saveexec_b64 s[8:9], s[6:7]
	s_xor_b64 s[6:7], exec, s[8:9]
	s_cbranch_execz .LBB1_3737
; %bb.18073:
	s_getpc_b64 s[14:15]
.Lpost_getpc4940:
	s_add_u32 s14, s14, (.LBB1_7833-.Lpost_getpc4940)&4294967295
	s_addc_u32 s15, s15, (.LBB1_7833-.Lpost_getpc4940)>>32
	s_setpc_b64 s[14:15]
.LBB1_3737:
	s_or_saveexec_b64 s[6:7], s[6:7]
	v_mov_b32_e32 v3, s10
	s_xor_b64 exec, exec, s[6:7]
	s_cbranch_execz .LBB1_3738
; %bb.18075:
	s_getpc_b64 s[14:15]
.Lpost_getpc4941:
	s_add_u32 s14, s14, (.LBB1_7836-.Lpost_getpc4941)&4294967295
	s_addc_u32 s15, s15, (.LBB1_7836-.Lpost_getpc4941)>>32
	s_setpc_b64 s[14:15]
.LBB1_3738:
	s_or_b64 exec, exec, s[6:7]
	s_and_saveexec_b64 s[6:7], s[4:5]
	s_cbranch_execz .LBB1_3740
.LBB1_3739:
	v_bfe_u32 v3, v16, 24, 3
	v_ffbh_u32_e32 v23, v3
	v_min_u32_e32 v23, 32, v23
	v_lshrrev_b32_e32 v21, 27, v16
	v_subrev_u32_e32 v24, 28, v23
	v_and_b32_e32 v20, 0x80000000, v16
	v_and_b32_e32 v21, 15, v21
	v_bfe_u32 v22, v16, 27, 4
	v_lshlrev_b32_sdwa v16, v24, v16 dst_sel:DWORD dst_unused:UNUSED_PAD src0_sel:DWORD src1_sel:BYTE_3
	v_sub_u32_e32 v23, 29, v23
	v_and_b32_e32 v16, 7, v16
	v_cmp_eq_u16_e32 vcc, 0, v21
	v_cndmask_b32_e32 v3, v3, v16, vcc
	v_cndmask_b32_e32 v16, v22, v23, vcc
	v_mov_b32_e32 v21, 0x3b800000
	v_lshlrev_b32_e32 v3, 20, v3
	v_lshl_add_u32 v16, v16, 23, v21
	v_or3_b32 v3, v20, v16, v3
.LBB1_3740:
	s_or_b64 exec, exec, s[6:7]
	s_movk_i32 s4, 0x7f
	v_cmp_gt_i16_sdwa s[6:7], v12, s4 src0_sel:BYTE_3 src1_sel:DWORD
	s_mov_b64 s[4:5], 0
                                        ; implicit-def: $sgpr10
	s_and_saveexec_b64 s[8:9], s[6:7]
	s_xor_b64 s[6:7], exec, s[8:9]
	s_cbranch_execz .LBB1_3741
; %bb.18077:
	s_getpc_b64 s[14:15]
.Lpost_getpc4942:
	s_add_u32 s14, s14, (.LBB1_7837-.Lpost_getpc4942)&4294967295
	s_addc_u32 s15, s15, (.LBB1_7837-.Lpost_getpc4942)>>32
	s_setpc_b64 s[14:15]
.LBB1_3741:
	s_or_saveexec_b64 s[6:7], s[6:7]
	v_mov_b32_e32 v16, s10
	s_xor_b64 exec, exec, s[6:7]
	s_cbranch_execz .LBB1_3742
; %bb.18079:
	s_getpc_b64 s[14:15]
.Lpost_getpc4943:
	s_add_u32 s14, s14, (.LBB1_7840-.Lpost_getpc4943)&4294967295
	s_addc_u32 s15, s15, (.LBB1_7840-.Lpost_getpc4943)>>32
	s_setpc_b64 s[14:15]
.LBB1_3742:
	s_or_b64 exec, exec, s[6:7]
	s_and_saveexec_b64 s[6:7], s[4:5]
	s_cbranch_execz .LBB1_3744
.LBB1_3743:
	v_bfe_u32 v16, v12, 24, 2
	v_ffbh_u32_e32 v23, v16
	v_min_u32_e32 v23, 32, v23
	v_lshrrev_b32_e32 v21, 26, v12
	v_subrev_u32_e32 v24, 29, v23
	v_and_b32_e32 v20, 0x80000000, v12
	v_and_b32_e32 v21, 31, v21
	v_bfe_u32 v22, v12, 26, 5
	v_lshlrev_b32_sdwa v12, v24, v12 dst_sel:DWORD dst_unused:UNUSED_PAD src0_sel:DWORD src1_sel:BYTE_3
	v_sub_u32_e32 v23, 30, v23
	v_and_b32_e32 v12, 3, v12
	v_cmp_eq_u16_e32 vcc, 0, v21
	v_cndmask_b32_e32 v12, v16, v12, vcc
	v_cndmask_b32_e32 v16, v22, v23, vcc
	v_mov_b32_e32 v21, 0x37800000
	v_lshlrev_b32_e32 v12, 21, v12
	v_lshl_add_u32 v16, v16, 23, v21
	v_or3_b32 v16, v20, v16, v12
.LBB1_3744:
	s_or_b64 exec, exec, s[6:7]
	s_nop 0
	v_mfma_f32_16x16x4f32 a[0:3], v3, v16, a[0:3]
	s_movk_i32 s4, 0x7f
	v_cmp_gt_i16_sdwa s[6:7], v17, s4 src0_sel:BYTE_0 src1_sel:DWORD
	s_mov_b64 s[4:5], 0
                                        ; implicit-def: $sgpr10
	s_and_saveexec_b64 s[8:9], s[6:7]
	s_xor_b64 s[6:7], exec, s[8:9]
	s_cbranch_execz .LBB1_3745
; %bb.18081:
	s_getpc_b64 s[14:15]
.Lpost_getpc4944:
	s_add_u32 s14, s14, (.LBB1_7841-.Lpost_getpc4944)&4294967295
	s_addc_u32 s15, s15, (.LBB1_7841-.Lpost_getpc4944)>>32
	s_setpc_b64 s[14:15]
.LBB1_3745:
	s_or_saveexec_b64 s[6:7], s[6:7]
	v_mov_b32_e32 v3, s10
	s_xor_b64 exec, exec, s[6:7]
	s_cbranch_execz .LBB1_3746
; %bb.18083:
	s_getpc_b64 s[14:15]
.Lpost_getpc4945:
	s_add_u32 s14, s14, (.LBB1_7844-.Lpost_getpc4945)&4294967295
	s_addc_u32 s15, s15, (.LBB1_7844-.Lpost_getpc4945)>>32
	s_setpc_b64 s[14:15]
.LBB1_3746:
	s_or_b64 exec, exec, s[6:7]
	s_and_saveexec_b64 s[6:7], s[4:5]
	s_cbranch_execz .LBB1_3748
.LBB1_3747:
	v_and_b32_e32 v3, 7, v17
	v_ffbh_u32_e32 v16, v3
	v_min_u32_e32 v16, 32, v16
	v_lshrrev_b16_e32 v12, 3, v17
	v_subrev_u32_e32 v20, 28, v16
	v_and_b32_e32 v12, 15, v12
	v_lshlrev_b32_e32 v20, v20, v17
	v_sub_u32_e32 v16, 29, v16
	v_and_b32_e32 v20, 7, v20
	v_cmp_eq_u16_e32 vcc, 0, v12
	v_cndmask_b32_e32 v3, v3, v20, vcc
	v_cndmask_b32_e32 v12, v12, v16, vcc
	v_lshlrev_b32_e32 v16, 24, v17
	v_mov_b32_e32 v20, 0x3b800000
	v_lshlrev_b32_e32 v3, 20, v3
	v_and_b32_e32 v16, 0x80000000, v16
	v_lshl_add_u32 v12, v12, 23, v20
	v_or3_b32 v3, v16, v12, v3
.LBB1_3748:
	s_or_b64 exec, exec, s[6:7]
	s_movk_i32 s4, 0x7f
	v_cmp_gt_i16_sdwa s[6:7], v13, s4 src0_sel:BYTE_0 src1_sel:DWORD
	s_mov_b64 s[4:5], 0
                                        ; implicit-def: $sgpr10
	s_and_saveexec_b64 s[8:9], s[6:7]
	s_xor_b64 s[6:7], exec, s[8:9]
	s_cbranch_execz .LBB1_3749
; %bb.18085:
	s_getpc_b64 s[14:15]
.Lpost_getpc4946:
	s_add_u32 s14, s14, (.LBB1_7845-.Lpost_getpc4946)&4294967295
	s_addc_u32 s15, s15, (.LBB1_7845-.Lpost_getpc4946)>>32
	s_setpc_b64 s[14:15]
.LBB1_3749:
	s_or_saveexec_b64 s[6:7], s[6:7]
	v_mov_b32_e32 v12, s10
	s_xor_b64 exec, exec, s[6:7]
	s_cbranch_execz .LBB1_3750
; %bb.18087:
	s_getpc_b64 s[14:15]
.Lpost_getpc4947:
	s_add_u32 s14, s14, (.LBB1_7848-.Lpost_getpc4947)&4294967295
	s_addc_u32 s15, s15, (.LBB1_7848-.Lpost_getpc4947)>>32
	s_setpc_b64 s[14:15]
.LBB1_3750:
	s_or_b64 exec, exec, s[6:7]
	s_and_saveexec_b64 s[6:7], s[4:5]
	s_cbranch_execz .LBB1_3752
.LBB1_3751:
	v_and_b32_e32 v12, 3, v13
	v_ffbh_u32_e32 v20, v12
	v_min_u32_e32 v20, 32, v20
	v_lshrrev_b16_e32 v16, 2, v13
	v_subrev_u32_e32 v21, 29, v20
	v_and_b32_e32 v16, 31, v16
	v_lshlrev_b32_e32 v21, v21, v13
	v_sub_u32_e32 v20, 30, v20
	v_and_b32_e32 v21, 3, v21
	v_cmp_eq_u16_e32 vcc, 0, v16
	v_cndmask_b32_e32 v12, v12, v21, vcc
	v_cndmask_b32_e32 v16, v16, v20, vcc
	v_lshlrev_b32_e32 v20, 24, v13
	v_mov_b32_e32 v21, 0x37800000
	v_lshlrev_b32_e32 v12, 21, v12
	v_and_b32_e32 v20, 0x80000000, v20
	v_lshl_add_u32 v16, v16, 23, v21
	v_or3_b32 v12, v20, v16, v12
.LBB1_3752:
	s_or_b64 exec, exec, s[6:7]
	s_nop 0
	v_mfma_f32_16x16x4f32 a[0:3], v3, v12, a[0:3]
	v_lshrrev_b32_e32 v12, 8, v17
	s_movk_i32 s4, 0x7f
	v_cmp_gt_i16_sdwa s[6:7], v12, s4 src0_sel:BYTE_0 src1_sel:DWORD
	s_mov_b64 s[4:5], 0
                                        ; implicit-def: $sgpr10
	s_and_saveexec_b64 s[8:9], s[6:7]
	s_xor_b64 s[6:7], exec, s[8:9]
	s_cbranch_execz .LBB1_3753
; %bb.18089:
	s_getpc_b64 s[14:15]
.Lpost_getpc4948:
	s_add_u32 s14, s14, (.LBB1_7849-.Lpost_getpc4948)&4294967295
	s_addc_u32 s15, s15, (.LBB1_7849-.Lpost_getpc4948)>>32
	s_setpc_b64 s[14:15]
.LBB1_3753:
	s_or_saveexec_b64 s[6:7], s[6:7]
	v_mov_b32_e32 v3, s10
	s_xor_b64 exec, exec, s[6:7]
	s_cbranch_execz .LBB1_3754
; %bb.18091:
	s_getpc_b64 s[14:15]
.Lpost_getpc4949:
	s_add_u32 s14, s14, (.LBB1_7852-.Lpost_getpc4949)&4294967295
	s_addc_u32 s15, s15, (.LBB1_7852-.Lpost_getpc4949)>>32
	s_setpc_b64 s[14:15]
.LBB1_3754:
	s_or_b64 exec, exec, s[6:7]
	s_and_saveexec_b64 s[6:7], s[4:5]
	s_cbranch_execz .LBB1_3756
.LBB1_3755:
	v_bfe_u32 v3, v17, 8, 3
	v_ffbh_u32_e32 v20, v3
	v_min_u32_e32 v20, 32, v20
	v_lshrrev_b16_e32 v16, 3, v12
	v_subrev_u32_e32 v21, 28, v20
	v_and_b32_e32 v16, 15, v16
	v_lshlrev_b32_e32 v12, v21, v12
	v_sub_u32_e32 v20, 29, v20
	v_and_b32_e32 v12, 7, v12
	v_cmp_eq_u16_e32 vcc, 0, v16
	v_cndmask_b32_e32 v3, v3, v12, vcc
	v_cndmask_b32_e32 v12, v16, v20, vcc
	v_lshlrev_b32_e32 v16, 16, v17
	v_mov_b32_e32 v20, 0x3b800000
	v_lshlrev_b32_e32 v3, 20, v3
	v_and_b32_e32 v16, 0x80000000, v16
	v_lshl_add_u32 v12, v12, 23, v20
	v_or3_b32 v3, v16, v12, v3
.LBB1_3756:
	s_or_b64 exec, exec, s[6:7]
	v_lshrrev_b32_e32 v12, 8, v13
	s_movk_i32 s4, 0x7f
	v_cmp_gt_i16_sdwa s[6:7], v12, s4 src0_sel:BYTE_0 src1_sel:DWORD
	s_mov_b64 s[4:5], 0
                                        ; implicit-def: $sgpr10
	s_and_saveexec_b64 s[8:9], s[6:7]
	s_xor_b64 s[6:7], exec, s[8:9]
	s_cbranch_execz .LBB1_3757
; %bb.18093:
	s_getpc_b64 s[14:15]
.Lpost_getpc4950:
	s_add_u32 s14, s14, (.LBB1_7853-.Lpost_getpc4950)&4294967295
	s_addc_u32 s15, s15, (.LBB1_7853-.Lpost_getpc4950)>>32
	s_setpc_b64 s[14:15]
.LBB1_3757:
	s_or_saveexec_b64 s[6:7], s[6:7]
	v_mov_b32_e32 v16, s10
	s_xor_b64 exec, exec, s[6:7]
	s_cbranch_execz .LBB1_3758
; %bb.18095:
	s_getpc_b64 s[14:15]
.Lpost_getpc4951:
	s_add_u32 s14, s14, (.LBB1_7856-.Lpost_getpc4951)&4294967295
	s_addc_u32 s15, s15, (.LBB1_7856-.Lpost_getpc4951)>>32
	s_setpc_b64 s[14:15]
.LBB1_3758:
	s_or_b64 exec, exec, s[6:7]
	s_and_saveexec_b64 s[6:7], s[4:5]
	s_cbranch_execz .LBB1_3760
.LBB1_3759:
	v_bfe_u32 v16, v13, 8, 2
	v_ffbh_u32_e32 v21, v16
	v_min_u32_e32 v21, 32, v21
	v_lshrrev_b16_e32 v20, 2, v12
	v_subrev_u32_e32 v22, 29, v21
	v_and_b32_e32 v20, 31, v20
	v_lshlrev_b32_e32 v12, v22, v12
	v_sub_u32_e32 v21, 30, v21
	v_and_b32_e32 v12, 3, v12
	v_cmp_eq_u16_e32 vcc, 0, v20
	v_cndmask_b32_e32 v12, v16, v12, vcc
	v_cndmask_b32_e32 v16, v20, v21, vcc
	v_lshlrev_b32_e32 v20, 16, v13
	v_mov_b32_e32 v21, 0x37800000
	v_lshlrev_b32_e32 v12, 21, v12
	v_and_b32_e32 v20, 0x80000000, v20
	v_lshl_add_u32 v16, v16, 23, v21
	v_or3_b32 v16, v20, v16, v12
.LBB1_3760:
	s_or_b64 exec, exec, s[6:7]
	s_nop 0
	v_mfma_f32_16x16x4f32 a[0:3], v3, v16, a[0:3]
	s_movk_i32 s4, 0xff
	v_and_b32_sdwa v12, v17, s4 dst_sel:DWORD dst_unused:UNUSED_PAD src0_sel:WORD_1 src1_sel:DWORD
	s_movk_i32 s4, 0x7f
	v_cmp_lt_i16_e32 vcc, s4, v12
	s_mov_b64 s[4:5], 0
                                        ; implicit-def: $sgpr10
	s_and_saveexec_b64 s[6:7], vcc
	s_xor_b64 s[6:7], exec, s[6:7]
	s_cbranch_execz .LBB1_3761
; %bb.18097:
	s_getpc_b64 s[14:15]
.Lpost_getpc4952:
	s_add_u32 s14, s14, (.LBB1_7857-.Lpost_getpc4952)&4294967295
	s_addc_u32 s15, s15, (.LBB1_7857-.Lpost_getpc4952)>>32
	s_setpc_b64 s[14:15]
.LBB1_3761:
	s_or_saveexec_b64 s[6:7], s[6:7]
	v_mov_b32_e32 v3, s10
	s_xor_b64 exec, exec, s[6:7]
	s_cbranch_execz .LBB1_3762
; %bb.18099:
	s_getpc_b64 s[14:15]
.Lpost_getpc4953:
	s_add_u32 s14, s14, (.LBB1_7860-.Lpost_getpc4953)&4294967295
	s_addc_u32 s15, s15, (.LBB1_7860-.Lpost_getpc4953)>>32
	s_setpc_b64 s[14:15]
.LBB1_3762:
	s_or_b64 exec, exec, s[6:7]
	s_and_saveexec_b64 s[6:7], s[4:5]
	s_cbranch_execz .LBB1_3764
.LBB1_3763:
	v_bfe_u32 v3, v17, 16, 3
	v_ffbh_u32_e32 v20, v3
	v_min_u32_e32 v20, 32, v20
	v_lshrrev_b32_e32 v12, 19, v17
	v_subrev_u32_e32 v21, 28, v20
	v_and_b32_e32 v12, 15, v12
	v_lshlrev_b32_sdwa v21, v21, v17 dst_sel:DWORD dst_unused:UNUSED_PAD src0_sel:DWORD src1_sel:WORD_1
	v_bfe_u32 v16, v17, 19, 4
	v_sub_u32_e32 v20, 29, v20
	v_and_b32_e32 v21, 7, v21
	v_cmp_eq_u16_e32 vcc, 0, v12
	v_cndmask_b32_e32 v3, v3, v21, vcc
	v_cndmask_b32_e32 v12, v16, v20, vcc
	v_lshlrev_b32_e32 v16, 8, v17
	v_mov_b32_e32 v20, 0x3b800000
	v_lshlrev_b32_e32 v3, 20, v3
	v_and_b32_e32 v16, 0x80000000, v16
	v_lshl_add_u32 v12, v12, 23, v20
	v_or3_b32 v3, v16, v12, v3
.LBB1_3764:
	s_or_b64 exec, exec, s[6:7]
	s_movk_i32 s4, 0xff
	v_and_b32_sdwa v12, v13, s4 dst_sel:DWORD dst_unused:UNUSED_PAD src0_sel:WORD_1 src1_sel:DWORD
	s_movk_i32 s4, 0x7f
	v_cmp_lt_i16_e32 vcc, s4, v12
	s_mov_b64 s[4:5], 0
                                        ; implicit-def: $sgpr10
	s_and_saveexec_b64 s[6:7], vcc
	s_xor_b64 s[6:7], exec, s[6:7]
	s_cbranch_execz .LBB1_3765
; %bb.18101:
	s_getpc_b64 s[14:15]
.Lpost_getpc4954:
	s_add_u32 s14, s14, (.LBB1_7861-.Lpost_getpc4954)&4294967295
	s_addc_u32 s15, s15, (.LBB1_7861-.Lpost_getpc4954)>>32
	s_setpc_b64 s[14:15]
.LBB1_3765:
	s_or_saveexec_b64 s[6:7], s[6:7]
	v_mov_b32_e32 v16, s10
	s_xor_b64 exec, exec, s[6:7]
	s_cbranch_execz .LBB1_3766
; %bb.18103:
	s_getpc_b64 s[14:15]
.Lpost_getpc4955:
	s_add_u32 s14, s14, (.LBB1_7864-.Lpost_getpc4955)&4294967295
	s_addc_u32 s15, s15, (.LBB1_7864-.Lpost_getpc4955)>>32
	s_setpc_b64 s[14:15]
.LBB1_3766:
	s_or_b64 exec, exec, s[6:7]
	s_and_saveexec_b64 s[6:7], s[4:5]
	s_cbranch_execz .LBB1_3768
.LBB1_3767:
	v_bfe_u32 v12, v13, 16, 2
	v_ffbh_u32_e32 v21, v12
	v_min_u32_e32 v21, 32, v21
	v_lshrrev_b32_e32 v16, 18, v13
	v_subrev_u32_e32 v22, 29, v21
	v_and_b32_e32 v16, 31, v16
	v_lshlrev_b32_sdwa v22, v22, v13 dst_sel:DWORD dst_unused:UNUSED_PAD src0_sel:DWORD src1_sel:WORD_1
	v_bfe_u32 v20, v13, 18, 5
	v_sub_u32_e32 v21, 30, v21
	v_and_b32_e32 v22, 3, v22
	v_cmp_eq_u16_e32 vcc, 0, v16
	v_cndmask_b32_e32 v12, v12, v22, vcc
	v_cndmask_b32_e32 v16, v20, v21, vcc
	v_lshlrev_b32_e32 v20, 8, v13
	v_mov_b32_e32 v21, 0x37800000
	v_lshlrev_b32_e32 v12, 21, v12
	v_and_b32_e32 v20, 0x80000000, v20
	v_lshl_add_u32 v16, v16, 23, v21
	v_or3_b32 v16, v20, v16, v12
.LBB1_3768:
	s_or_b64 exec, exec, s[6:7]
	s_nop 0
	v_mfma_f32_16x16x4f32 a[0:3], v3, v16, a[0:3]
	s_movk_i32 s4, 0x7f
	v_cmp_gt_i16_sdwa s[6:7], v17, s4 src0_sel:BYTE_3 src1_sel:DWORD
	s_mov_b64 s[4:5], 0
                                        ; implicit-def: $sgpr10
	s_and_saveexec_b64 s[8:9], s[6:7]
	s_xor_b64 s[6:7], exec, s[8:9]
	s_cbranch_execz .LBB1_3769
; %bb.18105:
	s_getpc_b64 s[14:15]
.Lpost_getpc4956:
	s_add_u32 s14, s14, (.LBB1_7865-.Lpost_getpc4956)&4294967295
	s_addc_u32 s15, s15, (.LBB1_7865-.Lpost_getpc4956)>>32
	s_setpc_b64 s[14:15]
.LBB1_3769:
	s_or_saveexec_b64 s[6:7], s[6:7]
	v_mov_b32_e32 v3, s10
	s_xor_b64 exec, exec, s[6:7]
	s_cbranch_execz .LBB1_3770
; %bb.18107:
	s_getpc_b64 s[14:15]
.Lpost_getpc4957:
	s_add_u32 s14, s14, (.LBB1_7868-.Lpost_getpc4957)&4294967295
	s_addc_u32 s15, s15, (.LBB1_7868-.Lpost_getpc4957)>>32
	s_setpc_b64 s[14:15]
.LBB1_3770:
	s_or_b64 exec, exec, s[6:7]
	s_and_saveexec_b64 s[6:7], s[4:5]
	s_cbranch_execz .LBB1_3772
.LBB1_3771:
	v_bfe_u32 v3, v17, 24, 3
	v_ffbh_u32_e32 v21, v3
	v_min_u32_e32 v21, 32, v21
	v_lshrrev_b32_e32 v16, 27, v17
	v_subrev_u32_e32 v22, 28, v21
	v_and_b32_e32 v12, 0x80000000, v17
	v_and_b32_e32 v16, 15, v16
	v_bfe_u32 v20, v17, 27, 4
	v_lshlrev_b32_sdwa v17, v22, v17 dst_sel:DWORD dst_unused:UNUSED_PAD src0_sel:DWORD src1_sel:BYTE_3
	v_sub_u32_e32 v21, 29, v21
	v_and_b32_e32 v17, 7, v17
	v_cmp_eq_u16_e32 vcc, 0, v16
	v_cndmask_b32_e32 v3, v3, v17, vcc
	v_cndmask_b32_e32 v16, v20, v21, vcc
	v_mov_b32_e32 v17, 0x3b800000
	v_lshlrev_b32_e32 v3, 20, v3
	v_lshl_add_u32 v16, v16, 23, v17
	v_or3_b32 v3, v12, v16, v3
.LBB1_3772:
	s_or_b64 exec, exec, s[6:7]
	s_movk_i32 s4, 0x7f
	v_cmp_gt_i16_sdwa s[6:7], v13, s4 src0_sel:BYTE_3 src1_sel:DWORD
	s_mov_b64 s[4:5], 0
                                        ; implicit-def: $sgpr10
	s_and_saveexec_b64 s[8:9], s[6:7]
	s_xor_b64 s[6:7], exec, s[8:9]
	s_cbranch_execz .LBB1_3773
; %bb.18109:
	s_getpc_b64 s[14:15]
.Lpost_getpc4958:
	s_add_u32 s14, s14, (.LBB1_7869-.Lpost_getpc4958)&4294967295
	s_addc_u32 s15, s15, (.LBB1_7869-.Lpost_getpc4958)>>32
	s_setpc_b64 s[14:15]
.LBB1_3773:
	s_or_saveexec_b64 s[6:7], s[6:7]
	v_mov_b32_e32 v12, s10
	s_xor_b64 exec, exec, s[6:7]
	s_cbranch_execz .LBB1_3774
; %bb.18111:
	s_getpc_b64 s[14:15]
.Lpost_getpc4959:
	s_add_u32 s14, s14, (.LBB1_7872-.Lpost_getpc4959)&4294967295
	s_addc_u32 s15, s15, (.LBB1_7872-.Lpost_getpc4959)>>32
	s_setpc_b64 s[14:15]
.LBB1_3774:
	s_or_b64 exec, exec, s[6:7]
	s_and_saveexec_b64 s[6:7], s[4:5]
	s_cbranch_execz .LBB1_3776
.LBB1_3775:
	v_bfe_u32 v12, v13, 24, 2
	v_ffbh_u32_e32 v21, v12
	v_min_u32_e32 v21, 32, v21
	v_lshrrev_b32_e32 v17, 26, v13
	v_subrev_u32_e32 v22, 29, v21
	v_and_b32_e32 v16, 0x80000000, v13
	v_and_b32_e32 v17, 31, v17
	v_bfe_u32 v20, v13, 26, 5
	v_lshlrev_b32_sdwa v13, v22, v13 dst_sel:DWORD dst_unused:UNUSED_PAD src0_sel:DWORD src1_sel:BYTE_3
	v_sub_u32_e32 v21, 30, v21
	v_and_b32_e32 v13, 3, v13
	v_cmp_eq_u16_e32 vcc, 0, v17
	v_cndmask_b32_e32 v12, v12, v13, vcc
	v_cndmask_b32_e32 v13, v20, v21, vcc
	v_mov_b32_e32 v17, 0x37800000
	v_lshlrev_b32_e32 v12, 21, v12
	v_lshl_add_u32 v13, v13, 23, v17
	v_or3_b32 v12, v16, v13, v12
.LBB1_3776:
	s_or_b64 exec, exec, s[6:7]
	s_nop 0
	v_mfma_f32_16x16x4f32 a[0:3], v3, v12, a[0:3]
	s_movk_i32 s4, 0x7f
	v_cmp_gt_i16_sdwa s[6:7], v18, s4 src0_sel:BYTE_0 src1_sel:DWORD
	s_mov_b64 s[4:5], 0
                                        ; implicit-def: $sgpr10
	s_and_saveexec_b64 s[8:9], s[6:7]
	s_xor_b64 s[6:7], exec, s[8:9]
	s_cbranch_execz .LBB1_3777
; %bb.18113:
	s_getpc_b64 s[14:15]
.Lpost_getpc4960:
	s_add_u32 s14, s14, (.LBB1_7873-.Lpost_getpc4960)&4294967295
	s_addc_u32 s15, s15, (.LBB1_7873-.Lpost_getpc4960)>>32
	s_setpc_b64 s[14:15]
.LBB1_3777:
	s_or_saveexec_b64 s[6:7], s[6:7]
	v_mov_b32_e32 v3, s10
	s_xor_b64 exec, exec, s[6:7]
	s_cbranch_execz .LBB1_3778
; %bb.18115:
	s_getpc_b64 s[14:15]
.Lpost_getpc4961:
	s_add_u32 s14, s14, (.LBB1_7876-.Lpost_getpc4961)&4294967295
	s_addc_u32 s15, s15, (.LBB1_7876-.Lpost_getpc4961)>>32
	s_setpc_b64 s[14:15]
.LBB1_3778:
	s_or_b64 exec, exec, s[6:7]
	s_and_saveexec_b64 s[6:7], s[4:5]
	s_cbranch_execz .LBB1_3780
.LBB1_3779:
	v_and_b32_e32 v3, 7, v18
	v_ffbh_u32_e32 v13, v3
	v_min_u32_e32 v13, 32, v13
	v_lshrrev_b16_e32 v12, 3, v18
	v_subrev_u32_e32 v16, 28, v13
	v_and_b32_e32 v12, 15, v12
	v_lshlrev_b32_e32 v16, v16, v18
	v_sub_u32_e32 v13, 29, v13
	v_and_b32_e32 v16, 7, v16
	v_cmp_eq_u16_e32 vcc, 0, v12
	v_cndmask_b32_e32 v3, v3, v16, vcc
	v_cndmask_b32_e32 v12, v12, v13, vcc
	v_lshlrev_b32_e32 v13, 24, v18
	v_mov_b32_e32 v16, 0x3b800000
	v_lshlrev_b32_e32 v3, 20, v3
	v_and_b32_e32 v13, 0x80000000, v13
	v_lshl_add_u32 v12, v12, 23, v16
	v_or3_b32 v3, v13, v12, v3
.LBB1_3780:
	s_or_b64 exec, exec, s[6:7]
	s_movk_i32 s4, 0xff
	v_or_b32_sdwa v12, v14, v2 dst_sel:DWORD dst_unused:UNUSED_PAD src0_sel:BYTE_0 src1_sel:DWORD
	v_mov_b32_e32 v2, 8
	v_lshlrev_b16_sdwa v2, v2, v14 dst_sel:DWORD dst_unused:UNUSED_PAD src0_sel:DWORD src1_sel:BYTE_3
	v_and_b32_sdwa v13, v14, s4 dst_sel:DWORD dst_unused:UNUSED_PAD src0_sel:WORD_1 src1_sel:DWORD
	s_movk_i32 s4, 0x7f
	v_or_b32_sdwa v2, v13, v2 dst_sel:WORD_1 dst_unused:UNUSED_PAD src0_sel:DWORD src1_sel:DWORD
	v_cmp_gt_i16_sdwa s[6:7], v12, s4 src0_sel:BYTE_0 src1_sel:DWORD
	s_mov_b64 s[4:5], 0
                                        ; implicit-def: $sgpr10
	s_and_saveexec_b64 s[8:9], s[6:7]
	s_xor_b64 s[6:7], exec, s[8:9]
	s_cbranch_execz .LBB1_3781
; %bb.18117:
	s_getpc_b64 s[14:15]
.Lpost_getpc4962:
	s_add_u32 s14, s14, (.LBB1_7877-.Lpost_getpc4962)&4294967295
	s_addc_u32 s15, s15, (.LBB1_7877-.Lpost_getpc4962)>>32
	s_setpc_b64 s[14:15]
.LBB1_3781:
	s_or_saveexec_b64 s[6:7], s[6:7]
	v_mov_b32_e32 v13, s10
	s_xor_b64 exec, exec, s[6:7]
	s_cbranch_execz .LBB1_3782
; %bb.18119:
	s_getpc_b64 s[14:15]
.Lpost_getpc4963:
	s_add_u32 s14, s14, (.LBB1_7880-.Lpost_getpc4963)&4294967295
	s_addc_u32 s15, s15, (.LBB1_7880-.Lpost_getpc4963)>>32
	s_setpc_b64 s[14:15]
.LBB1_3782:
	s_or_b64 exec, exec, s[6:7]
	v_or_b32_sdwa v2, v12, v2 dst_sel:DWORD dst_unused:UNUSED_PAD src0_sel:WORD_0 src1_sel:DWORD
	s_and_saveexec_b64 s[6:7], s[4:5]
	s_cbranch_execz .LBB1_3784
.LBB1_3783:
	v_and_b32_e32 v13, 3, v2
	v_ffbh_u32_e32 v14, v13
	v_min_u32_e32 v14, 32, v14
	v_lshrrev_b16_e32 v12, 2, v12
	v_subrev_u32_e32 v16, 29, v14
	v_and_b32_e32 v12, 31, v12
	v_lshlrev_b32_e32 v16, v16, v2
	v_sub_u32_e32 v14, 30, v14
	v_and_b32_e32 v16, 3, v16
	v_cmp_eq_u16_e32 vcc, 0, v12
	v_cndmask_b32_e32 v13, v13, v16, vcc
	v_cndmask_b32_e32 v12, v12, v14, vcc
	v_lshlrev_b32_e32 v14, 24, v2
	v_mov_b32_e32 v16, 0x37800000
	v_lshlrev_b32_e32 v13, 21, v13
	v_and_b32_e32 v14, 0x80000000, v14
	v_lshl_add_u32 v12, v12, 23, v16
	v_or3_b32 v13, v14, v12, v13
.LBB1_3784:
	s_or_b64 exec, exec, s[6:7]
	s_nop 0
	v_mfma_f32_16x16x4f32 a[0:3], v3, v13, a[0:3]
	v_lshrrev_b32_e32 v12, 8, v18
	s_movk_i32 s4, 0x7f
	v_cmp_gt_i16_sdwa s[6:7], v12, s4 src0_sel:BYTE_0 src1_sel:DWORD
	s_mov_b64 s[4:5], 0
                                        ; implicit-def: $sgpr10
	s_and_saveexec_b64 s[8:9], s[6:7]
	s_xor_b64 s[6:7], exec, s[8:9]
	s_cbranch_execz .LBB1_3785
; %bb.18121:
	s_getpc_b64 s[14:15]
.Lpost_getpc4964:
	s_add_u32 s14, s14, (.LBB1_7881-.Lpost_getpc4964)&4294967295
	s_addc_u32 s15, s15, (.LBB1_7881-.Lpost_getpc4964)>>32
	s_setpc_b64 s[14:15]
.LBB1_3785:
	s_or_saveexec_b64 s[6:7], s[6:7]
	v_mov_b32_e32 v3, s10
	s_xor_b64 exec, exec, s[6:7]
	s_cbranch_execz .LBB1_3786
; %bb.18123:
	s_getpc_b64 s[14:15]
.Lpost_getpc4965:
	s_add_u32 s14, s14, (.LBB1_7884-.Lpost_getpc4965)&4294967295
	s_addc_u32 s15, s15, (.LBB1_7884-.Lpost_getpc4965)>>32
	s_setpc_b64 s[14:15]
.LBB1_3786:
	s_or_b64 exec, exec, s[6:7]
	s_and_saveexec_b64 s[6:7], s[4:5]
	s_cbranch_execz .LBB1_3788
.LBB1_3787:
	v_bfe_u32 v3, v18, 8, 3
	v_ffbh_u32_e32 v14, v3
	v_min_u32_e32 v14, 32, v14
	v_lshrrev_b16_e32 v13, 3, v12
	v_subrev_u32_e32 v16, 28, v14
	v_and_b32_e32 v13, 15, v13
	v_lshlrev_b32_e32 v12, v16, v12
	v_sub_u32_e32 v14, 29, v14
	v_and_b32_e32 v12, 7, v12
	v_cmp_eq_u16_e32 vcc, 0, v13
	v_cndmask_b32_e32 v3, v3, v12, vcc
	v_cndmask_b32_e32 v12, v13, v14, vcc
	v_lshlrev_b32_e32 v13, 16, v18
	v_mov_b32_e32 v14, 0x3b800000
	v_lshlrev_b32_e32 v3, 20, v3
	v_and_b32_e32 v13, 0x80000000, v13
	v_lshl_add_u32 v12, v12, 23, v14
	v_or3_b32 v3, v13, v12, v3
.LBB1_3788:
	s_or_b64 exec, exec, s[6:7]
	v_lshrrev_b32_e32 v12, 8, v2
	s_movk_i32 s4, 0x7f
	v_cmp_gt_i16_sdwa s[6:7], v12, s4 src0_sel:BYTE_0 src1_sel:DWORD
	s_mov_b64 s[4:5], 0
                                        ; implicit-def: $sgpr10
	s_and_saveexec_b64 s[8:9], s[6:7]
	s_xor_b64 s[6:7], exec, s[8:9]
	s_cbranch_execz .LBB1_3789
; %bb.18125:
	s_getpc_b64 s[14:15]
.Lpost_getpc4966:
	s_add_u32 s14, s14, (.LBB1_7885-.Lpost_getpc4966)&4294967295
	s_addc_u32 s15, s15, (.LBB1_7885-.Lpost_getpc4966)>>32
	s_setpc_b64 s[14:15]
.LBB1_3789:
	s_or_saveexec_b64 s[6:7], s[6:7]
	v_mov_b32_e32 v13, s10
	s_xor_b64 exec, exec, s[6:7]
	s_cbranch_execz .LBB1_3790
; %bb.18127:
	s_getpc_b64 s[14:15]
.Lpost_getpc4967:
	s_add_u32 s14, s14, (.LBB1_7888-.Lpost_getpc4967)&4294967295
	s_addc_u32 s15, s15, (.LBB1_7888-.Lpost_getpc4967)>>32
	s_setpc_b64 s[14:15]
.LBB1_3790:
	s_or_b64 exec, exec, s[6:7]
	s_and_saveexec_b64 s[6:7], s[4:5]
	s_cbranch_execz .LBB1_3792
.LBB1_3791:
	v_bfe_u32 v13, v2, 8, 2
	v_ffbh_u32_e32 v16, v13
	v_min_u32_e32 v16, 32, v16
	v_lshrrev_b16_e32 v14, 2, v12
	v_subrev_u32_e32 v17, 29, v16
	v_and_b32_e32 v14, 31, v14
	v_lshlrev_b32_e32 v12, v17, v12
	v_sub_u32_e32 v16, 30, v16
	v_and_b32_e32 v12, 3, v12
	v_cmp_eq_u16_e32 vcc, 0, v14
	v_cndmask_b32_e32 v12, v13, v12, vcc
	v_cndmask_b32_e32 v13, v14, v16, vcc
	v_lshlrev_b32_e32 v14, 16, v2
	v_mov_b32_e32 v16, 0x37800000
	v_lshlrev_b32_e32 v12, 21, v12
	v_and_b32_e32 v14, 0x80000000, v14
	v_lshl_add_u32 v13, v13, 23, v16
	v_or3_b32 v13, v14, v13, v12
.LBB1_3792:
	s_or_b64 exec, exec, s[6:7]
	s_nop 0
	v_mfma_f32_16x16x4f32 a[0:3], v3, v13, a[0:3]
	s_movk_i32 s4, 0xff
	v_and_b32_sdwa v12, v18, s4 dst_sel:DWORD dst_unused:UNUSED_PAD src0_sel:WORD_1 src1_sel:DWORD
	s_movk_i32 s4, 0x7f
	v_cmp_lt_i16_e32 vcc, s4, v12
	s_mov_b64 s[4:5], 0
                                        ; implicit-def: $sgpr10
	s_and_saveexec_b64 s[6:7], vcc
	s_xor_b64 s[6:7], exec, s[6:7]
	s_cbranch_execz .LBB1_3793
; %bb.18129:
	s_getpc_b64 s[14:15]
.Lpost_getpc4968:
	s_add_u32 s14, s14, (.LBB1_7889-.Lpost_getpc4968)&4294967295
	s_addc_u32 s15, s15, (.LBB1_7889-.Lpost_getpc4968)>>32
	s_setpc_b64 s[14:15]
.LBB1_3793:
	s_or_saveexec_b64 s[6:7], s[6:7]
	v_mov_b32_e32 v3, s10
	s_xor_b64 exec, exec, s[6:7]
	s_cbranch_execz .LBB1_3794
; %bb.18131:
	s_getpc_b64 s[14:15]
.Lpost_getpc4969:
	s_add_u32 s14, s14, (.LBB1_7892-.Lpost_getpc4969)&4294967295
	s_addc_u32 s15, s15, (.LBB1_7892-.Lpost_getpc4969)>>32
	s_setpc_b64 s[14:15]
.LBB1_3794:
	s_or_b64 exec, exec, s[6:7]
	s_and_saveexec_b64 s[6:7], s[4:5]
	s_cbranch_execz .LBB1_3796
.LBB1_3795:
	v_bfe_u32 v3, v18, 16, 3
	v_ffbh_u32_e32 v14, v3
	v_min_u32_e32 v14, 32, v14
	v_lshrrev_b32_e32 v12, 19, v18
	v_subrev_u32_e32 v16, 28, v14
	v_and_b32_e32 v12, 15, v12
	v_lshlrev_b32_sdwa v16, v16, v18 dst_sel:DWORD dst_unused:UNUSED_PAD src0_sel:DWORD src1_sel:WORD_1
	v_bfe_u32 v13, v18, 19, 4
	v_sub_u32_e32 v14, 29, v14
	v_and_b32_e32 v16, 7, v16
	v_cmp_eq_u16_e32 vcc, 0, v12
	v_cndmask_b32_e32 v3, v3, v16, vcc
	v_cndmask_b32_e32 v12, v13, v14, vcc
	v_lshlrev_b32_e32 v13, 8, v18
	v_mov_b32_e32 v14, 0x3b800000
	v_lshlrev_b32_e32 v3, 20, v3
	v_and_b32_e32 v13, 0x80000000, v13
	v_lshl_add_u32 v12, v12, 23, v14
	v_or3_b32 v3, v13, v12, v3
.LBB1_3796:
	s_or_b64 exec, exec, s[6:7]
	s_movk_i32 s4, 0xff
	v_and_b32_sdwa v12, v2, s4 dst_sel:DWORD dst_unused:UNUSED_PAD src0_sel:WORD_1 src1_sel:DWORD
	s_movk_i32 s4, 0x7f
	v_cmp_lt_i16_e32 vcc, s4, v12
	s_mov_b64 s[4:5], 0
                                        ; implicit-def: $sgpr10
	s_and_saveexec_b64 s[6:7], vcc
	s_xor_b64 s[6:7], exec, s[6:7]
	s_cbranch_execz .LBB1_3797
; %bb.18133:
	s_getpc_b64 s[14:15]
.Lpost_getpc4970:
	s_add_u32 s14, s14, (.LBB1_7893-.Lpost_getpc4970)&4294967295
	s_addc_u32 s15, s15, (.LBB1_7893-.Lpost_getpc4970)>>32
	s_setpc_b64 s[14:15]
.LBB1_3797:
	s_or_saveexec_b64 s[6:7], s[6:7]
	v_mov_b32_e32 v13, s10
	s_xor_b64 exec, exec, s[6:7]
	s_cbranch_execz .LBB1_3798
; %bb.18135:
	s_getpc_b64 s[14:15]
.Lpost_getpc4971:
	s_add_u32 s14, s14, (.LBB1_7896-.Lpost_getpc4971)&4294967295
	s_addc_u32 s15, s15, (.LBB1_7896-.Lpost_getpc4971)>>32
	s_setpc_b64 s[14:15]
.LBB1_3798:
	s_or_b64 exec, exec, s[6:7]
	s_and_saveexec_b64 s[6:7], s[4:5]
	s_cbranch_execz .LBB1_3800
.LBB1_3799:
	v_bfe_u32 v12, v2, 16, 2
	v_ffbh_u32_e32 v16, v12
	v_min_u32_e32 v16, 32, v16
	v_lshrrev_b32_e32 v13, 18, v2
	v_subrev_u32_e32 v17, 29, v16
	v_and_b32_e32 v13, 31, v13
	v_lshlrev_b32_sdwa v17, v17, v2 dst_sel:DWORD dst_unused:UNUSED_PAD src0_sel:DWORD src1_sel:WORD_1
	v_bfe_u32 v14, v2, 18, 5
	v_sub_u32_e32 v16, 30, v16
	v_and_b32_e32 v17, 3, v17
	v_cmp_eq_u16_e32 vcc, 0, v13
	v_cndmask_b32_e32 v12, v12, v17, vcc
	v_cndmask_b32_e32 v13, v14, v16, vcc
	v_lshlrev_b32_e32 v14, 8, v2
	v_mov_b32_e32 v16, 0x37800000
	v_lshlrev_b32_e32 v12, 21, v12
	v_and_b32_e32 v14, 0x80000000, v14
	v_lshl_add_u32 v13, v13, 23, v16
	v_or3_b32 v13, v14, v13, v12
.LBB1_3800:
	s_or_b64 exec, exec, s[6:7]
	s_nop 0
	v_mfma_f32_16x16x4f32 a[0:3], v3, v13, a[0:3]
	s_movk_i32 s4, 0x7f
	v_cmp_gt_i16_sdwa s[6:7], v18, s4 src0_sel:BYTE_3 src1_sel:DWORD
	s_mov_b64 s[4:5], 0
                                        ; implicit-def: $sgpr10
	s_and_saveexec_b64 s[8:9], s[6:7]
	s_xor_b64 s[6:7], exec, s[8:9]
	s_cbranch_execz .LBB1_3801
; %bb.18137:
	s_getpc_b64 s[14:15]
.Lpost_getpc4972:
	s_add_u32 s14, s14, (.LBB1_7897-.Lpost_getpc4972)&4294967295
	s_addc_u32 s15, s15, (.LBB1_7897-.Lpost_getpc4972)>>32
	s_setpc_b64 s[14:15]
.LBB1_3801:
	s_or_saveexec_b64 s[6:7], s[6:7]
	v_mov_b32_e32 v3, s10
	s_xor_b64 exec, exec, s[6:7]
	s_cbranch_execz .LBB1_3802
; %bb.18139:
	s_getpc_b64 s[14:15]
.Lpost_getpc4973:
	s_add_u32 s14, s14, (.LBB1_7900-.Lpost_getpc4973)&4294967295
	s_addc_u32 s15, s15, (.LBB1_7900-.Lpost_getpc4973)>>32
	s_setpc_b64 s[14:15]
.LBB1_3802:
	s_or_b64 exec, exec, s[6:7]
	s_and_saveexec_b64 s[6:7], s[4:5]
	s_cbranch_execz .LBB1_3804
.LBB1_3803:
	v_bfe_u32 v3, v18, 24, 3
	v_ffbh_u32_e32 v16, v3
	v_min_u32_e32 v16, 32, v16
	v_lshrrev_b32_e32 v13, 27, v18
	v_subrev_u32_e32 v17, 28, v16
	v_and_b32_e32 v13, 15, v13
	v_lshlrev_b32_sdwa v17, v17, v18 dst_sel:DWORD dst_unused:UNUSED_PAD src0_sel:DWORD src1_sel:BYTE_3
	v_bfe_u32 v14, v18, 27, 4
	v_sub_u32_e32 v16, 29, v16
	v_and_b32_e32 v17, 7, v17
	v_cmp_eq_u16_e32 vcc, 0, v13
	v_cndmask_b32_e32 v3, v3, v17, vcc
	v_cndmask_b32_e32 v13, v14, v16, vcc
	v_mov_b32_e32 v14, 0x3b800000
	v_and_b32_e32 v12, 0x80000000, v18
	v_lshlrev_b32_e32 v3, 20, v3
	v_lshl_add_u32 v13, v13, 23, v14
	v_or3_b32 v3, v12, v13, v3
.LBB1_3804:
	s_or_b64 exec, exec, s[6:7]
	s_movk_i32 s4, 0x7f
	v_cmp_gt_i16_sdwa s[6:7], v2, s4 src0_sel:BYTE_3 src1_sel:DWORD
	s_mov_b64 s[4:5], 0
                                        ; implicit-def: $sgpr10
	s_and_saveexec_b64 s[8:9], s[6:7]
	s_xor_b64 s[6:7], exec, s[8:9]
	s_cbranch_execz .LBB1_3805
; %bb.18141:
	s_getpc_b64 s[14:15]
.Lpost_getpc4974:
	s_add_u32 s14, s14, (.LBB1_7901-.Lpost_getpc4974)&4294967295
	s_addc_u32 s15, s15, (.LBB1_7901-.Lpost_getpc4974)>>32
	s_setpc_b64 s[14:15]
.LBB1_3805:
	s_or_saveexec_b64 s[6:7], s[6:7]
	v_mov_b32_e32 v12, s10
	s_xor_b64 exec, exec, s[6:7]
	s_cbranch_execz .LBB1_3806
; %bb.18143:
	s_getpc_b64 s[14:15]
.Lpost_getpc4975:
	s_add_u32 s14, s14, (.LBB1_7904-.Lpost_getpc4975)&4294967295
	s_addc_u32 s15, s15, (.LBB1_7904-.Lpost_getpc4975)>>32
	s_setpc_b64 s[14:15]
.LBB1_3806:
	s_or_b64 exec, exec, s[6:7]
	s_and_saveexec_b64 s[6:7], s[4:5]
	s_cbranch_execz .LBB1_3808
.LBB1_3807:
	v_bfe_u32 v12, v2, 24, 2
	v_ffbh_u32_e32 v17, v12
	v_min_u32_e32 v17, 32, v17
	v_lshrrev_b32_e32 v14, 26, v2
	v_subrev_u32_e32 v18, 29, v17
	v_and_b32_e32 v13, 0x80000000, v2
	v_and_b32_e32 v14, 31, v14
	v_bfe_u32 v16, v2, 26, 5
	v_lshlrev_b32_sdwa v2, v18, v2 dst_sel:DWORD dst_unused:UNUSED_PAD src0_sel:DWORD src1_sel:BYTE_3
	v_sub_u32_e32 v17, 30, v17
	v_and_b32_e32 v2, 3, v2
	v_cmp_eq_u16_e32 vcc, 0, v14
	v_cndmask_b32_e32 v2, v12, v2, vcc
	v_cndmask_b32_e32 v12, v16, v17, vcc
	v_mov_b32_e32 v14, 0x37800000
	v_lshlrev_b32_e32 v2, 21, v2
	v_lshl_add_u32 v12, v12, 23, v14
	v_or3_b32 v12, v13, v12, v2
.LBB1_3808:
	s_or_b64 exec, exec, s[6:7]
	s_nop 0
	v_mfma_f32_16x16x4f32 a[0:3], v3, v12, a[0:3]
	s_movk_i32 s4, 0x7f
	v_cmp_gt_i16_sdwa s[6:7], v19, s4 src0_sel:BYTE_0 src1_sel:DWORD
	s_mov_b64 s[4:5], 0
                                        ; implicit-def: $sgpr10
	s_and_saveexec_b64 s[8:9], s[6:7]
	s_xor_b64 s[6:7], exec, s[8:9]
	s_cbranch_execz .LBB1_3809
; %bb.18145:
	s_getpc_b64 s[14:15]
.Lpost_getpc4976:
	s_add_u32 s14, s14, (.LBB1_7905-.Lpost_getpc4976)&4294967295
	s_addc_u32 s15, s15, (.LBB1_7905-.Lpost_getpc4976)>>32
	s_setpc_b64 s[14:15]
.LBB1_3809:
	s_or_saveexec_b64 s[6:7], s[6:7]
	v_mov_b32_e32 v2, s10
	s_xor_b64 exec, exec, s[6:7]
	s_cbranch_execz .LBB1_3810
; %bb.18147:
	s_getpc_b64 s[14:15]
.Lpost_getpc4977:
	s_add_u32 s14, s14, (.LBB1_7908-.Lpost_getpc4977)&4294967295
	s_addc_u32 s15, s15, (.LBB1_7908-.Lpost_getpc4977)>>32
	s_setpc_b64 s[14:15]
.LBB1_3810:
	s_or_b64 exec, exec, s[6:7]
	s_and_saveexec_b64 s[6:7], s[4:5]
	s_cbranch_execz .LBB1_3812
.LBB1_3811:
	v_mov_b32_e32 v2, 8
	v_and_b32_e32 v3, 7, v19
	v_lshrrev_b32_sdwa v2, v2, v19 dst_sel:BYTE_1 dst_unused:UNUSED_PAD src0_sel:DWORD src1_sel:DWORD
	v_ffbh_u32_e32 v12, v3
	v_or_b32_sdwa v2, v19, v2 dst_sel:DWORD dst_unused:UNUSED_PAD src0_sel:BYTE_0 src1_sel:DWORD
	v_min_u32_e32 v12, 32, v12
	v_lshrrev_b16_e32 v2, 3, v2
	v_subrev_u32_e32 v13, 28, v12
	v_and_b32_e32 v2, 15, v2
	v_lshlrev_b32_e32 v13, v13, v19
	v_sub_u32_e32 v12, 29, v12
	v_and_b32_e32 v13, 7, v13
	v_cmp_eq_u16_e32 vcc, 0, v2
	v_cndmask_b32_e32 v3, v3, v13, vcc
	v_cndmask_b32_e32 v2, v2, v12, vcc
	v_lshlrev_b32_e32 v12, 24, v19
	v_mov_b32_e32 v13, 0x3b800000
	v_lshlrev_b32_e32 v3, 20, v3
	v_and_b32_e32 v12, 0x80000000, v12
	v_lshl_add_u32 v2, v2, 23, v13
	v_or3_b32 v2, v12, v2, v3
.LBB1_3812:
	s_or_b64 exec, exec, s[6:7]
	s_movk_i32 s4, 0x7f
	v_cmp_gt_i16_sdwa s[6:7], v15, s4 src0_sel:BYTE_0 src1_sel:DWORD
	s_mov_b64 s[4:5], 0
                                        ; implicit-def: $sgpr10
	s_and_saveexec_b64 s[8:9], s[6:7]
	s_xor_b64 s[6:7], exec, s[8:9]
	s_cbranch_execz .LBB1_3813
; %bb.18149:
	s_getpc_b64 s[14:15]
.Lpost_getpc4978:
	s_add_u32 s14, s14, (.LBB1_7909-.Lpost_getpc4978)&4294967295
	s_addc_u32 s15, s15, (.LBB1_7909-.Lpost_getpc4978)>>32
	s_setpc_b64 s[14:15]
.LBB1_3813:
	s_or_saveexec_b64 s[6:7], s[6:7]
	v_mov_b32_e32 v3, s10
	s_xor_b64 exec, exec, s[6:7]
	s_cbranch_execz .LBB1_3814
; %bb.18151:
	s_getpc_b64 s[14:15]
.Lpost_getpc4979:
	s_add_u32 s14, s14, (.LBB1_7912-.Lpost_getpc4979)&4294967295
	s_addc_u32 s15, s15, (.LBB1_7912-.Lpost_getpc4979)>>32
	s_setpc_b64 s[14:15]
.LBB1_3814:
	s_or_b64 exec, exec, s[6:7]
	s_and_saveexec_b64 s[6:7], s[4:5]
	s_cbranch_execz .LBB1_3816
.LBB1_3815:
	v_and_b32_e32 v3, 3, v15
	v_ffbh_u32_e32 v13, v3
	v_min_u32_e32 v13, 32, v13
	v_lshrrev_b16_e32 v12, 2, v15
	v_subrev_u32_e32 v14, 29, v13
	v_and_b32_e32 v12, 31, v12
	v_lshlrev_b32_e32 v14, v14, v15
	v_sub_u32_e32 v13, 30, v13
	v_and_b32_e32 v14, 3, v14
	v_cmp_eq_u16_e32 vcc, 0, v12
	v_cndmask_b32_e32 v3, v3, v14, vcc
	v_cndmask_b32_e32 v12, v12, v13, vcc
	v_lshlrev_b32_e32 v13, 24, v15
	v_mov_b32_e32 v14, 0x37800000
	v_lshlrev_b32_e32 v3, 21, v3
	v_and_b32_e32 v13, 0x80000000, v13
	v_lshl_add_u32 v12, v12, 23, v14
	v_or3_b32 v3, v13, v12, v3
.LBB1_3816:
	s_or_b64 exec, exec, s[6:7]
	s_nop 0
	v_mfma_f32_16x16x4f32 a[0:3], v2, v3, a[0:3]
	v_lshrrev_b32_e32 v3, 8, v19
	s_movk_i32 s4, 0x7f
	v_cmp_gt_i16_sdwa s[6:7], v3, s4 src0_sel:BYTE_0 src1_sel:DWORD
	s_mov_b64 s[4:5], 0
                                        ; implicit-def: $sgpr10
	s_and_saveexec_b64 s[8:9], s[6:7]
	s_xor_b64 s[6:7], exec, s[8:9]
	s_cbranch_execz .LBB1_3817
; %bb.18153:
	s_getpc_b64 s[14:15]
.Lpost_getpc4980:
	s_add_u32 s14, s14, (.LBB1_7913-.Lpost_getpc4980)&4294967295
	s_addc_u32 s15, s15, (.LBB1_7913-.Lpost_getpc4980)>>32
	s_setpc_b64 s[14:15]
.LBB1_3817:
	s_or_saveexec_b64 s[6:7], s[6:7]
	v_mov_b32_e32 v2, s10
	s_xor_b64 exec, exec, s[6:7]
	s_cbranch_execz .LBB1_3818
; %bb.18155:
	s_getpc_b64 s[14:15]
.Lpost_getpc4981:
	s_add_u32 s14, s14, (.LBB1_7916-.Lpost_getpc4981)&4294967295
	s_addc_u32 s15, s15, (.LBB1_7916-.Lpost_getpc4981)>>32
	s_setpc_b64 s[14:15]
.LBB1_3818:
	s_or_b64 exec, exec, s[6:7]
	s_and_saveexec_b64 s[6:7], s[4:5]
	s_cbranch_execz .LBB1_3820
.LBB1_3819:
	v_bfe_u32 v2, v19, 8, 3
	v_ffbh_u32_e32 v13, v2
	v_min_u32_e32 v13, 32, v13
	v_lshrrev_b16_e32 v12, 3, v3
	v_subrev_u32_e32 v14, 28, v13
	v_and_b32_e32 v12, 15, v12
	v_lshlrev_b32_e32 v3, v14, v3
	v_sub_u32_e32 v13, 29, v13
	v_and_b32_e32 v3, 7, v3
	v_cmp_eq_u16_e32 vcc, 0, v12
	v_cndmask_b32_e32 v2, v2, v3, vcc
	v_cndmask_b32_e32 v3, v12, v13, vcc
	v_lshlrev_b32_e32 v12, 16, v19
	v_mov_b32_e32 v13, 0x3b800000
	v_lshlrev_b32_e32 v2, 20, v2
	v_and_b32_e32 v12, 0x80000000, v12
	v_lshl_add_u32 v3, v3, 23, v13
	v_or3_b32 v2, v12, v3, v2
.LBB1_3820:
	s_or_b64 exec, exec, s[6:7]
	v_lshrrev_b32_e32 v3, 8, v15
	s_movk_i32 s4, 0x7f
	v_cmp_gt_i16_sdwa s[6:7], v3, s4 src0_sel:BYTE_0 src1_sel:DWORD
	s_mov_b64 s[4:5], 0
                                        ; implicit-def: $sgpr10
	s_and_saveexec_b64 s[8:9], s[6:7]
	s_xor_b64 s[6:7], exec, s[8:9]
	s_cbranch_execz .LBB1_3821
; %bb.18157:
	s_getpc_b64 s[14:15]
.Lpost_getpc4982:
	s_add_u32 s14, s14, (.LBB1_7917-.Lpost_getpc4982)&4294967295
	s_addc_u32 s15, s15, (.LBB1_7917-.Lpost_getpc4982)>>32
	s_setpc_b64 s[14:15]
.LBB1_3821:
	s_or_saveexec_b64 s[6:7], s[6:7]
	v_mov_b32_e32 v12, s10
	s_xor_b64 exec, exec, s[6:7]
	s_cbranch_execz .LBB1_3822
; %bb.18159:
	s_getpc_b64 s[14:15]
.Lpost_getpc4983:
	s_add_u32 s14, s14, (.LBB1_7920-.Lpost_getpc4983)&4294967295
	s_addc_u32 s15, s15, (.LBB1_7920-.Lpost_getpc4983)>>32
	s_setpc_b64 s[14:15]
.LBB1_3822:
	s_or_b64 exec, exec, s[6:7]
	s_and_saveexec_b64 s[6:7], s[4:5]
	s_cbranch_execz .LBB1_3824
.LBB1_3823:
	v_bfe_u32 v12, v15, 8, 2
	v_ffbh_u32_e32 v14, v12
	v_min_u32_e32 v14, 32, v14
	v_lshrrev_b16_e32 v13, 2, v3
	v_subrev_u32_e32 v16, 29, v14
	v_and_b32_e32 v13, 31, v13
	v_lshlrev_b32_e32 v3, v16, v3
	v_sub_u32_e32 v14, 30, v14
	v_and_b32_e32 v3, 3, v3
	v_cmp_eq_u16_e32 vcc, 0, v13
	v_cndmask_b32_e32 v3, v12, v3, vcc
	v_cndmask_b32_e32 v12, v13, v14, vcc
	v_lshlrev_b32_e32 v13, 16, v15
	v_mov_b32_e32 v14, 0x37800000
	v_lshlrev_b32_e32 v3, 21, v3
	v_and_b32_e32 v13, 0x80000000, v13
	v_lshl_add_u32 v12, v12, 23, v14
	v_or3_b32 v12, v13, v12, v3
.LBB1_3824:
	s_or_b64 exec, exec, s[6:7]
	s_nop 0
	v_mfma_f32_16x16x4f32 a[0:3], v2, v12, a[0:3]
	s_movk_i32 s4, 0xff
	v_and_b32_sdwa v3, v19, s4 dst_sel:DWORD dst_unused:UNUSED_PAD src0_sel:WORD_1 src1_sel:DWORD
	s_movk_i32 s4, 0x7f
	v_cmp_lt_i16_e32 vcc, s4, v3
	s_mov_b64 s[4:5], 0
                                        ; implicit-def: $sgpr10
	s_and_saveexec_b64 s[6:7], vcc
	s_xor_b64 s[6:7], exec, s[6:7]
	s_cbranch_execz .LBB1_3825
; %bb.18161:
	s_getpc_b64 s[14:15]
.Lpost_getpc4984:
	s_add_u32 s14, s14, (.LBB1_7921-.Lpost_getpc4984)&4294967295
	s_addc_u32 s15, s15, (.LBB1_7921-.Lpost_getpc4984)>>32
	s_setpc_b64 s[14:15]
.LBB1_3825:
	s_or_saveexec_b64 s[6:7], s[6:7]
	v_mov_b32_e32 v2, s10
	s_xor_b64 exec, exec, s[6:7]
	s_cbranch_execz .LBB1_3826
; %bb.18163:
	s_getpc_b64 s[14:15]
.Lpost_getpc4985:
	s_add_u32 s14, s14, (.LBB1_7924-.Lpost_getpc4985)&4294967295
	s_addc_u32 s15, s15, (.LBB1_7924-.Lpost_getpc4985)>>32
	s_setpc_b64 s[14:15]
.LBB1_3826:
	s_or_b64 exec, exec, s[6:7]
	s_and_saveexec_b64 s[6:7], s[4:5]
	s_cbranch_execz .LBB1_3828
.LBB1_3827:
	v_bfe_u32 v2, v19, 16, 3
	v_ffbh_u32_e32 v13, v2
	v_min_u32_e32 v13, 32, v13
	v_lshrrev_b32_e32 v3, 19, v19
	v_subrev_u32_e32 v14, 28, v13
	v_and_b32_e32 v3, 15, v3
	v_lshlrev_b32_sdwa v14, v14, v19 dst_sel:DWORD dst_unused:UNUSED_PAD src0_sel:DWORD src1_sel:WORD_1
	v_bfe_u32 v12, v19, 19, 4
	v_sub_u32_e32 v13, 29, v13
	v_and_b32_e32 v14, 7, v14
	v_cmp_eq_u16_e32 vcc, 0, v3
	v_cndmask_b32_e32 v2, v2, v14, vcc
	v_cndmask_b32_e32 v3, v12, v13, vcc
	v_lshlrev_b32_e32 v12, 8, v19
	v_mov_b32_e32 v13, 0x3b800000
	v_lshlrev_b32_e32 v2, 20, v2
	v_and_b32_e32 v12, 0x80000000, v12
	v_lshl_add_u32 v3, v3, 23, v13
	v_or3_b32 v2, v12, v3, v2
.LBB1_3828:
	s_or_b64 exec, exec, s[6:7]
	s_movk_i32 s4, 0xff
	v_and_b32_sdwa v3, v15, s4 dst_sel:DWORD dst_unused:UNUSED_PAD src0_sel:WORD_1 src1_sel:DWORD
	s_movk_i32 s4, 0x7f
	v_cmp_lt_i16_e32 vcc, s4, v3
	s_mov_b64 s[4:5], 0
                                        ; implicit-def: $sgpr10
	s_and_saveexec_b64 s[6:7], vcc
	s_xor_b64 s[6:7], exec, s[6:7]
	s_cbranch_execz .LBB1_3829
; %bb.18165:
	s_getpc_b64 s[14:15]
.Lpost_getpc4986:
	s_add_u32 s14, s14, (.LBB1_7925-.Lpost_getpc4986)&4294967295
	s_addc_u32 s15, s15, (.LBB1_7925-.Lpost_getpc4986)>>32
	s_setpc_b64 s[14:15]
.LBB1_3829:
	s_or_saveexec_b64 s[6:7], s[6:7]
	v_mov_b32_e32 v12, s10
	s_xor_b64 exec, exec, s[6:7]
	s_cbranch_execz .LBB1_3830
; %bb.18167:
	s_getpc_b64 s[14:15]
.Lpost_getpc4987:
	s_add_u32 s14, s14, (.LBB1_7928-.Lpost_getpc4987)&4294967295
	s_addc_u32 s15, s15, (.LBB1_7928-.Lpost_getpc4987)>>32
	s_setpc_b64 s[14:15]
.LBB1_3830:
	s_or_b64 exec, exec, s[6:7]
	s_and_saveexec_b64 s[6:7], s[4:5]
	s_cbranch_execz .LBB1_3832
.LBB1_3831:
	v_bfe_u32 v3, v15, 16, 2
	v_ffbh_u32_e32 v14, v3
	v_min_u32_e32 v14, 32, v14
	v_lshrrev_b32_e32 v12, 18, v15
	v_subrev_u32_e32 v16, 29, v14
	v_and_b32_e32 v12, 31, v12
	v_lshlrev_b32_sdwa v16, v16, v15 dst_sel:DWORD dst_unused:UNUSED_PAD src0_sel:DWORD src1_sel:WORD_1
	v_bfe_u32 v13, v15, 18, 5
	v_sub_u32_e32 v14, 30, v14
	v_and_b32_e32 v16, 3, v16
	v_cmp_eq_u16_e32 vcc, 0, v12
	v_cndmask_b32_e32 v3, v3, v16, vcc
	v_cndmask_b32_e32 v12, v13, v14, vcc
	v_lshlrev_b32_e32 v13, 8, v15
	v_mov_b32_e32 v14, 0x37800000
	v_lshlrev_b32_e32 v3, 21, v3
	v_and_b32_e32 v13, 0x80000000, v13
	v_lshl_add_u32 v12, v12, 23, v14
	v_or3_b32 v12, v13, v12, v3
.LBB1_3832:
	s_or_b64 exec, exec, s[6:7]
	s_nop 0
	v_mfma_f32_16x16x4f32 a[0:3], v2, v12, a[0:3]
	s_movk_i32 s4, 0x7f
	v_cmp_gt_i16_sdwa s[6:7], v19, s4 src0_sel:BYTE_3 src1_sel:DWORD
	s_mov_b64 s[4:5], 0
                                        ; implicit-def: $sgpr10
	s_and_saveexec_b64 s[8:9], s[6:7]
	s_xor_b64 s[6:7], exec, s[8:9]
	s_cbranch_execz .LBB1_3833
; %bb.18169:
	s_getpc_b64 s[14:15]
.Lpost_getpc4988:
	s_add_u32 s14, s14, (.LBB1_7929-.Lpost_getpc4988)&4294967295
	s_addc_u32 s15, s15, (.LBB1_7929-.Lpost_getpc4988)>>32
	s_setpc_b64 s[14:15]
.LBB1_3833:
	s_or_saveexec_b64 s[6:7], s[6:7]
	v_mov_b32_e32 v2, s10
	s_xor_b64 exec, exec, s[6:7]
	s_cbranch_execz .LBB1_3834
; %bb.18171:
	s_getpc_b64 s[14:15]
.Lpost_getpc4989:
	s_add_u32 s14, s14, (.LBB1_7932-.Lpost_getpc4989)&4294967295
	s_addc_u32 s15, s15, (.LBB1_7932-.Lpost_getpc4989)>>32
	s_setpc_b64 s[14:15]
.LBB1_3834:
	s_or_b64 exec, exec, s[6:7]
	s_and_saveexec_b64 s[6:7], s[4:5]
	s_cbranch_execz .LBB1_3836
.LBB1_3835:
	v_bfe_u32 v2, v19, 24, 3
	v_ffbh_u32_e32 v14, v2
	v_min_u32_e32 v14, 32, v14
	v_lshrrev_b32_e32 v12, 27, v19
	v_subrev_u32_e32 v16, 28, v14
	v_and_b32_e32 v12, 15, v12
	v_lshlrev_b32_sdwa v16, v16, v19 dst_sel:DWORD dst_unused:UNUSED_PAD src0_sel:DWORD src1_sel:BYTE_3
	v_bfe_u32 v13, v19, 27, 4
	v_sub_u32_e32 v14, 29, v14
	v_and_b32_e32 v16, 7, v16
	v_cmp_eq_u16_e32 vcc, 0, v12
	v_cndmask_b32_e32 v2, v2, v16, vcc
	v_cndmask_b32_e32 v12, v13, v14, vcc
	v_mov_b32_e32 v13, 0x3b800000
	v_and_b32_e32 v3, 0x80000000, v19
	v_lshlrev_b32_e32 v2, 20, v2
	v_lshl_add_u32 v12, v12, 23, v13
	v_or3_b32 v2, v3, v12, v2
.LBB1_3836:
	s_or_b64 exec, exec, s[6:7]
	s_movk_i32 s4, 0x7f
	v_cmp_gt_i16_sdwa s[6:7], v15, s4 src0_sel:BYTE_3 src1_sel:DWORD
	s_mov_b64 s[4:5], 0
                                        ; implicit-def: $sgpr10
	s_and_saveexec_b64 s[8:9], s[6:7]
	s_xor_b64 s[6:7], exec, s[8:9]
	s_cbranch_execz .LBB1_3837
; %bb.18173:
	s_getpc_b64 s[14:15]
.Lpost_getpc4990:
	s_add_u32 s14, s14, (.LBB1_7933-.Lpost_getpc4990)&4294967295
	s_addc_u32 s15, s15, (.LBB1_7933-.Lpost_getpc4990)>>32
	s_setpc_b64 s[14:15]
.LBB1_3837:
	s_or_saveexec_b64 s[6:7], s[6:7]
	v_mov_b32_e32 v3, s10
	s_xor_b64 exec, exec, s[6:7]
	s_cbranch_execz .LBB1_3838
; %bb.18175:
	s_getpc_b64 s[14:15]
.Lpost_getpc4991:
	s_add_u32 s14, s14, (.LBB1_7936-.Lpost_getpc4991)&4294967295
	s_addc_u32 s15, s15, (.LBB1_7936-.Lpost_getpc4991)>>32
	s_setpc_b64 s[14:15]
.LBB1_3838:
	s_or_b64 exec, exec, s[6:7]
	s_and_saveexec_b64 s[6:7], s[4:5]
	s_cbranch_execz .LBB1_3840
.LBB1_3839:
	v_bfe_u32 v3, v15, 24, 2
	v_ffbh_u32_e32 v16, v3
	v_min_u32_e32 v16, 32, v16
	v_lshrrev_b32_e32 v13, 26, v15
	v_subrev_u32_e32 v17, 29, v16
	v_and_b32_e32 v12, 0x80000000, v15
	v_and_b32_e32 v13, 31, v13
	v_bfe_u32 v14, v15, 26, 5
	v_lshlrev_b32_sdwa v15, v17, v15 dst_sel:DWORD dst_unused:UNUSED_PAD src0_sel:DWORD src1_sel:BYTE_3
	v_sub_u32_e32 v16, 30, v16
	v_and_b32_e32 v15, 3, v15
	v_cmp_eq_u16_e32 vcc, 0, v13
	v_cndmask_b32_e32 v3, v3, v15, vcc
	v_cndmask_b32_e32 v13, v14, v16, vcc
	v_mov_b32_e32 v14, 0x37800000
	v_lshlrev_b32_e32 v3, 21, v3
	v_lshl_add_u32 v13, v13, 23, v14
	v_or3_b32 v3, v12, v13, v3
.LBB1_3840:
	s_or_b64 exec, exec, s[6:7]
	s_nop 0
	v_mfma_f32_16x16x4f32 a[0:3], v2, v3, a[0:3]
	s_movk_i32 s4, 0x7f
                                        ; implicit-def: $sgpr10
	s_nop 7
	s_nop 1
	flat_store_dwordx4 v[10:11], a[0:3] offset:464
	flat_load_dword v12, v[0:1] offset:544
	flat_load_dwordx2 v[2:3], v[6:7]
	s_waitcnt vmcnt(0) lgkmcnt(0)
	v_ashrrev_i32_e32 v13, 31, v12
	v_add_co_u32_e32 v2, vcc, v2, v12
	v_addc_co_u32_e32 v3, vcc, v3, v13, vcc
	flat_load_dwordx4 v[12:15], v[2:3] offset:1024
	v_mov_b32_e32 v2, 8
	s_waitcnt vmcnt(0) lgkmcnt(0)
	flat_store_dwordx4 v[8:9], v[12:15]
	flat_load_dwordx4 v[16:19], v[4:5]
	v_lshrrev_b32_sdwa v2, v2, v14 dst_sel:BYTE_1 dst_unused:UNUSED_PAD src0_sel:DWORD src1_sel:DWORD
	s_waitcnt vmcnt(0) lgkmcnt(0)
	v_cmp_gt_i16_sdwa s[6:7], v16, s4 src0_sel:BYTE_0 src1_sel:DWORD
	s_mov_b64 s[4:5], 0
	s_and_saveexec_b64 s[8:9], s[6:7]
	s_xor_b64 s[6:7], exec, s[8:9]
	s_cbranch_execz .LBB1_3841
; %bb.18177:
	s_getpc_b64 s[14:15]
.Lpost_getpc4992:
	s_add_u32 s14, s14, (.LBB1_7937-.Lpost_getpc4992)&4294967295
	s_addc_u32 s15, s15, (.LBB1_7937-.Lpost_getpc4992)>>32
	s_setpc_b64 s[14:15]
.LBB1_3841:
	s_or_saveexec_b64 s[6:7], s[6:7]
	v_mov_b32_e32 v3, s10
	s_xor_b64 exec, exec, s[6:7]
	s_cbranch_execz .LBB1_3842
; %bb.18179:
	s_getpc_b64 s[14:15]
.Lpost_getpc4993:
	s_add_u32 s14, s14, (.LBB1_7940-.Lpost_getpc4993)&4294967295
	s_addc_u32 s15, s15, (.LBB1_7940-.Lpost_getpc4993)>>32
	s_setpc_b64 s[14:15]
.LBB1_3842:
	s_or_b64 exec, exec, s[6:7]
	s_and_saveexec_b64 s[6:7], s[4:5]
	s_cbranch_execz .LBB1_3844
.LBB1_3843:
	v_and_b32_e32 v3, 7, v16
	v_ffbh_u32_e32 v21, v3
	v_min_u32_e32 v21, 32, v21
	v_lshrrev_b16_e32 v20, 3, v16
	v_subrev_u32_e32 v22, 28, v21
	v_and_b32_e32 v20, 15, v20
	v_lshlrev_b32_e32 v22, v22, v16
	v_sub_u32_e32 v21, 29, v21
	v_and_b32_e32 v22, 7, v22
	v_cmp_eq_u16_e32 vcc, 0, v20
	v_cndmask_b32_e32 v3, v3, v22, vcc
	v_cndmask_b32_e32 v20, v20, v21, vcc
	v_lshlrev_b32_e32 v21, 24, v16
	v_mov_b32_e32 v22, 0x3b800000
	v_lshlrev_b32_e32 v3, 20, v3
	v_and_b32_e32 v21, 0x80000000, v21
	v_lshl_add_u32 v20, v20, 23, v22
	v_or3_b32 v3, v21, v20, v3
.LBB1_3844:
	s_or_b64 exec, exec, s[6:7]
	s_movk_i32 s4, 0x7f
	v_cmp_gt_i16_sdwa s[6:7], v12, s4 src0_sel:BYTE_0 src1_sel:DWORD
	s_mov_b64 s[4:5], 0
                                        ; implicit-def: $sgpr10
	s_and_saveexec_b64 s[8:9], s[6:7]
	s_xor_b64 s[6:7], exec, s[8:9]
	s_cbranch_execz .LBB1_3845
; %bb.18181:
	s_getpc_b64 s[14:15]
.Lpost_getpc4994:
	s_add_u32 s14, s14, (.LBB1_7941-.Lpost_getpc4994)&4294967295
	s_addc_u32 s15, s15, (.LBB1_7941-.Lpost_getpc4994)>>32
	s_setpc_b64 s[14:15]
.LBB1_3845:
	s_or_saveexec_b64 s[6:7], s[6:7]
	v_mov_b32_e32 v20, s10
	s_xor_b64 exec, exec, s[6:7]
	s_cbranch_execz .LBB1_3846
; %bb.18183:
	s_getpc_b64 s[14:15]
.Lpost_getpc4995:
	s_add_u32 s14, s14, (.LBB1_7944-.Lpost_getpc4995)&4294967295
	s_addc_u32 s15, s15, (.LBB1_7944-.Lpost_getpc4995)>>32
	s_setpc_b64 s[14:15]
.LBB1_3846:
	s_or_b64 exec, exec, s[6:7]
	s_and_saveexec_b64 s[6:7], s[4:5]
	s_cbranch_execz .LBB1_3848
.LBB1_3847:
	v_and_b32_e32 v20, 3, v12
	v_ffbh_u32_e32 v22, v20
	v_min_u32_e32 v22, 32, v22
	v_lshrrev_b16_e32 v21, 2, v12
	v_subrev_u32_e32 v23, 29, v22
	v_and_b32_e32 v21, 31, v21
	v_lshlrev_b32_e32 v23, v23, v12
	v_sub_u32_e32 v22, 30, v22
	v_and_b32_e32 v23, 3, v23
	v_cmp_eq_u16_e32 vcc, 0, v21
	v_cndmask_b32_e32 v20, v20, v23, vcc
	v_cndmask_b32_e32 v21, v21, v22, vcc
	v_lshlrev_b32_e32 v22, 24, v12
	v_mov_b32_e32 v23, 0x37800000
	v_lshlrev_b32_e32 v20, 21, v20
	v_and_b32_e32 v22, 0x80000000, v22
	v_lshl_add_u32 v21, v21, 23, v23
	v_or3_b32 v20, v22, v21, v20
.LBB1_3848:
	s_or_b64 exec, exec, s[6:7]
	flat_load_dwordx4 a[0:3], v[10:11] offset:480
	s_movk_i32 s4, 0x7f
                                        ; implicit-def: $sgpr10
	s_waitcnt vmcnt(0) lgkmcnt(0)
	v_mfma_f32_16x16x4f32 a[0:3], v3, v20, a[0:3]
	v_lshrrev_b32_e32 v20, 8, v16
	v_cmp_gt_i16_sdwa s[6:7], v20, s4 src0_sel:BYTE_0 src1_sel:DWORD
	s_mov_b64 s[4:5], 0
	s_and_saveexec_b64 s[8:9], s[6:7]
	s_xor_b64 s[6:7], exec, s[8:9]
	s_cbranch_execz .LBB1_3849
; %bb.18185:
	s_getpc_b64 s[14:15]
.Lpost_getpc4996:
	s_add_u32 s14, s14, (.LBB1_7945-.Lpost_getpc4996)&4294967295
	s_addc_u32 s15, s15, (.LBB1_7945-.Lpost_getpc4996)>>32
	s_setpc_b64 s[14:15]
.LBB1_3849:
	s_or_saveexec_b64 s[6:7], s[6:7]
	v_mov_b32_e32 v3, s10
	s_xor_b64 exec, exec, s[6:7]
	s_cbranch_execz .LBB1_3850
; %bb.18187:
	s_getpc_b64 s[14:15]
.Lpost_getpc4997:
	s_add_u32 s14, s14, (.LBB1_7948-.Lpost_getpc4997)&4294967295
	s_addc_u32 s15, s15, (.LBB1_7948-.Lpost_getpc4997)>>32
	s_setpc_b64 s[14:15]
.LBB1_3850:
	s_or_b64 exec, exec, s[6:7]
	s_and_saveexec_b64 s[6:7], s[4:5]
	s_cbranch_execz .LBB1_3852
.LBB1_3851:
	v_bfe_u32 v3, v16, 8, 3
	v_ffbh_u32_e32 v22, v3
	v_min_u32_e32 v22, 32, v22
	v_lshrrev_b16_e32 v21, 3, v20
	v_subrev_u32_e32 v23, 28, v22
	v_and_b32_e32 v21, 15, v21
	v_lshlrev_b32_e32 v20, v23, v20
	v_sub_u32_e32 v22, 29, v22
	v_and_b32_e32 v20, 7, v20
	v_cmp_eq_u16_e32 vcc, 0, v21
	v_cndmask_b32_e32 v3, v3, v20, vcc
	v_cndmask_b32_e32 v20, v21, v22, vcc
	v_lshlrev_b32_e32 v21, 16, v16
	v_mov_b32_e32 v22, 0x3b800000
	v_lshlrev_b32_e32 v3, 20, v3
	v_and_b32_e32 v21, 0x80000000, v21
	v_lshl_add_u32 v20, v20, 23, v22
	v_or3_b32 v3, v21, v20, v3
.LBB1_3852:
	s_or_b64 exec, exec, s[6:7]
	v_lshrrev_b32_e32 v20, 8, v12
	s_movk_i32 s4, 0x7f
	v_cmp_gt_i16_sdwa s[6:7], v20, s4 src0_sel:BYTE_0 src1_sel:DWORD
	s_mov_b64 s[4:5], 0
                                        ; implicit-def: $sgpr10
	s_and_saveexec_b64 s[8:9], s[6:7]
	s_xor_b64 s[6:7], exec, s[8:9]
	s_cbranch_execz .LBB1_3853
; %bb.18189:
	s_getpc_b64 s[14:15]
.Lpost_getpc4998:
	s_add_u32 s14, s14, (.LBB1_7949-.Lpost_getpc4998)&4294967295
	s_addc_u32 s15, s15, (.LBB1_7949-.Lpost_getpc4998)>>32
	s_setpc_b64 s[14:15]
.LBB1_3853:
	s_or_saveexec_b64 s[6:7], s[6:7]
	v_mov_b32_e32 v21, s10
	s_xor_b64 exec, exec, s[6:7]
	s_cbranch_execz .LBB1_3854
; %bb.18191:
	s_getpc_b64 s[14:15]
.Lpost_getpc4999:
	s_add_u32 s14, s14, (.LBB1_7952-.Lpost_getpc4999)&4294967295
	s_addc_u32 s15, s15, (.LBB1_7952-.Lpost_getpc4999)>>32
	s_setpc_b64 s[14:15]
.LBB1_3854:
	s_or_b64 exec, exec, s[6:7]
	s_and_saveexec_b64 s[6:7], s[4:5]
	s_cbranch_execz .LBB1_3856
.LBB1_3855:
	v_bfe_u32 v21, v12, 8, 2
	v_ffbh_u32_e32 v23, v21
	v_min_u32_e32 v23, 32, v23
	v_lshrrev_b16_e32 v22, 2, v20
	v_subrev_u32_e32 v24, 29, v23
	v_and_b32_e32 v22, 31, v22
	v_lshlrev_b32_e32 v20, v24, v20
	v_sub_u32_e32 v23, 30, v23
	v_and_b32_e32 v20, 3, v20
	v_cmp_eq_u16_e32 vcc, 0, v22
	v_cndmask_b32_e32 v20, v21, v20, vcc
	v_cndmask_b32_e32 v21, v22, v23, vcc
	v_lshlrev_b32_e32 v22, 16, v12
	v_mov_b32_e32 v23, 0x37800000
	v_lshlrev_b32_e32 v20, 21, v20
	v_and_b32_e32 v22, 0x80000000, v22
	v_lshl_add_u32 v21, v21, 23, v23
	v_or3_b32 v21, v22, v21, v20
.LBB1_3856:
	s_or_b64 exec, exec, s[6:7]
	s_nop 0
	v_mfma_f32_16x16x4f32 a[0:3], v3, v21, a[0:3]
	s_movk_i32 s4, 0xff
	v_and_b32_sdwa v20, v16, s4 dst_sel:DWORD dst_unused:UNUSED_PAD src0_sel:WORD_1 src1_sel:DWORD
	s_movk_i32 s4, 0x7f
	v_cmp_lt_i16_e32 vcc, s4, v20
	s_mov_b64 s[4:5], 0
                                        ; implicit-def: $sgpr10
	s_and_saveexec_b64 s[6:7], vcc
	s_xor_b64 s[6:7], exec, s[6:7]
	s_cbranch_execz .LBB1_3857
; %bb.18193:
	s_getpc_b64 s[14:15]
.Lpost_getpc5000:
	s_add_u32 s14, s14, (.LBB1_7953-.Lpost_getpc5000)&4294967295
	s_addc_u32 s15, s15, (.LBB1_7953-.Lpost_getpc5000)>>32
	s_setpc_b64 s[14:15]
.LBB1_3857:
	s_or_saveexec_b64 s[6:7], s[6:7]
	v_mov_b32_e32 v3, s10
	s_xor_b64 exec, exec, s[6:7]
	s_cbranch_execz .LBB1_3858
; %bb.18195:
	s_getpc_b64 s[14:15]
.Lpost_getpc5001:
	s_add_u32 s14, s14, (.LBB1_7956-.Lpost_getpc5001)&4294967295
	s_addc_u32 s15, s15, (.LBB1_7956-.Lpost_getpc5001)>>32
	s_setpc_b64 s[14:15]
.LBB1_3858:
	s_or_b64 exec, exec, s[6:7]
	s_and_saveexec_b64 s[6:7], s[4:5]
	s_cbranch_execz .LBB1_3860
.LBB1_3859:
	v_bfe_u32 v3, v16, 16, 3
	v_ffbh_u32_e32 v22, v3
	v_min_u32_e32 v22, 32, v22
	v_lshrrev_b32_e32 v20, 19, v16
	v_subrev_u32_e32 v23, 28, v22
	v_and_b32_e32 v20, 15, v20
	v_lshlrev_b32_sdwa v23, v23, v16 dst_sel:DWORD dst_unused:UNUSED_PAD src0_sel:DWORD src1_sel:WORD_1
	v_bfe_u32 v21, v16, 19, 4
	v_sub_u32_e32 v22, 29, v22
	v_and_b32_e32 v23, 7, v23
	v_cmp_eq_u16_e32 vcc, 0, v20
	v_cndmask_b32_e32 v3, v3, v23, vcc
	v_cndmask_b32_e32 v20, v21, v22, vcc
	v_lshlrev_b32_e32 v21, 8, v16
	v_mov_b32_e32 v22, 0x3b800000
	v_lshlrev_b32_e32 v3, 20, v3
	v_and_b32_e32 v21, 0x80000000, v21
	v_lshl_add_u32 v20, v20, 23, v22
	v_or3_b32 v3, v21, v20, v3
.LBB1_3860:
	s_or_b64 exec, exec, s[6:7]
	s_movk_i32 s4, 0xff
	v_and_b32_sdwa v20, v12, s4 dst_sel:DWORD dst_unused:UNUSED_PAD src0_sel:WORD_1 src1_sel:DWORD
	s_movk_i32 s4, 0x7f
	v_cmp_lt_i16_e32 vcc, s4, v20
	s_mov_b64 s[4:5], 0
                                        ; implicit-def: $sgpr10
	s_and_saveexec_b64 s[6:7], vcc
	s_xor_b64 s[6:7], exec, s[6:7]
	s_cbranch_execz .LBB1_3861
; %bb.18197:
	s_getpc_b64 s[14:15]
.Lpost_getpc5002:
	s_add_u32 s14, s14, (.LBB1_7957-.Lpost_getpc5002)&4294967295
	s_addc_u32 s15, s15, (.LBB1_7957-.Lpost_getpc5002)>>32
	s_setpc_b64 s[14:15]
.LBB1_3861:
	s_or_saveexec_b64 s[6:7], s[6:7]
	v_mov_b32_e32 v21, s10
	s_xor_b64 exec, exec, s[6:7]
	s_cbranch_execz .LBB1_3862
; %bb.18199:
	s_getpc_b64 s[14:15]
.Lpost_getpc5003:
	s_add_u32 s14, s14, (.LBB1_7960-.Lpost_getpc5003)&4294967295
	s_addc_u32 s15, s15, (.LBB1_7960-.Lpost_getpc5003)>>32
	s_setpc_b64 s[14:15]
.LBB1_3862:
	s_or_b64 exec, exec, s[6:7]
	s_and_saveexec_b64 s[6:7], s[4:5]
	s_cbranch_execz .LBB1_3864
.LBB1_3863:
	v_bfe_u32 v20, v12, 16, 2
	v_ffbh_u32_e32 v23, v20
	v_min_u32_e32 v23, 32, v23
	v_lshrrev_b32_e32 v21, 18, v12
	v_subrev_u32_e32 v24, 29, v23
	v_and_b32_e32 v21, 31, v21
	v_lshlrev_b32_sdwa v24, v24, v12 dst_sel:DWORD dst_unused:UNUSED_PAD src0_sel:DWORD src1_sel:WORD_1
	v_bfe_u32 v22, v12, 18, 5
	v_sub_u32_e32 v23, 30, v23
	v_and_b32_e32 v24, 3, v24
	v_cmp_eq_u16_e32 vcc, 0, v21
	v_cndmask_b32_e32 v20, v20, v24, vcc
	v_cndmask_b32_e32 v21, v22, v23, vcc
	v_lshlrev_b32_e32 v22, 8, v12
	v_mov_b32_e32 v23, 0x37800000
	v_lshlrev_b32_e32 v20, 21, v20
	v_and_b32_e32 v22, 0x80000000, v22
	v_lshl_add_u32 v21, v21, 23, v23
	v_or3_b32 v21, v22, v21, v20
.LBB1_3864:
	s_or_b64 exec, exec, s[6:7]
	s_nop 0
	v_mfma_f32_16x16x4f32 a[0:3], v3, v21, a[0:3]
	s_movk_i32 s4, 0x7f
	v_cmp_gt_i16_sdwa s[6:7], v16, s4 src0_sel:BYTE_3 src1_sel:DWORD
	s_mov_b64 s[4:5], 0
                                        ; implicit-def: $sgpr10
	s_and_saveexec_b64 s[8:9], s[6:7]
	s_xor_b64 s[6:7], exec, s[8:9]
	s_cbranch_execz .LBB1_3865
; %bb.18201:
	s_getpc_b64 s[14:15]
.Lpost_getpc5004:
	s_add_u32 s14, s14, (.LBB1_7961-.Lpost_getpc5004)&4294967295
	s_addc_u32 s15, s15, (.LBB1_7961-.Lpost_getpc5004)>>32
	s_setpc_b64 s[14:15]
.LBB1_3865:
	s_or_saveexec_b64 s[6:7], s[6:7]
	v_mov_b32_e32 v3, s10
	s_xor_b64 exec, exec, s[6:7]
	s_cbranch_execz .LBB1_3866
; %bb.18203:
	s_getpc_b64 s[14:15]
.Lpost_getpc5005:
	s_add_u32 s14, s14, (.LBB1_7964-.Lpost_getpc5005)&4294967295
	s_addc_u32 s15, s15, (.LBB1_7964-.Lpost_getpc5005)>>32
	s_setpc_b64 s[14:15]
.LBB1_3866:
	s_or_b64 exec, exec, s[6:7]
	s_and_saveexec_b64 s[6:7], s[4:5]
	s_cbranch_execz .LBB1_3868
.LBB1_3867:
	v_bfe_u32 v3, v16, 24, 3
	v_ffbh_u32_e32 v23, v3
	v_min_u32_e32 v23, 32, v23
	v_lshrrev_b32_e32 v21, 27, v16
	v_subrev_u32_e32 v24, 28, v23
	v_and_b32_e32 v20, 0x80000000, v16
	v_and_b32_e32 v21, 15, v21
	v_bfe_u32 v22, v16, 27, 4
	v_lshlrev_b32_sdwa v16, v24, v16 dst_sel:DWORD dst_unused:UNUSED_PAD src0_sel:DWORD src1_sel:BYTE_3
	v_sub_u32_e32 v23, 29, v23
	v_and_b32_e32 v16, 7, v16
	v_cmp_eq_u16_e32 vcc, 0, v21
	v_cndmask_b32_e32 v3, v3, v16, vcc
	v_cndmask_b32_e32 v16, v22, v23, vcc
	v_mov_b32_e32 v21, 0x3b800000
	v_lshlrev_b32_e32 v3, 20, v3
	v_lshl_add_u32 v16, v16, 23, v21
	v_or3_b32 v3, v20, v16, v3
.LBB1_3868:
	s_or_b64 exec, exec, s[6:7]
	s_movk_i32 s4, 0x7f
	v_cmp_gt_i16_sdwa s[6:7], v12, s4 src0_sel:BYTE_3 src1_sel:DWORD
	s_mov_b64 s[4:5], 0
                                        ; implicit-def: $sgpr10
	s_and_saveexec_b64 s[8:9], s[6:7]
	s_xor_b64 s[6:7], exec, s[8:9]
	s_cbranch_execz .LBB1_3869
; %bb.18205:
	s_getpc_b64 s[14:15]
.Lpost_getpc5006:
	s_add_u32 s14, s14, (.LBB1_7965-.Lpost_getpc5006)&4294967295
	s_addc_u32 s15, s15, (.LBB1_7965-.Lpost_getpc5006)>>32
	s_setpc_b64 s[14:15]
.LBB1_3869:
	s_or_saveexec_b64 s[6:7], s[6:7]
	v_mov_b32_e32 v16, s10
	s_xor_b64 exec, exec, s[6:7]
	s_cbranch_execz .LBB1_3870
; %bb.18207:
	s_getpc_b64 s[14:15]
.Lpost_getpc5007:
	s_add_u32 s14, s14, (.LBB1_7968-.Lpost_getpc5007)&4294967295
	s_addc_u32 s15, s15, (.LBB1_7968-.Lpost_getpc5007)>>32
	s_setpc_b64 s[14:15]
.LBB1_3870:
	s_or_b64 exec, exec, s[6:7]
	s_and_saveexec_b64 s[6:7], s[4:5]
	s_cbranch_execz .LBB1_3872
.LBB1_3871:
	v_bfe_u32 v16, v12, 24, 2
	v_ffbh_u32_e32 v23, v16
	v_min_u32_e32 v23, 32, v23
	v_lshrrev_b32_e32 v21, 26, v12
	v_subrev_u32_e32 v24, 29, v23
	v_and_b32_e32 v20, 0x80000000, v12
	v_and_b32_e32 v21, 31, v21
	v_bfe_u32 v22, v12, 26, 5
	v_lshlrev_b32_sdwa v12, v24, v12 dst_sel:DWORD dst_unused:UNUSED_PAD src0_sel:DWORD src1_sel:BYTE_3
	v_sub_u32_e32 v23, 30, v23
	v_and_b32_e32 v12, 3, v12
	v_cmp_eq_u16_e32 vcc, 0, v21
	v_cndmask_b32_e32 v12, v16, v12, vcc
	v_cndmask_b32_e32 v16, v22, v23, vcc
	v_mov_b32_e32 v21, 0x37800000
	v_lshlrev_b32_e32 v12, 21, v12
	v_lshl_add_u32 v16, v16, 23, v21
	v_or3_b32 v16, v20, v16, v12
.LBB1_3872:
	s_or_b64 exec, exec, s[6:7]
	s_nop 0
	v_mfma_f32_16x16x4f32 a[0:3], v3, v16, a[0:3]
	s_movk_i32 s4, 0x7f
	v_cmp_gt_i16_sdwa s[6:7], v17, s4 src0_sel:BYTE_0 src1_sel:DWORD
	s_mov_b64 s[4:5], 0
                                        ; implicit-def: $sgpr10
	s_and_saveexec_b64 s[8:9], s[6:7]
	s_xor_b64 s[6:7], exec, s[8:9]
	s_cbranch_execz .LBB1_3873
; %bb.18209:
	s_getpc_b64 s[14:15]
.Lpost_getpc5008:
	s_add_u32 s14, s14, (.LBB1_7969-.Lpost_getpc5008)&4294967295
	s_addc_u32 s15, s15, (.LBB1_7969-.Lpost_getpc5008)>>32
	s_setpc_b64 s[14:15]
.LBB1_3873:
	s_or_saveexec_b64 s[6:7], s[6:7]
	v_mov_b32_e32 v3, s10
	s_xor_b64 exec, exec, s[6:7]
	s_cbranch_execz .LBB1_3874
; %bb.18211:
	s_getpc_b64 s[14:15]
.Lpost_getpc5009:
	s_add_u32 s14, s14, (.LBB1_7972-.Lpost_getpc5009)&4294967295
	s_addc_u32 s15, s15, (.LBB1_7972-.Lpost_getpc5009)>>32
	s_setpc_b64 s[14:15]
.LBB1_3874:
	s_or_b64 exec, exec, s[6:7]
	s_and_saveexec_b64 s[6:7], s[4:5]
	s_cbranch_execz .LBB1_3876
.LBB1_3875:
	v_and_b32_e32 v3, 7, v17
	v_ffbh_u32_e32 v16, v3
	v_min_u32_e32 v16, 32, v16
	v_lshrrev_b16_e32 v12, 3, v17
	v_subrev_u32_e32 v20, 28, v16
	v_and_b32_e32 v12, 15, v12
	v_lshlrev_b32_e32 v20, v20, v17
	v_sub_u32_e32 v16, 29, v16
	v_and_b32_e32 v20, 7, v20
	v_cmp_eq_u16_e32 vcc, 0, v12
	v_cndmask_b32_e32 v3, v3, v20, vcc
	v_cndmask_b32_e32 v12, v12, v16, vcc
	v_lshlrev_b32_e32 v16, 24, v17
	v_mov_b32_e32 v20, 0x3b800000
	v_lshlrev_b32_e32 v3, 20, v3
	v_and_b32_e32 v16, 0x80000000, v16
	v_lshl_add_u32 v12, v12, 23, v20
	v_or3_b32 v3, v16, v12, v3
.LBB1_3876:
	s_or_b64 exec, exec, s[6:7]
	s_movk_i32 s4, 0x7f
	v_cmp_gt_i16_sdwa s[6:7], v13, s4 src0_sel:BYTE_0 src1_sel:DWORD
	s_mov_b64 s[4:5], 0
                                        ; implicit-def: $sgpr10
	s_and_saveexec_b64 s[8:9], s[6:7]
	s_xor_b64 s[6:7], exec, s[8:9]
	s_cbranch_execz .LBB1_3877
; %bb.18213:
	s_getpc_b64 s[14:15]
.Lpost_getpc5010:
	s_add_u32 s14, s14, (.LBB1_7973-.Lpost_getpc5010)&4294967295
	s_addc_u32 s15, s15, (.LBB1_7973-.Lpost_getpc5010)>>32
	s_setpc_b64 s[14:15]
.LBB1_3877:
	s_or_saveexec_b64 s[6:7], s[6:7]
	v_mov_b32_e32 v12, s10
	s_xor_b64 exec, exec, s[6:7]
	s_cbranch_execz .LBB1_3878
; %bb.18215:
	s_getpc_b64 s[14:15]
.Lpost_getpc5011:
	s_add_u32 s14, s14, (.LBB1_7976-.Lpost_getpc5011)&4294967295
	s_addc_u32 s15, s15, (.LBB1_7976-.Lpost_getpc5011)>>32
	s_setpc_b64 s[14:15]
.LBB1_3878:
	s_or_b64 exec, exec, s[6:7]
	s_and_saveexec_b64 s[6:7], s[4:5]
	s_cbranch_execz .LBB1_3880
.LBB1_3879:
	v_and_b32_e32 v12, 3, v13
	v_ffbh_u32_e32 v20, v12
	v_min_u32_e32 v20, 32, v20
	v_lshrrev_b16_e32 v16, 2, v13
	v_subrev_u32_e32 v21, 29, v20
	v_and_b32_e32 v16, 31, v16
	v_lshlrev_b32_e32 v21, v21, v13
	v_sub_u32_e32 v20, 30, v20
	v_and_b32_e32 v21, 3, v21
	v_cmp_eq_u16_e32 vcc, 0, v16
	v_cndmask_b32_e32 v12, v12, v21, vcc
	v_cndmask_b32_e32 v16, v16, v20, vcc
	v_lshlrev_b32_e32 v20, 24, v13
	v_mov_b32_e32 v21, 0x37800000
	v_lshlrev_b32_e32 v12, 21, v12
	v_and_b32_e32 v20, 0x80000000, v20
	v_lshl_add_u32 v16, v16, 23, v21
	v_or3_b32 v12, v20, v16, v12
.LBB1_3880:
	s_or_b64 exec, exec, s[6:7]
	s_nop 0
	v_mfma_f32_16x16x4f32 a[0:3], v3, v12, a[0:3]
	v_lshrrev_b32_e32 v12, 8, v17
	s_movk_i32 s4, 0x7f
	v_cmp_gt_i16_sdwa s[6:7], v12, s4 src0_sel:BYTE_0 src1_sel:DWORD
	s_mov_b64 s[4:5], 0
                                        ; implicit-def: $sgpr10
	s_and_saveexec_b64 s[8:9], s[6:7]
	s_xor_b64 s[6:7], exec, s[8:9]
	s_cbranch_execz .LBB1_3881
; %bb.18217:
	s_getpc_b64 s[14:15]
.Lpost_getpc5012:
	s_add_u32 s14, s14, (.LBB1_7977-.Lpost_getpc5012)&4294967295
	s_addc_u32 s15, s15, (.LBB1_7977-.Lpost_getpc5012)>>32
	s_setpc_b64 s[14:15]
.LBB1_3881:
	s_or_saveexec_b64 s[6:7], s[6:7]
	v_mov_b32_e32 v3, s10
	s_xor_b64 exec, exec, s[6:7]
	s_cbranch_execz .LBB1_3882
; %bb.18219:
	s_getpc_b64 s[14:15]
.Lpost_getpc5013:
	s_add_u32 s14, s14, (.LBB1_7980-.Lpost_getpc5013)&4294967295
	s_addc_u32 s15, s15, (.LBB1_7980-.Lpost_getpc5013)>>32
	s_setpc_b64 s[14:15]
.LBB1_3882:
	s_or_b64 exec, exec, s[6:7]
	s_and_saveexec_b64 s[6:7], s[4:5]
	s_cbranch_execz .LBB1_3884
.LBB1_3883:
	v_bfe_u32 v3, v17, 8, 3
	v_ffbh_u32_e32 v20, v3
	v_min_u32_e32 v20, 32, v20
	v_lshrrev_b16_e32 v16, 3, v12
	v_subrev_u32_e32 v21, 28, v20
	v_and_b32_e32 v16, 15, v16
	v_lshlrev_b32_e32 v12, v21, v12
	v_sub_u32_e32 v20, 29, v20
	v_and_b32_e32 v12, 7, v12
	v_cmp_eq_u16_e32 vcc, 0, v16
	v_cndmask_b32_e32 v3, v3, v12, vcc
	v_cndmask_b32_e32 v12, v16, v20, vcc
	v_lshlrev_b32_e32 v16, 16, v17
	v_mov_b32_e32 v20, 0x3b800000
	v_lshlrev_b32_e32 v3, 20, v3
	v_and_b32_e32 v16, 0x80000000, v16
	v_lshl_add_u32 v12, v12, 23, v20
	v_or3_b32 v3, v16, v12, v3
.LBB1_3884:
	s_or_b64 exec, exec, s[6:7]
	v_lshrrev_b32_e32 v12, 8, v13
	s_movk_i32 s4, 0x7f
	v_cmp_gt_i16_sdwa s[6:7], v12, s4 src0_sel:BYTE_0 src1_sel:DWORD
	s_mov_b64 s[4:5], 0
                                        ; implicit-def: $sgpr10
	s_and_saveexec_b64 s[8:9], s[6:7]
	s_xor_b64 s[6:7], exec, s[8:9]
	s_cbranch_execz .LBB1_3885
; %bb.18221:
	s_getpc_b64 s[14:15]
.Lpost_getpc5014:
	s_add_u32 s14, s14, (.LBB1_7981-.Lpost_getpc5014)&4294967295
	s_addc_u32 s15, s15, (.LBB1_7981-.Lpost_getpc5014)>>32
	s_setpc_b64 s[14:15]
.LBB1_3885:
	s_or_saveexec_b64 s[6:7], s[6:7]
	v_mov_b32_e32 v16, s10
	s_xor_b64 exec, exec, s[6:7]
	s_cbranch_execz .LBB1_3886
; %bb.18223:
	s_getpc_b64 s[14:15]
.Lpost_getpc5015:
	s_add_u32 s14, s14, (.LBB1_7984-.Lpost_getpc5015)&4294967295
	s_addc_u32 s15, s15, (.LBB1_7984-.Lpost_getpc5015)>>32
	s_setpc_b64 s[14:15]
.LBB1_3886:
	s_or_b64 exec, exec, s[6:7]
	s_and_saveexec_b64 s[6:7], s[4:5]
	s_cbranch_execz .LBB1_3888
.LBB1_3887:
	v_bfe_u32 v16, v13, 8, 2
	v_ffbh_u32_e32 v21, v16
	v_min_u32_e32 v21, 32, v21
	v_lshrrev_b16_e32 v20, 2, v12
	v_subrev_u32_e32 v22, 29, v21
	v_and_b32_e32 v20, 31, v20
	v_lshlrev_b32_e32 v12, v22, v12
	v_sub_u32_e32 v21, 30, v21
	v_and_b32_e32 v12, 3, v12
	v_cmp_eq_u16_e32 vcc, 0, v20
	v_cndmask_b32_e32 v12, v16, v12, vcc
	v_cndmask_b32_e32 v16, v20, v21, vcc
	v_lshlrev_b32_e32 v20, 16, v13
	v_mov_b32_e32 v21, 0x37800000
	v_lshlrev_b32_e32 v12, 21, v12
	v_and_b32_e32 v20, 0x80000000, v20
	v_lshl_add_u32 v16, v16, 23, v21
	v_or3_b32 v16, v20, v16, v12
.LBB1_3888:
	s_or_b64 exec, exec, s[6:7]
	s_nop 0
	v_mfma_f32_16x16x4f32 a[0:3], v3, v16, a[0:3]
	s_movk_i32 s4, 0xff
	v_and_b32_sdwa v12, v17, s4 dst_sel:DWORD dst_unused:UNUSED_PAD src0_sel:WORD_1 src1_sel:DWORD
	s_movk_i32 s4, 0x7f
	v_cmp_lt_i16_e32 vcc, s4, v12
	s_mov_b64 s[4:5], 0
                                        ; implicit-def: $sgpr10
	s_and_saveexec_b64 s[6:7], vcc
	s_xor_b64 s[6:7], exec, s[6:7]
	s_cbranch_execz .LBB1_3889
; %bb.18225:
	s_getpc_b64 s[14:15]
.Lpost_getpc5016:
	s_add_u32 s14, s14, (.LBB1_7985-.Lpost_getpc5016)&4294967295
	s_addc_u32 s15, s15, (.LBB1_7985-.Lpost_getpc5016)>>32
	s_setpc_b64 s[14:15]
.LBB1_3889:
	s_or_saveexec_b64 s[6:7], s[6:7]
	v_mov_b32_e32 v3, s10
	s_xor_b64 exec, exec, s[6:7]
	s_cbranch_execz .LBB1_3890
; %bb.18227:
	s_getpc_b64 s[14:15]
.Lpost_getpc5017:
	s_add_u32 s14, s14, (.LBB1_7988-.Lpost_getpc5017)&4294967295
	s_addc_u32 s15, s15, (.LBB1_7988-.Lpost_getpc5017)>>32
	s_setpc_b64 s[14:15]
.LBB1_3890:
	s_or_b64 exec, exec, s[6:7]
	s_and_saveexec_b64 s[6:7], s[4:5]
	s_cbranch_execz .LBB1_3892
.LBB1_3891:
	v_bfe_u32 v3, v17, 16, 3
	v_ffbh_u32_e32 v20, v3
	v_min_u32_e32 v20, 32, v20
	v_lshrrev_b32_e32 v12, 19, v17
	v_subrev_u32_e32 v21, 28, v20
	v_and_b32_e32 v12, 15, v12
	v_lshlrev_b32_sdwa v21, v21, v17 dst_sel:DWORD dst_unused:UNUSED_PAD src0_sel:DWORD src1_sel:WORD_1
	v_bfe_u32 v16, v17, 19, 4
	v_sub_u32_e32 v20, 29, v20
	v_and_b32_e32 v21, 7, v21
	v_cmp_eq_u16_e32 vcc, 0, v12
	v_cndmask_b32_e32 v3, v3, v21, vcc
	v_cndmask_b32_e32 v12, v16, v20, vcc
	v_lshlrev_b32_e32 v16, 8, v17
	v_mov_b32_e32 v20, 0x3b800000
	v_lshlrev_b32_e32 v3, 20, v3
	v_and_b32_e32 v16, 0x80000000, v16
	v_lshl_add_u32 v12, v12, 23, v20
	v_or3_b32 v3, v16, v12, v3
.LBB1_3892:
	s_or_b64 exec, exec, s[6:7]
	s_movk_i32 s4, 0xff
	v_and_b32_sdwa v12, v13, s4 dst_sel:DWORD dst_unused:UNUSED_PAD src0_sel:WORD_1 src1_sel:DWORD
	s_movk_i32 s4, 0x7f
	v_cmp_lt_i16_e32 vcc, s4, v12
	s_mov_b64 s[4:5], 0
                                        ; implicit-def: $sgpr10
	s_and_saveexec_b64 s[6:7], vcc
	s_xor_b64 s[6:7], exec, s[6:7]
	s_cbranch_execz .LBB1_3893
; %bb.18229:
	s_getpc_b64 s[14:15]
.Lpost_getpc5018:
	s_add_u32 s14, s14, (.LBB1_7989-.Lpost_getpc5018)&4294967295
	s_addc_u32 s15, s15, (.LBB1_7989-.Lpost_getpc5018)>>32
	s_setpc_b64 s[14:15]
.LBB1_3893:
	s_or_saveexec_b64 s[6:7], s[6:7]
	v_mov_b32_e32 v16, s10
	s_xor_b64 exec, exec, s[6:7]
	s_cbranch_execz .LBB1_3894
; %bb.18231:
	s_getpc_b64 s[14:15]
.Lpost_getpc5019:
	s_add_u32 s14, s14, (.LBB1_7992-.Lpost_getpc5019)&4294967295
	s_addc_u32 s15, s15, (.LBB1_7992-.Lpost_getpc5019)>>32
	s_setpc_b64 s[14:15]
.LBB1_3894:
	s_or_b64 exec, exec, s[6:7]
	s_and_saveexec_b64 s[6:7], s[4:5]
	s_cbranch_execz .LBB1_3896
.LBB1_3895:
	v_bfe_u32 v12, v13, 16, 2
	v_ffbh_u32_e32 v21, v12
	v_min_u32_e32 v21, 32, v21
	v_lshrrev_b32_e32 v16, 18, v13
	v_subrev_u32_e32 v22, 29, v21
	v_and_b32_e32 v16, 31, v16
	v_lshlrev_b32_sdwa v22, v22, v13 dst_sel:DWORD dst_unused:UNUSED_PAD src0_sel:DWORD src1_sel:WORD_1
	v_bfe_u32 v20, v13, 18, 5
	v_sub_u32_e32 v21, 30, v21
	v_and_b32_e32 v22, 3, v22
	v_cmp_eq_u16_e32 vcc, 0, v16
	v_cndmask_b32_e32 v12, v12, v22, vcc
	v_cndmask_b32_e32 v16, v20, v21, vcc
	v_lshlrev_b32_e32 v20, 8, v13
	v_mov_b32_e32 v21, 0x37800000
	v_lshlrev_b32_e32 v12, 21, v12
	v_and_b32_e32 v20, 0x80000000, v20
	v_lshl_add_u32 v16, v16, 23, v21
	v_or3_b32 v16, v20, v16, v12
.LBB1_3896:
	s_or_b64 exec, exec, s[6:7]
	s_nop 0
	v_mfma_f32_16x16x4f32 a[0:3], v3, v16, a[0:3]
	s_movk_i32 s4, 0x7f
	v_cmp_gt_i16_sdwa s[6:7], v17, s4 src0_sel:BYTE_3 src1_sel:DWORD
	s_mov_b64 s[4:5], 0
                                        ; implicit-def: $sgpr10
	s_and_saveexec_b64 s[8:9], s[6:7]
	s_xor_b64 s[6:7], exec, s[8:9]
	s_cbranch_execz .LBB1_3897
; %bb.18233:
	s_getpc_b64 s[14:15]
.Lpost_getpc5020:
	s_add_u32 s14, s14, (.LBB1_7993-.Lpost_getpc5020)&4294967295
	s_addc_u32 s15, s15, (.LBB1_7993-.Lpost_getpc5020)>>32
	s_setpc_b64 s[14:15]
.LBB1_3897:
	s_or_saveexec_b64 s[6:7], s[6:7]
	v_mov_b32_e32 v3, s10
	s_xor_b64 exec, exec, s[6:7]
	s_cbranch_execz .LBB1_3898
; %bb.18235:
	s_getpc_b64 s[14:15]
.Lpost_getpc5021:
	s_add_u32 s14, s14, (.LBB1_7996-.Lpost_getpc5021)&4294967295
	s_addc_u32 s15, s15, (.LBB1_7996-.Lpost_getpc5021)>>32
	s_setpc_b64 s[14:15]
.LBB1_3898:
	s_or_b64 exec, exec, s[6:7]
	s_and_saveexec_b64 s[6:7], s[4:5]
	s_cbranch_execz .LBB1_3900
.LBB1_3899:
	v_bfe_u32 v3, v17, 24, 3
	v_ffbh_u32_e32 v21, v3
	v_min_u32_e32 v21, 32, v21
	v_lshrrev_b32_e32 v16, 27, v17
	v_subrev_u32_e32 v22, 28, v21
	v_and_b32_e32 v12, 0x80000000, v17
	v_and_b32_e32 v16, 15, v16
	v_bfe_u32 v20, v17, 27, 4
	v_lshlrev_b32_sdwa v17, v22, v17 dst_sel:DWORD dst_unused:UNUSED_PAD src0_sel:DWORD src1_sel:BYTE_3
	v_sub_u32_e32 v21, 29, v21
	v_and_b32_e32 v17, 7, v17
	v_cmp_eq_u16_e32 vcc, 0, v16
	v_cndmask_b32_e32 v3, v3, v17, vcc
	v_cndmask_b32_e32 v16, v20, v21, vcc
	v_mov_b32_e32 v17, 0x3b800000
	v_lshlrev_b32_e32 v3, 20, v3
	v_lshl_add_u32 v16, v16, 23, v17
	v_or3_b32 v3, v12, v16, v3
.LBB1_3900:
	s_or_b64 exec, exec, s[6:7]
	s_movk_i32 s4, 0x7f
	v_cmp_gt_i16_sdwa s[6:7], v13, s4 src0_sel:BYTE_3 src1_sel:DWORD
	s_mov_b64 s[4:5], 0
                                        ; implicit-def: $sgpr10
	s_and_saveexec_b64 s[8:9], s[6:7]
	s_xor_b64 s[6:7], exec, s[8:9]
	s_cbranch_execz .LBB1_3901
; %bb.18237:
	s_getpc_b64 s[14:15]
.Lpost_getpc5022:
	s_add_u32 s14, s14, (.LBB1_7997-.Lpost_getpc5022)&4294967295
	s_addc_u32 s15, s15, (.LBB1_7997-.Lpost_getpc5022)>>32
	s_setpc_b64 s[14:15]
.LBB1_3901:
	s_or_saveexec_b64 s[6:7], s[6:7]
	v_mov_b32_e32 v12, s10
	s_xor_b64 exec, exec, s[6:7]
	s_cbranch_execz .LBB1_3902
; %bb.18239:
	s_getpc_b64 s[14:15]
.Lpost_getpc5023:
	s_add_u32 s14, s14, (.LBB1_8000-.Lpost_getpc5023)&4294967295
	s_addc_u32 s15, s15, (.LBB1_8000-.Lpost_getpc5023)>>32
	s_setpc_b64 s[14:15]
.LBB1_3902:
	s_or_b64 exec, exec, s[6:7]
	s_and_saveexec_b64 s[6:7], s[4:5]
	s_cbranch_execz .LBB1_3904
.LBB1_3903:
	v_bfe_u32 v12, v13, 24, 2
	v_ffbh_u32_e32 v21, v12
	v_min_u32_e32 v21, 32, v21
	v_lshrrev_b32_e32 v17, 26, v13
	v_subrev_u32_e32 v22, 29, v21
	v_and_b32_e32 v16, 0x80000000, v13
	v_and_b32_e32 v17, 31, v17
	v_bfe_u32 v20, v13, 26, 5
	v_lshlrev_b32_sdwa v13, v22, v13 dst_sel:DWORD dst_unused:UNUSED_PAD src0_sel:DWORD src1_sel:BYTE_3
	v_sub_u32_e32 v21, 30, v21
	v_and_b32_e32 v13, 3, v13
	v_cmp_eq_u16_e32 vcc, 0, v17
	v_cndmask_b32_e32 v12, v12, v13, vcc
	v_cndmask_b32_e32 v13, v20, v21, vcc
	v_mov_b32_e32 v17, 0x37800000
	v_lshlrev_b32_e32 v12, 21, v12
	v_lshl_add_u32 v13, v13, 23, v17
	v_or3_b32 v12, v16, v13, v12
.LBB1_3904:
	s_or_b64 exec, exec, s[6:7]
	s_nop 0
	v_mfma_f32_16x16x4f32 a[0:3], v3, v12, a[0:3]
	s_movk_i32 s4, 0x7f
	v_cmp_gt_i16_sdwa s[6:7], v18, s4 src0_sel:BYTE_0 src1_sel:DWORD
	s_mov_b64 s[4:5], 0
                                        ; implicit-def: $sgpr10
	s_and_saveexec_b64 s[8:9], s[6:7]
	s_xor_b64 s[6:7], exec, s[8:9]
	s_cbranch_execz .LBB1_3905
; %bb.18241:
	s_getpc_b64 s[14:15]
.Lpost_getpc5024:
	s_add_u32 s14, s14, (.LBB1_8001-.Lpost_getpc5024)&4294967295
	s_addc_u32 s15, s15, (.LBB1_8001-.Lpost_getpc5024)>>32
	s_setpc_b64 s[14:15]
.LBB1_3905:
	s_or_saveexec_b64 s[6:7], s[6:7]
	v_mov_b32_e32 v3, s10
	s_xor_b64 exec, exec, s[6:7]
	s_cbranch_execz .LBB1_3906
; %bb.18243:
	s_getpc_b64 s[14:15]
.Lpost_getpc5025:
	s_add_u32 s14, s14, (.LBB1_8004-.Lpost_getpc5025)&4294967295
	s_addc_u32 s15, s15, (.LBB1_8004-.Lpost_getpc5025)>>32
	s_setpc_b64 s[14:15]
.LBB1_3906:
	s_or_b64 exec, exec, s[6:7]
	s_and_saveexec_b64 s[6:7], s[4:5]
	s_cbranch_execz .LBB1_3908
.LBB1_3907:
	v_and_b32_e32 v3, 7, v18
	v_ffbh_u32_e32 v13, v3
	v_min_u32_e32 v13, 32, v13
	v_lshrrev_b16_e32 v12, 3, v18
	v_subrev_u32_e32 v16, 28, v13
	v_and_b32_e32 v12, 15, v12
	v_lshlrev_b32_e32 v16, v16, v18
	v_sub_u32_e32 v13, 29, v13
	v_and_b32_e32 v16, 7, v16
	v_cmp_eq_u16_e32 vcc, 0, v12
	v_cndmask_b32_e32 v3, v3, v16, vcc
	v_cndmask_b32_e32 v12, v12, v13, vcc
	v_lshlrev_b32_e32 v13, 24, v18
	v_mov_b32_e32 v16, 0x3b800000
	v_lshlrev_b32_e32 v3, 20, v3
	v_and_b32_e32 v13, 0x80000000, v13
	v_lshl_add_u32 v12, v12, 23, v16
	v_or3_b32 v3, v13, v12, v3
.LBB1_3908:
	s_or_b64 exec, exec, s[6:7]
	s_movk_i32 s4, 0xff
	v_or_b32_sdwa v12, v14, v2 dst_sel:DWORD dst_unused:UNUSED_PAD src0_sel:BYTE_0 src1_sel:DWORD
	v_mov_b32_e32 v2, 8
	v_lshlrev_b16_sdwa v2, v2, v14 dst_sel:DWORD dst_unused:UNUSED_PAD src0_sel:DWORD src1_sel:BYTE_3
	v_and_b32_sdwa v13, v14, s4 dst_sel:DWORD dst_unused:UNUSED_PAD src0_sel:WORD_1 src1_sel:DWORD
	s_movk_i32 s4, 0x7f
	v_or_b32_sdwa v2, v13, v2 dst_sel:WORD_1 dst_unused:UNUSED_PAD src0_sel:DWORD src1_sel:DWORD
	v_cmp_gt_i16_sdwa s[6:7], v12, s4 src0_sel:BYTE_0 src1_sel:DWORD
	s_mov_b64 s[4:5], 0
                                        ; implicit-def: $sgpr10
	s_and_saveexec_b64 s[8:9], s[6:7]
	s_xor_b64 s[6:7], exec, s[8:9]
	s_cbranch_execz .LBB1_3909
; %bb.18245:
	s_getpc_b64 s[14:15]
.Lpost_getpc5026:
	s_add_u32 s14, s14, (.LBB1_8005-.Lpost_getpc5026)&4294967295
	s_addc_u32 s15, s15, (.LBB1_8005-.Lpost_getpc5026)>>32
	s_setpc_b64 s[14:15]
.LBB1_3909:
	s_or_saveexec_b64 s[6:7], s[6:7]
	v_mov_b32_e32 v13, s10
	s_xor_b64 exec, exec, s[6:7]
	s_cbranch_execz .LBB1_3910
; %bb.18247:
	s_getpc_b64 s[14:15]
.Lpost_getpc5027:
	s_add_u32 s14, s14, (.LBB1_8008-.Lpost_getpc5027)&4294967295
	s_addc_u32 s15, s15, (.LBB1_8008-.Lpost_getpc5027)>>32
	s_setpc_b64 s[14:15]
.LBB1_3910:
	s_or_b64 exec, exec, s[6:7]
	v_or_b32_sdwa v2, v12, v2 dst_sel:DWORD dst_unused:UNUSED_PAD src0_sel:WORD_0 src1_sel:DWORD
	s_and_saveexec_b64 s[6:7], s[4:5]
	s_cbranch_execz .LBB1_3912
.LBB1_3911:
	v_and_b32_e32 v13, 3, v2
	v_ffbh_u32_e32 v14, v13
	v_min_u32_e32 v14, 32, v14
	v_lshrrev_b16_e32 v12, 2, v12
	v_subrev_u32_e32 v16, 29, v14
	v_and_b32_e32 v12, 31, v12
	v_lshlrev_b32_e32 v16, v16, v2
	v_sub_u32_e32 v14, 30, v14
	v_and_b32_e32 v16, 3, v16
	v_cmp_eq_u16_e32 vcc, 0, v12
	v_cndmask_b32_e32 v13, v13, v16, vcc
	v_cndmask_b32_e32 v12, v12, v14, vcc
	v_lshlrev_b32_e32 v14, 24, v2
	v_mov_b32_e32 v16, 0x37800000
	v_lshlrev_b32_e32 v13, 21, v13
	v_and_b32_e32 v14, 0x80000000, v14
	v_lshl_add_u32 v12, v12, 23, v16
	v_or3_b32 v13, v14, v12, v13
.LBB1_3912:
	s_or_b64 exec, exec, s[6:7]
	s_nop 0
	v_mfma_f32_16x16x4f32 a[0:3], v3, v13, a[0:3]
	v_lshrrev_b32_e32 v12, 8, v18
	s_movk_i32 s4, 0x7f
	v_cmp_gt_i16_sdwa s[6:7], v12, s4 src0_sel:BYTE_0 src1_sel:DWORD
	s_mov_b64 s[4:5], 0
                                        ; implicit-def: $sgpr10
	s_and_saveexec_b64 s[8:9], s[6:7]
	s_xor_b64 s[6:7], exec, s[8:9]
	s_cbranch_execz .LBB1_3913
; %bb.18249:
	s_getpc_b64 s[14:15]
.Lpost_getpc5028:
	s_add_u32 s14, s14, (.LBB1_8009-.Lpost_getpc5028)&4294967295
	s_addc_u32 s15, s15, (.LBB1_8009-.Lpost_getpc5028)>>32
	s_setpc_b64 s[14:15]
.LBB1_3913:
	s_or_saveexec_b64 s[6:7], s[6:7]
	v_mov_b32_e32 v3, s10
	s_xor_b64 exec, exec, s[6:7]
	s_cbranch_execz .LBB1_3914
; %bb.18251:
	s_getpc_b64 s[14:15]
.Lpost_getpc5029:
	s_add_u32 s14, s14, (.LBB1_8012-.Lpost_getpc5029)&4294967295
	s_addc_u32 s15, s15, (.LBB1_8012-.Lpost_getpc5029)>>32
	s_setpc_b64 s[14:15]
.LBB1_3914:
	s_or_b64 exec, exec, s[6:7]
	s_and_saveexec_b64 s[6:7], s[4:5]
	s_cbranch_execz .LBB1_3916
.LBB1_3915:
	v_bfe_u32 v3, v18, 8, 3
	v_ffbh_u32_e32 v14, v3
	v_min_u32_e32 v14, 32, v14
	v_lshrrev_b16_e32 v13, 3, v12
	v_subrev_u32_e32 v16, 28, v14
	v_and_b32_e32 v13, 15, v13
	v_lshlrev_b32_e32 v12, v16, v12
	v_sub_u32_e32 v14, 29, v14
	v_and_b32_e32 v12, 7, v12
	v_cmp_eq_u16_e32 vcc, 0, v13
	v_cndmask_b32_e32 v3, v3, v12, vcc
	v_cndmask_b32_e32 v12, v13, v14, vcc
	v_lshlrev_b32_e32 v13, 16, v18
	v_mov_b32_e32 v14, 0x3b800000
	v_lshlrev_b32_e32 v3, 20, v3
	v_and_b32_e32 v13, 0x80000000, v13
	v_lshl_add_u32 v12, v12, 23, v14
	v_or3_b32 v3, v13, v12, v3
.LBB1_3916:
	s_or_b64 exec, exec, s[6:7]
	v_lshrrev_b32_e32 v12, 8, v2
	s_movk_i32 s4, 0x7f
	v_cmp_gt_i16_sdwa s[6:7], v12, s4 src0_sel:BYTE_0 src1_sel:DWORD
	s_mov_b64 s[4:5], 0
                                        ; implicit-def: $sgpr10
	s_and_saveexec_b64 s[8:9], s[6:7]
	s_xor_b64 s[6:7], exec, s[8:9]
	s_cbranch_execz .LBB1_3917
; %bb.18253:
	s_getpc_b64 s[14:15]
.Lpost_getpc5030:
	s_add_u32 s14, s14, (.LBB1_8013-.Lpost_getpc5030)&4294967295
	s_addc_u32 s15, s15, (.LBB1_8013-.Lpost_getpc5030)>>32
	s_setpc_b64 s[14:15]
.LBB1_3917:
	s_or_saveexec_b64 s[6:7], s[6:7]
	v_mov_b32_e32 v13, s10
	s_xor_b64 exec, exec, s[6:7]
	s_cbranch_execz .LBB1_3918
; %bb.18255:
	s_getpc_b64 s[14:15]
.Lpost_getpc5031:
	s_add_u32 s14, s14, (.LBB1_8016-.Lpost_getpc5031)&4294967295
	s_addc_u32 s15, s15, (.LBB1_8016-.Lpost_getpc5031)>>32
	s_setpc_b64 s[14:15]
.LBB1_3918:
	s_or_b64 exec, exec, s[6:7]
	s_and_saveexec_b64 s[6:7], s[4:5]
	s_cbranch_execz .LBB1_3920
.LBB1_3919:
	v_bfe_u32 v13, v2, 8, 2
	v_ffbh_u32_e32 v16, v13
	v_min_u32_e32 v16, 32, v16
	v_lshrrev_b16_e32 v14, 2, v12
	v_subrev_u32_e32 v17, 29, v16
	v_and_b32_e32 v14, 31, v14
	v_lshlrev_b32_e32 v12, v17, v12
	v_sub_u32_e32 v16, 30, v16
	v_and_b32_e32 v12, 3, v12
	v_cmp_eq_u16_e32 vcc, 0, v14
	v_cndmask_b32_e32 v12, v13, v12, vcc
	v_cndmask_b32_e32 v13, v14, v16, vcc
	v_lshlrev_b32_e32 v14, 16, v2
	v_mov_b32_e32 v16, 0x37800000
	v_lshlrev_b32_e32 v12, 21, v12
	v_and_b32_e32 v14, 0x80000000, v14
	v_lshl_add_u32 v13, v13, 23, v16
	v_or3_b32 v13, v14, v13, v12
.LBB1_3920:
	s_or_b64 exec, exec, s[6:7]
	s_nop 0
	v_mfma_f32_16x16x4f32 a[0:3], v3, v13, a[0:3]
	s_movk_i32 s4, 0xff
	v_and_b32_sdwa v12, v18, s4 dst_sel:DWORD dst_unused:UNUSED_PAD src0_sel:WORD_1 src1_sel:DWORD
	s_movk_i32 s4, 0x7f
	v_cmp_lt_i16_e32 vcc, s4, v12
	s_mov_b64 s[4:5], 0
                                        ; implicit-def: $sgpr10
	s_and_saveexec_b64 s[6:7], vcc
	s_xor_b64 s[6:7], exec, s[6:7]
	s_cbranch_execz .LBB1_3921
; %bb.18257:
	s_getpc_b64 s[14:15]
.Lpost_getpc5032:
	s_add_u32 s14, s14, (.LBB1_8017-.Lpost_getpc5032)&4294967295
	s_addc_u32 s15, s15, (.LBB1_8017-.Lpost_getpc5032)>>32
	s_setpc_b64 s[14:15]
.LBB1_3921:
	s_or_saveexec_b64 s[6:7], s[6:7]
	v_mov_b32_e32 v3, s10
	s_xor_b64 exec, exec, s[6:7]
	s_cbranch_execz .LBB1_3922
; %bb.18259:
	s_getpc_b64 s[14:15]
.Lpost_getpc5033:
	s_add_u32 s14, s14, (.LBB1_8020-.Lpost_getpc5033)&4294967295
	s_addc_u32 s15, s15, (.LBB1_8020-.Lpost_getpc5033)>>32
	s_setpc_b64 s[14:15]
.LBB1_3922:
	s_or_b64 exec, exec, s[6:7]
	s_and_saveexec_b64 s[6:7], s[4:5]
	s_cbranch_execz .LBB1_3924
.LBB1_3923:
	v_bfe_u32 v3, v18, 16, 3
	v_ffbh_u32_e32 v14, v3
	v_min_u32_e32 v14, 32, v14
	v_lshrrev_b32_e32 v12, 19, v18
	v_subrev_u32_e32 v16, 28, v14
	v_and_b32_e32 v12, 15, v12
	v_lshlrev_b32_sdwa v16, v16, v18 dst_sel:DWORD dst_unused:UNUSED_PAD src0_sel:DWORD src1_sel:WORD_1
	v_bfe_u32 v13, v18, 19, 4
	v_sub_u32_e32 v14, 29, v14
	v_and_b32_e32 v16, 7, v16
	v_cmp_eq_u16_e32 vcc, 0, v12
	v_cndmask_b32_e32 v3, v3, v16, vcc
	v_cndmask_b32_e32 v12, v13, v14, vcc
	v_lshlrev_b32_e32 v13, 8, v18
	v_mov_b32_e32 v14, 0x3b800000
	v_lshlrev_b32_e32 v3, 20, v3
	v_and_b32_e32 v13, 0x80000000, v13
	v_lshl_add_u32 v12, v12, 23, v14
	v_or3_b32 v3, v13, v12, v3
.LBB1_3924:
	s_or_b64 exec, exec, s[6:7]
	s_movk_i32 s4, 0xff
	v_and_b32_sdwa v12, v2, s4 dst_sel:DWORD dst_unused:UNUSED_PAD src0_sel:WORD_1 src1_sel:DWORD
	s_movk_i32 s4, 0x7f
	v_cmp_lt_i16_e32 vcc, s4, v12
	s_mov_b64 s[4:5], 0
                                        ; implicit-def: $sgpr10
	s_and_saveexec_b64 s[6:7], vcc
	s_xor_b64 s[6:7], exec, s[6:7]
	s_cbranch_execz .LBB1_3925
; %bb.18261:
	s_getpc_b64 s[14:15]
.Lpost_getpc5034:
	s_add_u32 s14, s14, (.LBB1_8021-.Lpost_getpc5034)&4294967295
	s_addc_u32 s15, s15, (.LBB1_8021-.Lpost_getpc5034)>>32
	s_setpc_b64 s[14:15]
.LBB1_3925:
	s_or_saveexec_b64 s[6:7], s[6:7]
	v_mov_b32_e32 v13, s10
	s_xor_b64 exec, exec, s[6:7]
	s_cbranch_execz .LBB1_3926
; %bb.18263:
	s_getpc_b64 s[14:15]
.Lpost_getpc5035:
	s_add_u32 s14, s14, (.LBB1_8024-.Lpost_getpc5035)&4294967295
	s_addc_u32 s15, s15, (.LBB1_8024-.Lpost_getpc5035)>>32
	s_setpc_b64 s[14:15]
.LBB1_3926:
	s_or_b64 exec, exec, s[6:7]
	s_and_saveexec_b64 s[6:7], s[4:5]
	s_cbranch_execz .LBB1_3928
.LBB1_3927:
	v_bfe_u32 v12, v2, 16, 2
	v_ffbh_u32_e32 v16, v12
	v_min_u32_e32 v16, 32, v16
	v_lshrrev_b32_e32 v13, 18, v2
	v_subrev_u32_e32 v17, 29, v16
	v_and_b32_e32 v13, 31, v13
	v_lshlrev_b32_sdwa v17, v17, v2 dst_sel:DWORD dst_unused:UNUSED_PAD src0_sel:DWORD src1_sel:WORD_1
	v_bfe_u32 v14, v2, 18, 5
	v_sub_u32_e32 v16, 30, v16
	v_and_b32_e32 v17, 3, v17
	v_cmp_eq_u16_e32 vcc, 0, v13
	v_cndmask_b32_e32 v12, v12, v17, vcc
	v_cndmask_b32_e32 v13, v14, v16, vcc
	v_lshlrev_b32_e32 v14, 8, v2
	v_mov_b32_e32 v16, 0x37800000
	v_lshlrev_b32_e32 v12, 21, v12
	v_and_b32_e32 v14, 0x80000000, v14
	v_lshl_add_u32 v13, v13, 23, v16
	v_or3_b32 v13, v14, v13, v12
.LBB1_3928:
	s_or_b64 exec, exec, s[6:7]
	s_nop 0
	v_mfma_f32_16x16x4f32 a[0:3], v3, v13, a[0:3]
	s_movk_i32 s4, 0x7f
	v_cmp_gt_i16_sdwa s[6:7], v18, s4 src0_sel:BYTE_3 src1_sel:DWORD
	s_mov_b64 s[4:5], 0
                                        ; implicit-def: $sgpr10
	s_and_saveexec_b64 s[8:9], s[6:7]
	s_xor_b64 s[6:7], exec, s[8:9]
	s_cbranch_execz .LBB1_3929
; %bb.18265:
	s_getpc_b64 s[14:15]
.Lpost_getpc5036:
	s_add_u32 s14, s14, (.LBB1_8025-.Lpost_getpc5036)&4294967295
	s_addc_u32 s15, s15, (.LBB1_8025-.Lpost_getpc5036)>>32
	s_setpc_b64 s[14:15]
.LBB1_3929:
	s_or_saveexec_b64 s[6:7], s[6:7]
	v_mov_b32_e32 v3, s10
	s_xor_b64 exec, exec, s[6:7]
	s_cbranch_execz .LBB1_3930
; %bb.18267:
	s_getpc_b64 s[14:15]
.Lpost_getpc5037:
	s_add_u32 s14, s14, (.LBB1_8028-.Lpost_getpc5037)&4294967295
	s_addc_u32 s15, s15, (.LBB1_8028-.Lpost_getpc5037)>>32
	s_setpc_b64 s[14:15]
.LBB1_3930:
	s_or_b64 exec, exec, s[6:7]
	s_and_saveexec_b64 s[6:7], s[4:5]
	s_cbranch_execz .LBB1_3932
.LBB1_3931:
	v_bfe_u32 v3, v18, 24, 3
	v_ffbh_u32_e32 v16, v3
	v_min_u32_e32 v16, 32, v16
	v_lshrrev_b32_e32 v13, 27, v18
	v_subrev_u32_e32 v17, 28, v16
	v_and_b32_e32 v13, 15, v13
	v_lshlrev_b32_sdwa v17, v17, v18 dst_sel:DWORD dst_unused:UNUSED_PAD src0_sel:DWORD src1_sel:BYTE_3
	v_bfe_u32 v14, v18, 27, 4
	v_sub_u32_e32 v16, 29, v16
	v_and_b32_e32 v17, 7, v17
	v_cmp_eq_u16_e32 vcc, 0, v13
	v_cndmask_b32_e32 v3, v3, v17, vcc
	v_cndmask_b32_e32 v13, v14, v16, vcc
	v_mov_b32_e32 v14, 0x3b800000
	v_and_b32_e32 v12, 0x80000000, v18
	v_lshlrev_b32_e32 v3, 20, v3
	v_lshl_add_u32 v13, v13, 23, v14
	v_or3_b32 v3, v12, v13, v3
.LBB1_3932:
	s_or_b64 exec, exec, s[6:7]
	s_movk_i32 s4, 0x7f
	v_cmp_gt_i16_sdwa s[6:7], v2, s4 src0_sel:BYTE_3 src1_sel:DWORD
	s_mov_b64 s[4:5], 0
                                        ; implicit-def: $sgpr10
	s_and_saveexec_b64 s[8:9], s[6:7]
	s_xor_b64 s[6:7], exec, s[8:9]
	s_cbranch_execz .LBB1_3933
; %bb.18269:
	s_getpc_b64 s[14:15]
.Lpost_getpc5038:
	s_add_u32 s14, s14, (.LBB1_8029-.Lpost_getpc5038)&4294967295
	s_addc_u32 s15, s15, (.LBB1_8029-.Lpost_getpc5038)>>32
	s_setpc_b64 s[14:15]
.LBB1_3933:
	s_or_saveexec_b64 s[6:7], s[6:7]
	v_mov_b32_e32 v12, s10
	s_xor_b64 exec, exec, s[6:7]
	s_cbranch_execz .LBB1_3934
; %bb.18271:
	s_getpc_b64 s[14:15]
.Lpost_getpc5039:
	s_add_u32 s14, s14, (.LBB1_8032-.Lpost_getpc5039)&4294967295
	s_addc_u32 s15, s15, (.LBB1_8032-.Lpost_getpc5039)>>32
	s_setpc_b64 s[14:15]
.LBB1_3934:
	s_or_b64 exec, exec, s[6:7]
	s_and_saveexec_b64 s[6:7], s[4:5]
	s_cbranch_execz .LBB1_3936
.LBB1_3935:
	v_bfe_u32 v12, v2, 24, 2
	v_ffbh_u32_e32 v17, v12
	v_min_u32_e32 v17, 32, v17
	v_lshrrev_b32_e32 v14, 26, v2
	v_subrev_u32_e32 v18, 29, v17
	v_and_b32_e32 v13, 0x80000000, v2
	v_and_b32_e32 v14, 31, v14
	v_bfe_u32 v16, v2, 26, 5
	v_lshlrev_b32_sdwa v2, v18, v2 dst_sel:DWORD dst_unused:UNUSED_PAD src0_sel:DWORD src1_sel:BYTE_3
	v_sub_u32_e32 v17, 30, v17
	v_and_b32_e32 v2, 3, v2
	v_cmp_eq_u16_e32 vcc, 0, v14
	v_cndmask_b32_e32 v2, v12, v2, vcc
	v_cndmask_b32_e32 v12, v16, v17, vcc
	v_mov_b32_e32 v14, 0x37800000
	v_lshlrev_b32_e32 v2, 21, v2
	v_lshl_add_u32 v12, v12, 23, v14
	v_or3_b32 v12, v13, v12, v2
.LBB1_3936:
	s_or_b64 exec, exec, s[6:7]
	s_nop 0
	v_mfma_f32_16x16x4f32 a[0:3], v3, v12, a[0:3]
	s_movk_i32 s4, 0x7f
	v_cmp_gt_i16_sdwa s[6:7], v19, s4 src0_sel:BYTE_0 src1_sel:DWORD
	s_mov_b64 s[4:5], 0
                                        ; implicit-def: $sgpr10
	s_and_saveexec_b64 s[8:9], s[6:7]
	s_xor_b64 s[6:7], exec, s[8:9]
	s_cbranch_execz .LBB1_3937
; %bb.18273:
	s_getpc_b64 s[14:15]
.Lpost_getpc5040:
	s_add_u32 s14, s14, (.LBB1_8033-.Lpost_getpc5040)&4294967295
	s_addc_u32 s15, s15, (.LBB1_8033-.Lpost_getpc5040)>>32
	s_setpc_b64 s[14:15]
.LBB1_3937:
	s_or_saveexec_b64 s[6:7], s[6:7]
	v_mov_b32_e32 v2, s10
	s_xor_b64 exec, exec, s[6:7]
	s_cbranch_execz .LBB1_3938
; %bb.18275:
	s_getpc_b64 s[14:15]
.Lpost_getpc5041:
	s_add_u32 s14, s14, (.LBB1_8036-.Lpost_getpc5041)&4294967295
	s_addc_u32 s15, s15, (.LBB1_8036-.Lpost_getpc5041)>>32
	s_setpc_b64 s[14:15]
.LBB1_3938:
	s_or_b64 exec, exec, s[6:7]
	s_and_saveexec_b64 s[6:7], s[4:5]
	s_cbranch_execz .LBB1_3940
.LBB1_3939:
	v_mov_b32_e32 v2, 8
	v_and_b32_e32 v3, 7, v19
	v_lshrrev_b32_sdwa v2, v2, v19 dst_sel:BYTE_1 dst_unused:UNUSED_PAD src0_sel:DWORD src1_sel:DWORD
	v_ffbh_u32_e32 v12, v3
	v_or_b32_sdwa v2, v19, v2 dst_sel:DWORD dst_unused:UNUSED_PAD src0_sel:BYTE_0 src1_sel:DWORD
	v_min_u32_e32 v12, 32, v12
	v_lshrrev_b16_e32 v2, 3, v2
	v_subrev_u32_e32 v13, 28, v12
	v_and_b32_e32 v2, 15, v2
	v_lshlrev_b32_e32 v13, v13, v19
	v_sub_u32_e32 v12, 29, v12
	v_and_b32_e32 v13, 7, v13
	v_cmp_eq_u16_e32 vcc, 0, v2
	v_cndmask_b32_e32 v3, v3, v13, vcc
	v_cndmask_b32_e32 v2, v2, v12, vcc
	v_lshlrev_b32_e32 v12, 24, v19
	v_mov_b32_e32 v13, 0x3b800000
	v_lshlrev_b32_e32 v3, 20, v3
	v_and_b32_e32 v12, 0x80000000, v12
	v_lshl_add_u32 v2, v2, 23, v13
	v_or3_b32 v2, v12, v2, v3
.LBB1_3940:
	s_or_b64 exec, exec, s[6:7]
	s_movk_i32 s4, 0x7f
	v_cmp_gt_i16_sdwa s[6:7], v15, s4 src0_sel:BYTE_0 src1_sel:DWORD
	s_mov_b64 s[4:5], 0
                                        ; implicit-def: $sgpr10
	s_and_saveexec_b64 s[8:9], s[6:7]
	s_xor_b64 s[6:7], exec, s[8:9]
	s_cbranch_execz .LBB1_3941
; %bb.18277:
	s_getpc_b64 s[14:15]
.Lpost_getpc5042:
	s_add_u32 s14, s14, (.LBB1_8037-.Lpost_getpc5042)&4294967295
	s_addc_u32 s15, s15, (.LBB1_8037-.Lpost_getpc5042)>>32
	s_setpc_b64 s[14:15]
.LBB1_3941:
	s_or_saveexec_b64 s[6:7], s[6:7]
	v_mov_b32_e32 v3, s10
	s_xor_b64 exec, exec, s[6:7]
	s_cbranch_execz .LBB1_3942
; %bb.18279:
	s_getpc_b64 s[14:15]
.Lpost_getpc5043:
	s_add_u32 s14, s14, (.LBB1_8040-.Lpost_getpc5043)&4294967295
	s_addc_u32 s15, s15, (.LBB1_8040-.Lpost_getpc5043)>>32
	s_setpc_b64 s[14:15]
.LBB1_3942:
	s_or_b64 exec, exec, s[6:7]
	s_and_saveexec_b64 s[6:7], s[4:5]
	s_cbranch_execz .LBB1_3944
.LBB1_3943:
	v_and_b32_e32 v3, 3, v15
	v_ffbh_u32_e32 v13, v3
	v_min_u32_e32 v13, 32, v13
	v_lshrrev_b16_e32 v12, 2, v15
	v_subrev_u32_e32 v14, 29, v13
	v_and_b32_e32 v12, 31, v12
	v_lshlrev_b32_e32 v14, v14, v15
	v_sub_u32_e32 v13, 30, v13
	v_and_b32_e32 v14, 3, v14
	v_cmp_eq_u16_e32 vcc, 0, v12
	v_cndmask_b32_e32 v3, v3, v14, vcc
	v_cndmask_b32_e32 v12, v12, v13, vcc
	v_lshlrev_b32_e32 v13, 24, v15
	v_mov_b32_e32 v14, 0x37800000
	v_lshlrev_b32_e32 v3, 21, v3
	v_and_b32_e32 v13, 0x80000000, v13
	v_lshl_add_u32 v12, v12, 23, v14
	v_or3_b32 v3, v13, v12, v3
.LBB1_3944:
	s_or_b64 exec, exec, s[6:7]
	s_nop 0
	v_mfma_f32_16x16x4f32 a[0:3], v2, v3, a[0:3]
	v_lshrrev_b32_e32 v3, 8, v19
	s_movk_i32 s4, 0x7f
	v_cmp_gt_i16_sdwa s[6:7], v3, s4 src0_sel:BYTE_0 src1_sel:DWORD
	s_mov_b64 s[4:5], 0
                                        ; implicit-def: $sgpr10
	s_and_saveexec_b64 s[8:9], s[6:7]
	s_xor_b64 s[6:7], exec, s[8:9]
	s_cbranch_execz .LBB1_3945
; %bb.18281:
	s_getpc_b64 s[14:15]
.Lpost_getpc5044:
	s_add_u32 s14, s14, (.LBB1_8041-.Lpost_getpc5044)&4294967295
	s_addc_u32 s15, s15, (.LBB1_8041-.Lpost_getpc5044)>>32
	s_setpc_b64 s[14:15]
.LBB1_3945:
	s_or_saveexec_b64 s[6:7], s[6:7]
	v_mov_b32_e32 v2, s10
	s_xor_b64 exec, exec, s[6:7]
	s_cbranch_execz .LBB1_3946
; %bb.18283:
	s_getpc_b64 s[14:15]
.Lpost_getpc5045:
	s_add_u32 s14, s14, (.LBB1_8044-.Lpost_getpc5045)&4294967295
	s_addc_u32 s15, s15, (.LBB1_8044-.Lpost_getpc5045)>>32
	s_setpc_b64 s[14:15]
.LBB1_3946:
	s_or_b64 exec, exec, s[6:7]
	s_and_saveexec_b64 s[6:7], s[4:5]
	s_cbranch_execz .LBB1_3948
.LBB1_3947:
	v_bfe_u32 v2, v19, 8, 3
	v_ffbh_u32_e32 v13, v2
	v_min_u32_e32 v13, 32, v13
	v_lshrrev_b16_e32 v12, 3, v3
	v_subrev_u32_e32 v14, 28, v13
	v_and_b32_e32 v12, 15, v12
	v_lshlrev_b32_e32 v3, v14, v3
	v_sub_u32_e32 v13, 29, v13
	v_and_b32_e32 v3, 7, v3
	v_cmp_eq_u16_e32 vcc, 0, v12
	v_cndmask_b32_e32 v2, v2, v3, vcc
	v_cndmask_b32_e32 v3, v12, v13, vcc
	v_lshlrev_b32_e32 v12, 16, v19
	v_mov_b32_e32 v13, 0x3b800000
	v_lshlrev_b32_e32 v2, 20, v2
	v_and_b32_e32 v12, 0x80000000, v12
	v_lshl_add_u32 v3, v3, 23, v13
	v_or3_b32 v2, v12, v3, v2
.LBB1_3948:
	s_or_b64 exec, exec, s[6:7]
	v_lshrrev_b32_e32 v3, 8, v15
	s_movk_i32 s4, 0x7f
	v_cmp_gt_i16_sdwa s[6:7], v3, s4 src0_sel:BYTE_0 src1_sel:DWORD
	s_mov_b64 s[4:5], 0
                                        ; implicit-def: $sgpr10
	s_and_saveexec_b64 s[8:9], s[6:7]
	s_xor_b64 s[6:7], exec, s[8:9]
	s_cbranch_execz .LBB1_3949
; %bb.18285:
	s_getpc_b64 s[14:15]
.Lpost_getpc5046:
	s_add_u32 s14, s14, (.LBB1_8045-.Lpost_getpc5046)&4294967295
	s_addc_u32 s15, s15, (.LBB1_8045-.Lpost_getpc5046)>>32
	s_setpc_b64 s[14:15]
.LBB1_3949:
	s_or_saveexec_b64 s[6:7], s[6:7]
	v_mov_b32_e32 v12, s10
	s_xor_b64 exec, exec, s[6:7]
	s_cbranch_execz .LBB1_3950
; %bb.18287:
	s_getpc_b64 s[14:15]
.Lpost_getpc5047:
	s_add_u32 s14, s14, (.LBB1_8048-.Lpost_getpc5047)&4294967295
	s_addc_u32 s15, s15, (.LBB1_8048-.Lpost_getpc5047)>>32
	s_setpc_b64 s[14:15]
.LBB1_3950:
	s_or_b64 exec, exec, s[6:7]
	s_and_saveexec_b64 s[6:7], s[4:5]
	s_cbranch_execz .LBB1_3952
.LBB1_3951:
	v_bfe_u32 v12, v15, 8, 2
	v_ffbh_u32_e32 v14, v12
	v_min_u32_e32 v14, 32, v14
	v_lshrrev_b16_e32 v13, 2, v3
	v_subrev_u32_e32 v16, 29, v14
	v_and_b32_e32 v13, 31, v13
	v_lshlrev_b32_e32 v3, v16, v3
	v_sub_u32_e32 v14, 30, v14
	v_and_b32_e32 v3, 3, v3
	v_cmp_eq_u16_e32 vcc, 0, v13
	v_cndmask_b32_e32 v3, v12, v3, vcc
	v_cndmask_b32_e32 v12, v13, v14, vcc
	v_lshlrev_b32_e32 v13, 16, v15
	v_mov_b32_e32 v14, 0x37800000
	v_lshlrev_b32_e32 v3, 21, v3
	v_and_b32_e32 v13, 0x80000000, v13
	v_lshl_add_u32 v12, v12, 23, v14
	v_or3_b32 v12, v13, v12, v3
.LBB1_3952:
	s_or_b64 exec, exec, s[6:7]
	s_nop 0
	v_mfma_f32_16x16x4f32 a[0:3], v2, v12, a[0:3]
	s_movk_i32 s4, 0xff
	v_and_b32_sdwa v3, v19, s4 dst_sel:DWORD dst_unused:UNUSED_PAD src0_sel:WORD_1 src1_sel:DWORD
	s_movk_i32 s4, 0x7f
	v_cmp_lt_i16_e32 vcc, s4, v3
	s_mov_b64 s[4:5], 0
                                        ; implicit-def: $sgpr10
	s_and_saveexec_b64 s[6:7], vcc
	s_xor_b64 s[6:7], exec, s[6:7]
	s_cbranch_execz .LBB1_3953
; %bb.18289:
	s_getpc_b64 s[14:15]
.Lpost_getpc5048:
	s_add_u32 s14, s14, (.LBB1_8049-.Lpost_getpc5048)&4294967295
	s_addc_u32 s15, s15, (.LBB1_8049-.Lpost_getpc5048)>>32
	s_setpc_b64 s[14:15]
.LBB1_3953:
	s_or_saveexec_b64 s[6:7], s[6:7]
	v_mov_b32_e32 v2, s10
	s_xor_b64 exec, exec, s[6:7]
	s_cbranch_execz .LBB1_3954
; %bb.18291:
	s_getpc_b64 s[14:15]
.Lpost_getpc5049:
	s_add_u32 s14, s14, (.LBB1_8052-.Lpost_getpc5049)&4294967295
	s_addc_u32 s15, s15, (.LBB1_8052-.Lpost_getpc5049)>>32
	s_setpc_b64 s[14:15]
.LBB1_3954:
	s_or_b64 exec, exec, s[6:7]
	s_and_saveexec_b64 s[6:7], s[4:5]
	s_cbranch_execz .LBB1_3956
.LBB1_3955:
	v_bfe_u32 v2, v19, 16, 3
	v_ffbh_u32_e32 v13, v2
	v_min_u32_e32 v13, 32, v13
	v_lshrrev_b32_e32 v3, 19, v19
	v_subrev_u32_e32 v14, 28, v13
	v_and_b32_e32 v3, 15, v3
	v_lshlrev_b32_sdwa v14, v14, v19 dst_sel:DWORD dst_unused:UNUSED_PAD src0_sel:DWORD src1_sel:WORD_1
	v_bfe_u32 v12, v19, 19, 4
	v_sub_u32_e32 v13, 29, v13
	v_and_b32_e32 v14, 7, v14
	v_cmp_eq_u16_e32 vcc, 0, v3
	v_cndmask_b32_e32 v2, v2, v14, vcc
	v_cndmask_b32_e32 v3, v12, v13, vcc
	v_lshlrev_b32_e32 v12, 8, v19
	v_mov_b32_e32 v13, 0x3b800000
	v_lshlrev_b32_e32 v2, 20, v2
	v_and_b32_e32 v12, 0x80000000, v12
	v_lshl_add_u32 v3, v3, 23, v13
	v_or3_b32 v2, v12, v3, v2
.LBB1_3956:
	s_or_b64 exec, exec, s[6:7]
	s_movk_i32 s4, 0xff
	v_and_b32_sdwa v3, v15, s4 dst_sel:DWORD dst_unused:UNUSED_PAD src0_sel:WORD_1 src1_sel:DWORD
	s_movk_i32 s4, 0x7f
	v_cmp_lt_i16_e32 vcc, s4, v3
	s_mov_b64 s[4:5], 0
                                        ; implicit-def: $sgpr10
	s_and_saveexec_b64 s[6:7], vcc
	s_xor_b64 s[6:7], exec, s[6:7]
	s_cbranch_execz .LBB1_3957
; %bb.18293:
	s_getpc_b64 s[14:15]
.Lpost_getpc5050:
	s_add_u32 s14, s14, (.LBB1_8053-.Lpost_getpc5050)&4294967295
	s_addc_u32 s15, s15, (.LBB1_8053-.Lpost_getpc5050)>>32
	s_setpc_b64 s[14:15]
.LBB1_3957:
	s_or_saveexec_b64 s[6:7], s[6:7]
	v_mov_b32_e32 v12, s10
	s_xor_b64 exec, exec, s[6:7]
	s_cbranch_execz .LBB1_3958
; %bb.18295:
	s_getpc_b64 s[14:15]
.Lpost_getpc5051:
	s_add_u32 s14, s14, (.LBB1_8056-.Lpost_getpc5051)&4294967295
	s_addc_u32 s15, s15, (.LBB1_8056-.Lpost_getpc5051)>>32
	s_setpc_b64 s[14:15]
.LBB1_3958:
	s_or_b64 exec, exec, s[6:7]
	s_and_saveexec_b64 s[6:7], s[4:5]
	s_cbranch_execz .LBB1_3960
.LBB1_3959:
	v_bfe_u32 v3, v15, 16, 2
	v_ffbh_u32_e32 v14, v3
	v_min_u32_e32 v14, 32, v14
	v_lshrrev_b32_e32 v12, 18, v15
	v_subrev_u32_e32 v16, 29, v14
	v_and_b32_e32 v12, 31, v12
	v_lshlrev_b32_sdwa v16, v16, v15 dst_sel:DWORD dst_unused:UNUSED_PAD src0_sel:DWORD src1_sel:WORD_1
	v_bfe_u32 v13, v15, 18, 5
	v_sub_u32_e32 v14, 30, v14
	v_and_b32_e32 v16, 3, v16
	v_cmp_eq_u16_e32 vcc, 0, v12
	v_cndmask_b32_e32 v3, v3, v16, vcc
	v_cndmask_b32_e32 v12, v13, v14, vcc
	v_lshlrev_b32_e32 v13, 8, v15
	v_mov_b32_e32 v14, 0x37800000
	v_lshlrev_b32_e32 v3, 21, v3
	v_and_b32_e32 v13, 0x80000000, v13
	v_lshl_add_u32 v12, v12, 23, v14
	v_or3_b32 v12, v13, v12, v3
.LBB1_3960:
	s_or_b64 exec, exec, s[6:7]
	s_nop 0
	v_mfma_f32_16x16x4f32 a[0:3], v2, v12, a[0:3]
	s_movk_i32 s4, 0x7f
	v_cmp_gt_i16_sdwa s[6:7], v19, s4 src0_sel:BYTE_3 src1_sel:DWORD
	s_mov_b64 s[4:5], 0
                                        ; implicit-def: $sgpr10
	s_and_saveexec_b64 s[8:9], s[6:7]
	s_xor_b64 s[6:7], exec, s[8:9]
	s_cbranch_execz .LBB1_3961
; %bb.18297:
	s_getpc_b64 s[14:15]
.Lpost_getpc5052:
	s_add_u32 s14, s14, (.LBB1_8057-.Lpost_getpc5052)&4294967295
	s_addc_u32 s15, s15, (.LBB1_8057-.Lpost_getpc5052)>>32
	s_setpc_b64 s[14:15]
.LBB1_3961:
	s_or_saveexec_b64 s[6:7], s[6:7]
	v_mov_b32_e32 v2, s10
	s_xor_b64 exec, exec, s[6:7]
	s_cbranch_execz .LBB1_3962
; %bb.18299:
	s_getpc_b64 s[14:15]
.Lpost_getpc5053:
	s_add_u32 s14, s14, (.LBB1_8060-.Lpost_getpc5053)&4294967295
	s_addc_u32 s15, s15, (.LBB1_8060-.Lpost_getpc5053)>>32
	s_setpc_b64 s[14:15]
.LBB1_3962:
	s_or_b64 exec, exec, s[6:7]
	s_and_saveexec_b64 s[6:7], s[4:5]
	s_cbranch_execz .LBB1_3964
.LBB1_3963:
	v_bfe_u32 v2, v19, 24, 3
	v_ffbh_u32_e32 v14, v2
	v_min_u32_e32 v14, 32, v14
	v_lshrrev_b32_e32 v12, 27, v19
	v_subrev_u32_e32 v16, 28, v14
	v_and_b32_e32 v12, 15, v12
	v_lshlrev_b32_sdwa v16, v16, v19 dst_sel:DWORD dst_unused:UNUSED_PAD src0_sel:DWORD src1_sel:BYTE_3
	v_bfe_u32 v13, v19, 27, 4
	v_sub_u32_e32 v14, 29, v14
	v_and_b32_e32 v16, 7, v16
	v_cmp_eq_u16_e32 vcc, 0, v12
	v_cndmask_b32_e32 v2, v2, v16, vcc
	v_cndmask_b32_e32 v12, v13, v14, vcc
	v_mov_b32_e32 v13, 0x3b800000
	v_and_b32_e32 v3, 0x80000000, v19
	v_lshlrev_b32_e32 v2, 20, v2
	v_lshl_add_u32 v12, v12, 23, v13
	v_or3_b32 v2, v3, v12, v2
.LBB1_3964:
	s_or_b64 exec, exec, s[6:7]
	s_movk_i32 s4, 0x7f
	v_cmp_gt_i16_sdwa s[6:7], v15, s4 src0_sel:BYTE_3 src1_sel:DWORD
	s_mov_b64 s[4:5], 0
                                        ; implicit-def: $sgpr10
	s_and_saveexec_b64 s[8:9], s[6:7]
	s_xor_b64 s[6:7], exec, s[8:9]
	s_cbranch_execz .LBB1_3965
; %bb.18301:
	s_getpc_b64 s[14:15]
.Lpost_getpc5054:
	s_add_u32 s14, s14, (.LBB1_8061-.Lpost_getpc5054)&4294967295
	s_addc_u32 s15, s15, (.LBB1_8061-.Lpost_getpc5054)>>32
	s_setpc_b64 s[14:15]
.LBB1_3965:
	s_or_saveexec_b64 s[6:7], s[6:7]
	v_mov_b32_e32 v3, s10
	s_xor_b64 exec, exec, s[6:7]
	s_cbranch_execz .LBB1_3966
; %bb.18303:
	s_getpc_b64 s[14:15]
.Lpost_getpc5055:
	s_add_u32 s14, s14, (.LBB1_8064-.Lpost_getpc5055)&4294967295
	s_addc_u32 s15, s15, (.LBB1_8064-.Lpost_getpc5055)>>32
	s_setpc_b64 s[14:15]
.LBB1_3966:
	s_or_b64 exec, exec, s[6:7]
	s_and_saveexec_b64 s[6:7], s[4:5]
	s_cbranch_execz .LBB1_3968
.LBB1_3967:
	v_bfe_u32 v3, v15, 24, 2
	v_ffbh_u32_e32 v16, v3
	v_min_u32_e32 v16, 32, v16
	v_lshrrev_b32_e32 v13, 26, v15
	v_subrev_u32_e32 v17, 29, v16
	v_and_b32_e32 v12, 0x80000000, v15
	v_and_b32_e32 v13, 31, v13
	v_bfe_u32 v14, v15, 26, 5
	v_lshlrev_b32_sdwa v15, v17, v15 dst_sel:DWORD dst_unused:UNUSED_PAD src0_sel:DWORD src1_sel:BYTE_3
	v_sub_u32_e32 v16, 30, v16
	v_and_b32_e32 v15, 3, v15
	v_cmp_eq_u16_e32 vcc, 0, v13
	v_cndmask_b32_e32 v3, v3, v15, vcc
	v_cndmask_b32_e32 v13, v14, v16, vcc
	v_mov_b32_e32 v14, 0x37800000
	v_lshlrev_b32_e32 v3, 21, v3
	v_lshl_add_u32 v13, v13, 23, v14
	v_or3_b32 v3, v12, v13, v3
.LBB1_3968:
	s_or_b64 exec, exec, s[6:7]
	s_nop 0
	v_mfma_f32_16x16x4f32 a[0:3], v2, v3, a[0:3]
	s_movk_i32 s4, 0x7f
                                        ; implicit-def: $sgpr10
	s_nop 7
	s_nop 1
	flat_store_dwordx4 v[10:11], a[0:3] offset:480
	flat_load_dword v12, v[0:1] offset:544
	flat_load_dwordx2 v[2:3], v[6:7]
	v_mov_b32_e32 v6, 8
	s_waitcnt vmcnt(0) lgkmcnt(0)
	v_ashrrev_i32_e32 v1, 31, v12
	v_add_co_u32_e32 v0, vcc, v2, v12
	v_addc_co_u32_e32 v1, vcc, v3, v1, vcc
	flat_load_dwordx4 v[0:3], v[0:1] offset:1536
	s_waitcnt vmcnt(0) lgkmcnt(0)
	v_lshrrev_b32_sdwa v12, v6, v2 dst_sel:BYTE_1 dst_unused:UNUSED_PAD src0_sel:DWORD src1_sel:DWORD
	flat_store_dwordx4 v[8:9], v[0:3]
	flat_load_dwordx4 v[4:7], v[4:5]
	s_waitcnt vmcnt(0) lgkmcnt(0)
	v_cmp_gt_i16_sdwa s[6:7], v4, s4 src0_sel:BYTE_0 src1_sel:DWORD
	s_mov_b64 s[4:5], 0
	s_and_saveexec_b64 s[8:9], s[6:7]
	s_xor_b64 s[6:7], exec, s[8:9]
	s_cbranch_execz .LBB1_3969
; %bb.18305:
	s_getpc_b64 s[14:15]
.Lpost_getpc5056:
	s_add_u32 s14, s14, (.LBB1_8065-.Lpost_getpc5056)&4294967295
	s_addc_u32 s15, s15, (.LBB1_8065-.Lpost_getpc5056)>>32
	s_setpc_b64 s[14:15]
.LBB1_3969:
	s_or_saveexec_b64 s[6:7], s[6:7]
	v_mov_b32_e32 v8, s10
	s_xor_b64 exec, exec, s[6:7]
	s_cbranch_execz .LBB1_3970
; %bb.18307:
	s_getpc_b64 s[14:15]
.Lpost_getpc5057:
	s_add_u32 s14, s14, (.LBB1_8068-.Lpost_getpc5057)&4294967295
	s_addc_u32 s15, s15, (.LBB1_8068-.Lpost_getpc5057)>>32
	s_setpc_b64 s[14:15]
.LBB1_3970:
	s_or_b64 exec, exec, s[6:7]
	s_and_saveexec_b64 s[6:7], s[4:5]
	s_cbranch_execz .LBB1_3972
.LBB1_3971:
	v_and_b32_e32 v8, 7, v4
	v_ffbh_u32_e32 v13, v8
	v_min_u32_e32 v13, 32, v13
	v_lshrrev_b16_e32 v9, 3, v4
	v_subrev_u32_e32 v14, 28, v13
	v_and_b32_e32 v9, 15, v9
	v_lshlrev_b32_e32 v14, v14, v4
	v_sub_u32_e32 v13, 29, v13
	v_and_b32_e32 v14, 7, v14
	v_cmp_eq_u16_e32 vcc, 0, v9
	v_cndmask_b32_e32 v8, v8, v14, vcc
	v_cndmask_b32_e32 v9, v9, v13, vcc
	v_lshlrev_b32_e32 v13, 24, v4
	v_mov_b32_e32 v14, 0x3b800000
	v_lshlrev_b32_e32 v8, 20, v8
	v_and_b32_e32 v13, 0x80000000, v13
	v_lshl_add_u32 v9, v9, 23, v14
	v_or3_b32 v8, v13, v9, v8
.LBB1_3972:
	s_or_b64 exec, exec, s[6:7]
	s_movk_i32 s4, 0x7f
	v_cmp_gt_i16_sdwa s[6:7], v0, s4 src0_sel:BYTE_0 src1_sel:DWORD
	s_mov_b64 s[4:5], 0
                                        ; implicit-def: $sgpr10
	s_and_saveexec_b64 s[8:9], s[6:7]
	s_xor_b64 s[6:7], exec, s[8:9]
	s_cbranch_execz .LBB1_3973
; %bb.18309:
	s_getpc_b64 s[14:15]
.Lpost_getpc5058:
	s_add_u32 s14, s14, (.LBB1_8069-.Lpost_getpc5058)&4294967295
	s_addc_u32 s15, s15, (.LBB1_8069-.Lpost_getpc5058)>>32
	s_setpc_b64 s[14:15]
.LBB1_3973:
	s_or_saveexec_b64 s[6:7], s[6:7]
	v_mov_b32_e32 v9, s10
	s_xor_b64 exec, exec, s[6:7]
	s_cbranch_execz .LBB1_3974
; %bb.18311:
	s_getpc_b64 s[14:15]
.Lpost_getpc5059:
	s_add_u32 s14, s14, (.LBB1_8072-.Lpost_getpc5059)&4294967295
	s_addc_u32 s15, s15, (.LBB1_8072-.Lpost_getpc5059)>>32
	s_setpc_b64 s[14:15]
.LBB1_3974:
	s_or_b64 exec, exec, s[6:7]
	s_and_saveexec_b64 s[6:7], s[4:5]
	s_cbranch_execz .LBB1_3976
.LBB1_3975:
	v_and_b32_e32 v9, 3, v0
	v_ffbh_u32_e32 v14, v9
	v_min_u32_e32 v14, 32, v14
	v_lshrrev_b16_e32 v13, 2, v0
	v_subrev_u32_e32 v15, 29, v14
	v_and_b32_e32 v13, 31, v13
	v_lshlrev_b32_e32 v15, v15, v0
	v_sub_u32_e32 v14, 30, v14
	v_and_b32_e32 v15, 3, v15
	v_cmp_eq_u16_e32 vcc, 0, v13
	v_cndmask_b32_e32 v9, v9, v15, vcc
	v_cndmask_b32_e32 v13, v13, v14, vcc
	v_lshlrev_b32_e32 v14, 24, v0
	v_mov_b32_e32 v15, 0x37800000
	v_lshlrev_b32_e32 v9, 21, v9
	v_and_b32_e32 v14, 0x80000000, v14
	v_lshl_add_u32 v13, v13, 23, v15
	v_or3_b32 v9, v14, v13, v9
.LBB1_3976:
	s_or_b64 exec, exec, s[6:7]
	flat_load_dwordx4 a[0:3], v[10:11] offset:496
	s_movk_i32 s4, 0x7f
                                        ; implicit-def: $sgpr10
	s_waitcnt vmcnt(0) lgkmcnt(0)
	v_mfma_f32_16x16x4f32 a[0:3], v8, v9, a[0:3]
	v_lshrrev_b32_e32 v9, 8, v4
	v_cmp_gt_i16_sdwa s[6:7], v9, s4 src0_sel:BYTE_0 src1_sel:DWORD
	s_mov_b64 s[4:5], 0
	s_and_saveexec_b64 s[8:9], s[6:7]
	s_xor_b64 s[6:7], exec, s[8:9]
	s_cbranch_execz .LBB1_3977
; %bb.18313:
	s_getpc_b64 s[14:15]
.Lpost_getpc5060:
	s_add_u32 s14, s14, (.LBB1_8073-.Lpost_getpc5060)&4294967295
	s_addc_u32 s15, s15, (.LBB1_8073-.Lpost_getpc5060)>>32
	s_setpc_b64 s[14:15]
.LBB1_3977:
	s_or_saveexec_b64 s[6:7], s[6:7]
	v_mov_b32_e32 v8, s10
	s_xor_b64 exec, exec, s[6:7]
	s_cbranch_execz .LBB1_3978
; %bb.18315:
	s_getpc_b64 s[14:15]
.Lpost_getpc5061:
	s_add_u32 s14, s14, (.LBB1_8076-.Lpost_getpc5061)&4294967295
	s_addc_u32 s15, s15, (.LBB1_8076-.Lpost_getpc5061)>>32
	s_setpc_b64 s[14:15]
.LBB1_3978:
	s_or_b64 exec, exec, s[6:7]
	s_and_saveexec_b64 s[6:7], s[4:5]
	s_cbranch_execz .LBB1_3980
.LBB1_3979:
	v_bfe_u32 v8, v4, 8, 3
	v_ffbh_u32_e32 v14, v8
	v_min_u32_e32 v14, 32, v14
	v_lshrrev_b16_e32 v13, 3, v9
	v_subrev_u32_e32 v15, 28, v14
	v_and_b32_e32 v13, 15, v13
	v_lshlrev_b32_e32 v9, v15, v9
	v_sub_u32_e32 v14, 29, v14
	v_and_b32_e32 v9, 7, v9
	v_cmp_eq_u16_e32 vcc, 0, v13
	v_cndmask_b32_e32 v8, v8, v9, vcc
	v_cndmask_b32_e32 v9, v13, v14, vcc
	v_lshlrev_b32_e32 v13, 16, v4
	v_mov_b32_e32 v14, 0x3b800000
	v_lshlrev_b32_e32 v8, 20, v8
	v_and_b32_e32 v13, 0x80000000, v13
	v_lshl_add_u32 v9, v9, 23, v14
	v_or3_b32 v8, v13, v9, v8
.LBB1_3980:
	s_or_b64 exec, exec, s[6:7]
	v_lshrrev_b32_e32 v9, 8, v0
	s_movk_i32 s4, 0x7f
	v_cmp_gt_i16_sdwa s[6:7], v9, s4 src0_sel:BYTE_0 src1_sel:DWORD
	s_mov_b64 s[4:5], 0
                                        ; implicit-def: $sgpr10
	s_and_saveexec_b64 s[8:9], s[6:7]
	s_xor_b64 s[6:7], exec, s[8:9]
	s_cbranch_execz .LBB1_3981
; %bb.18317:
	s_getpc_b64 s[14:15]
.Lpost_getpc5062:
	s_add_u32 s14, s14, (.LBB1_8077-.Lpost_getpc5062)&4294967295
	s_addc_u32 s15, s15, (.LBB1_8077-.Lpost_getpc5062)>>32
	s_setpc_b64 s[14:15]
.LBB1_3981:
	s_or_saveexec_b64 s[6:7], s[6:7]
	v_mov_b32_e32 v13, s10
	s_xor_b64 exec, exec, s[6:7]
	s_cbranch_execz .LBB1_3982
; %bb.18319:
	s_getpc_b64 s[14:15]
.Lpost_getpc5063:
	s_add_u32 s14, s14, (.LBB1_8080-.Lpost_getpc5063)&4294967295
	s_addc_u32 s15, s15, (.LBB1_8080-.Lpost_getpc5063)>>32
	s_setpc_b64 s[14:15]
.LBB1_3982:
	s_or_b64 exec, exec, s[6:7]
	s_and_saveexec_b64 s[6:7], s[4:5]
	s_cbranch_execz .LBB1_3984
.LBB1_3983:
	v_bfe_u32 v13, v0, 8, 2
	v_ffbh_u32_e32 v15, v13
	v_min_u32_e32 v15, 32, v15
	v_lshrrev_b16_e32 v14, 2, v9
	v_subrev_u32_e32 v16, 29, v15
	v_and_b32_e32 v14, 31, v14
	v_lshlrev_b32_e32 v9, v16, v9
	v_sub_u32_e32 v15, 30, v15
	v_and_b32_e32 v9, 3, v9
	v_cmp_eq_u16_e32 vcc, 0, v14
	v_cndmask_b32_e32 v9, v13, v9, vcc
	v_cndmask_b32_e32 v13, v14, v15, vcc
	v_lshlrev_b32_e32 v14, 16, v0
	v_mov_b32_e32 v15, 0x37800000
	v_lshlrev_b32_e32 v9, 21, v9
	v_and_b32_e32 v14, 0x80000000, v14
	v_lshl_add_u32 v13, v13, 23, v15
	v_or3_b32 v13, v14, v13, v9
.LBB1_3984:
	s_or_b64 exec, exec, s[6:7]
	s_nop 0
	v_mfma_f32_16x16x4f32 a[0:3], v8, v13, a[0:3]
	s_movk_i32 s4, 0xff
	v_and_b32_sdwa v9, v4, s4 dst_sel:DWORD dst_unused:UNUSED_PAD src0_sel:WORD_1 src1_sel:DWORD
	s_movk_i32 s4, 0x7f
	v_cmp_lt_i16_e32 vcc, s4, v9
	s_mov_b64 s[4:5], 0
                                        ; implicit-def: $sgpr10
	s_and_saveexec_b64 s[6:7], vcc
	s_xor_b64 s[6:7], exec, s[6:7]
	s_cbranch_execz .LBB1_3985
; %bb.18321:
	s_getpc_b64 s[14:15]
.Lpost_getpc5064:
	s_add_u32 s14, s14, (.LBB1_8081-.Lpost_getpc5064)&4294967295
	s_addc_u32 s15, s15, (.LBB1_8081-.Lpost_getpc5064)>>32
	s_setpc_b64 s[14:15]
.LBB1_3985:
	s_or_saveexec_b64 s[6:7], s[6:7]
	v_mov_b32_e32 v8, s10
	s_xor_b64 exec, exec, s[6:7]
	s_cbranch_execz .LBB1_3986
; %bb.18323:
	s_getpc_b64 s[14:15]
.Lpost_getpc5065:
	s_add_u32 s14, s14, (.LBB1_8084-.Lpost_getpc5065)&4294967295
	s_addc_u32 s15, s15, (.LBB1_8084-.Lpost_getpc5065)>>32
	s_setpc_b64 s[14:15]
.LBB1_3986:
	s_or_b64 exec, exec, s[6:7]
	s_and_saveexec_b64 s[6:7], s[4:5]
	s_cbranch_execz .LBB1_3988
.LBB1_3987:
	v_bfe_u32 v8, v4, 16, 3
	v_ffbh_u32_e32 v14, v8
	v_min_u32_e32 v14, 32, v14
	v_lshrrev_b32_e32 v9, 19, v4
	v_subrev_u32_e32 v15, 28, v14
	v_and_b32_e32 v9, 15, v9
	v_lshlrev_b32_sdwa v15, v15, v4 dst_sel:DWORD dst_unused:UNUSED_PAD src0_sel:DWORD src1_sel:WORD_1
	v_bfe_u32 v13, v4, 19, 4
	v_sub_u32_e32 v14, 29, v14
	v_and_b32_e32 v15, 7, v15
	v_cmp_eq_u16_e32 vcc, 0, v9
	v_cndmask_b32_e32 v8, v8, v15, vcc
	v_cndmask_b32_e32 v9, v13, v14, vcc
	v_lshlrev_b32_e32 v13, 8, v4
	v_mov_b32_e32 v14, 0x3b800000
	v_lshlrev_b32_e32 v8, 20, v8
	v_and_b32_e32 v13, 0x80000000, v13
	v_lshl_add_u32 v9, v9, 23, v14
	v_or3_b32 v8, v13, v9, v8
.LBB1_3988:
	s_or_b64 exec, exec, s[6:7]
	s_movk_i32 s4, 0xff
	v_and_b32_sdwa v9, v0, s4 dst_sel:DWORD dst_unused:UNUSED_PAD src0_sel:WORD_1 src1_sel:DWORD
	s_movk_i32 s4, 0x7f
	v_cmp_lt_i16_e32 vcc, s4, v9
	s_mov_b64 s[4:5], 0
                                        ; implicit-def: $sgpr10
	s_and_saveexec_b64 s[6:7], vcc
	s_xor_b64 s[6:7], exec, s[6:7]
	s_cbranch_execz .LBB1_3989
; %bb.18325:
	s_getpc_b64 s[14:15]
.Lpost_getpc5066:
	s_add_u32 s14, s14, (.LBB1_8085-.Lpost_getpc5066)&4294967295
	s_addc_u32 s15, s15, (.LBB1_8085-.Lpost_getpc5066)>>32
	s_setpc_b64 s[14:15]
.LBB1_3989:
	s_or_saveexec_b64 s[6:7], s[6:7]
	v_mov_b32_e32 v13, s10
	s_xor_b64 exec, exec, s[6:7]
	s_cbranch_execz .LBB1_3990
; %bb.18327:
	s_getpc_b64 s[14:15]
.Lpost_getpc5067:
	s_add_u32 s14, s14, (.LBB1_8088-.Lpost_getpc5067)&4294967295
	s_addc_u32 s15, s15, (.LBB1_8088-.Lpost_getpc5067)>>32
	s_setpc_b64 s[14:15]
.LBB1_3990:
	s_or_b64 exec, exec, s[6:7]
	s_and_saveexec_b64 s[6:7], s[4:5]
	s_cbranch_execz .LBB1_3992
.LBB1_3991:
	v_bfe_u32 v9, v0, 16, 2
	v_ffbh_u32_e32 v15, v9
	v_min_u32_e32 v15, 32, v15
	v_lshrrev_b32_e32 v13, 18, v0
	v_subrev_u32_e32 v16, 29, v15
	v_and_b32_e32 v13, 31, v13
	v_lshlrev_b32_sdwa v16, v16, v0 dst_sel:DWORD dst_unused:UNUSED_PAD src0_sel:DWORD src1_sel:WORD_1
	v_bfe_u32 v14, v0, 18, 5
	v_sub_u32_e32 v15, 30, v15
	v_and_b32_e32 v16, 3, v16
	v_cmp_eq_u16_e32 vcc, 0, v13
	v_cndmask_b32_e32 v9, v9, v16, vcc
	v_cndmask_b32_e32 v13, v14, v15, vcc
	v_lshlrev_b32_e32 v14, 8, v0
	v_mov_b32_e32 v15, 0x37800000
	v_lshlrev_b32_e32 v9, 21, v9
	v_and_b32_e32 v14, 0x80000000, v14
	v_lshl_add_u32 v13, v13, 23, v15
	v_or3_b32 v13, v14, v13, v9
.LBB1_3992:
	s_or_b64 exec, exec, s[6:7]
	s_nop 0
	v_mfma_f32_16x16x4f32 a[0:3], v8, v13, a[0:3]
	s_movk_i32 s4, 0x7f
	v_cmp_gt_i16_sdwa s[6:7], v4, s4 src0_sel:BYTE_3 src1_sel:DWORD
	s_mov_b64 s[4:5], 0
                                        ; implicit-def: $sgpr10
	s_and_saveexec_b64 s[8:9], s[6:7]
	s_xor_b64 s[6:7], exec, s[8:9]
	s_cbranch_execz .LBB1_3993
; %bb.18329:
	s_getpc_b64 s[14:15]
.Lpost_getpc5068:
	s_add_u32 s14, s14, (.LBB1_8089-.Lpost_getpc5068)&4294967295
	s_addc_u32 s15, s15, (.LBB1_8089-.Lpost_getpc5068)>>32
	s_setpc_b64 s[14:15]
.LBB1_3993:
	s_or_saveexec_b64 s[6:7], s[6:7]
	v_mov_b32_e32 v8, s10
	s_xor_b64 exec, exec, s[6:7]
	s_cbranch_execz .LBB1_3994
; %bb.18331:
	s_getpc_b64 s[14:15]
.Lpost_getpc5069:
	s_add_u32 s14, s14, (.LBB1_8092-.Lpost_getpc5069)&4294967295
	s_addc_u32 s15, s15, (.LBB1_8092-.Lpost_getpc5069)>>32
	s_setpc_b64 s[14:15]
.LBB1_3994:
	s_or_b64 exec, exec, s[6:7]
	s_and_saveexec_b64 s[6:7], s[4:5]
	s_cbranch_execz .LBB1_3996
.LBB1_3995:
	v_bfe_u32 v8, v4, 24, 3
	v_ffbh_u32_e32 v15, v8
	v_min_u32_e32 v15, 32, v15
	v_lshrrev_b32_e32 v13, 27, v4
	v_subrev_u32_e32 v16, 28, v15
	v_and_b32_e32 v9, 0x80000000, v4
	v_and_b32_e32 v13, 15, v13
	v_bfe_u32 v14, v4, 27, 4
	v_lshlrev_b32_sdwa v4, v16, v4 dst_sel:DWORD dst_unused:UNUSED_PAD src0_sel:DWORD src1_sel:BYTE_3
	v_sub_u32_e32 v15, 29, v15
	v_and_b32_e32 v4, 7, v4
	v_cmp_eq_u16_e32 vcc, 0, v13
	v_cndmask_b32_e32 v4, v8, v4, vcc
	v_cndmask_b32_e32 v8, v14, v15, vcc
	v_mov_b32_e32 v13, 0x3b800000
	v_lshlrev_b32_e32 v4, 20, v4
	v_lshl_add_u32 v8, v8, 23, v13
	v_or3_b32 v8, v9, v8, v4
.LBB1_3996:
	s_or_b64 exec, exec, s[6:7]
	s_movk_i32 s4, 0x7f
	v_cmp_gt_i16_sdwa s[6:7], v0, s4 src0_sel:BYTE_3 src1_sel:DWORD
	s_mov_b64 s[4:5], 0
                                        ; implicit-def: $sgpr10
	s_and_saveexec_b64 s[8:9], s[6:7]
	s_xor_b64 s[6:7], exec, s[8:9]
	s_cbranch_execz .LBB1_3997
; %bb.18333:
	s_getpc_b64 s[14:15]
.Lpost_getpc5070:
	s_add_u32 s14, s14, (.LBB1_8093-.Lpost_getpc5070)&4294967295
	s_addc_u32 s15, s15, (.LBB1_8093-.Lpost_getpc5070)>>32
	s_setpc_b64 s[14:15]
.LBB1_3997:
	s_or_saveexec_b64 s[6:7], s[6:7]
	v_mov_b32_e32 v4, s10
	s_xor_b64 exec, exec, s[6:7]
	s_cbranch_execz .LBB1_3998
; %bb.18335:
	s_getpc_b64 s[14:15]
.Lpost_getpc5071:
	s_add_u32 s14, s14, (.LBB1_8096-.Lpost_getpc5071)&4294967295
	s_addc_u32 s15, s15, (.LBB1_8096-.Lpost_getpc5071)>>32
	s_setpc_b64 s[14:15]
.LBB1_3998:
	s_or_b64 exec, exec, s[6:7]
	s_and_saveexec_b64 s[6:7], s[4:5]
	s_cbranch_execz .LBB1_4000
.LBB1_3999:
	v_bfe_u32 v4, v0, 24, 2
	v_ffbh_u32_e32 v15, v4
	v_min_u32_e32 v15, 32, v15
	v_lshrrev_b32_e32 v13, 26, v0
	v_subrev_u32_e32 v16, 29, v15
	v_and_b32_e32 v9, 0x80000000, v0
	v_and_b32_e32 v13, 31, v13
	v_bfe_u32 v14, v0, 26, 5
	v_lshlrev_b32_sdwa v0, v16, v0 dst_sel:DWORD dst_unused:UNUSED_PAD src0_sel:DWORD src1_sel:BYTE_3
	v_sub_u32_e32 v15, 30, v15
	v_and_b32_e32 v0, 3, v0
	v_cmp_eq_u16_e32 vcc, 0, v13
	v_cndmask_b32_e32 v0, v4, v0, vcc
	v_cndmask_b32_e32 v4, v14, v15, vcc
	v_mov_b32_e32 v13, 0x37800000
	v_lshlrev_b32_e32 v0, 21, v0
	v_lshl_add_u32 v4, v4, 23, v13
	v_or3_b32 v4, v9, v4, v0
.LBB1_4000:
	s_or_b64 exec, exec, s[6:7]
	s_nop 0
	v_mfma_f32_16x16x4f32 a[0:3], v8, v4, a[0:3]
	s_movk_i32 s4, 0x7f
	v_cmp_gt_i16_sdwa s[6:7], v5, s4 src0_sel:BYTE_0 src1_sel:DWORD
	s_mov_b64 s[4:5], 0
                                        ; implicit-def: $sgpr10
	s_and_saveexec_b64 s[8:9], s[6:7]
	s_xor_b64 s[6:7], exec, s[8:9]
	s_cbranch_execz .LBB1_4001
; %bb.18337:
	s_getpc_b64 s[14:15]
.Lpost_getpc5072:
	s_add_u32 s14, s14, (.LBB1_8097-.Lpost_getpc5072)&4294967295
	s_addc_u32 s15, s15, (.LBB1_8097-.Lpost_getpc5072)>>32
	s_setpc_b64 s[14:15]
.LBB1_4001:
	s_or_saveexec_b64 s[6:7], s[6:7]
	v_mov_b32_e32 v0, s10
	s_xor_b64 exec, exec, s[6:7]
	s_cbranch_execz .LBB1_4002
; %bb.18339:
	s_getpc_b64 s[14:15]
.Lpost_getpc5073:
	s_add_u32 s14, s14, (.LBB1_8100-.Lpost_getpc5073)&4294967295
	s_addc_u32 s15, s15, (.LBB1_8100-.Lpost_getpc5073)>>32
	s_setpc_b64 s[14:15]
.LBB1_4002:
	s_or_b64 exec, exec, s[6:7]
	s_and_saveexec_b64 s[6:7], s[4:5]
	s_cbranch_execz .LBB1_4004
.LBB1_4003:
	v_and_b32_e32 v0, 7, v5
	v_ffbh_u32_e32 v8, v0
	v_min_u32_e32 v8, 32, v8
	v_lshrrev_b16_e32 v4, 3, v5
	v_subrev_u32_e32 v9, 28, v8
	v_and_b32_e32 v4, 15, v4
	v_lshlrev_b32_e32 v9, v9, v5
	v_sub_u32_e32 v8, 29, v8
	v_and_b32_e32 v9, 7, v9
	v_cmp_eq_u16_e32 vcc, 0, v4
	v_cndmask_b32_e32 v0, v0, v9, vcc
	v_cndmask_b32_e32 v4, v4, v8, vcc
	v_lshlrev_b32_e32 v8, 24, v5
	v_mov_b32_e32 v9, 0x3b800000
	v_lshlrev_b32_e32 v0, 20, v0
	v_and_b32_e32 v8, 0x80000000, v8
	v_lshl_add_u32 v4, v4, 23, v9
	v_or3_b32 v0, v8, v4, v0
.LBB1_4004:
	s_or_b64 exec, exec, s[6:7]
	s_movk_i32 s4, 0x7f
	v_cmp_gt_i16_sdwa s[6:7], v1, s4 src0_sel:BYTE_0 src1_sel:DWORD
	s_mov_b64 s[4:5], 0
                                        ; implicit-def: $sgpr10
	s_and_saveexec_b64 s[8:9], s[6:7]
	s_xor_b64 s[6:7], exec, s[8:9]
	s_cbranch_execz .LBB1_4005
; %bb.18341:
	s_getpc_b64 s[14:15]
.Lpost_getpc5074:
	s_add_u32 s14, s14, (.LBB1_8101-.Lpost_getpc5074)&4294967295
	s_addc_u32 s15, s15, (.LBB1_8101-.Lpost_getpc5074)>>32
	s_setpc_b64 s[14:15]
.LBB1_4005:
	s_or_saveexec_b64 s[6:7], s[6:7]
	v_mov_b32_e32 v4, s10
	s_xor_b64 exec, exec, s[6:7]
	s_cbranch_execz .LBB1_4006
; %bb.18343:
	s_getpc_b64 s[14:15]
.Lpost_getpc5075:
	s_add_u32 s14, s14, (.LBB1_8104-.Lpost_getpc5075)&4294967295
	s_addc_u32 s15, s15, (.LBB1_8104-.Lpost_getpc5075)>>32
	s_setpc_b64 s[14:15]
.LBB1_4006:
	s_or_b64 exec, exec, s[6:7]
	s_and_saveexec_b64 s[6:7], s[4:5]
	s_cbranch_execz .LBB1_4008
.LBB1_4007:
	v_and_b32_e32 v4, 3, v1
	v_ffbh_u32_e32 v9, v4
	v_min_u32_e32 v9, 32, v9
	v_lshrrev_b16_e32 v8, 2, v1
	v_subrev_u32_e32 v13, 29, v9
	v_and_b32_e32 v8, 31, v8
	v_lshlrev_b32_e32 v13, v13, v1
	v_sub_u32_e32 v9, 30, v9
	v_and_b32_e32 v13, 3, v13
	v_cmp_eq_u16_e32 vcc, 0, v8
	v_cndmask_b32_e32 v4, v4, v13, vcc
	v_cndmask_b32_e32 v8, v8, v9, vcc
	v_lshlrev_b32_e32 v9, 24, v1
	v_mov_b32_e32 v13, 0x37800000
	v_lshlrev_b32_e32 v4, 21, v4
	v_and_b32_e32 v9, 0x80000000, v9
	v_lshl_add_u32 v8, v8, 23, v13
	v_or3_b32 v4, v9, v8, v4
.LBB1_4008:
	s_or_b64 exec, exec, s[6:7]
	s_nop 0
	v_mfma_f32_16x16x4f32 a[0:3], v0, v4, a[0:3]
	v_lshrrev_b32_e32 v4, 8, v5
	s_movk_i32 s4, 0x7f
	v_cmp_gt_i16_sdwa s[6:7], v4, s4 src0_sel:BYTE_0 src1_sel:DWORD
	s_mov_b64 s[4:5], 0
                                        ; implicit-def: $sgpr10
	s_and_saveexec_b64 s[8:9], s[6:7]
	s_xor_b64 s[6:7], exec, s[8:9]
	s_cbranch_execz .LBB1_4009
; %bb.18345:
	s_getpc_b64 s[14:15]
.Lpost_getpc5076:
	s_add_u32 s14, s14, (.LBB1_8105-.Lpost_getpc5076)&4294967295
	s_addc_u32 s15, s15, (.LBB1_8105-.Lpost_getpc5076)>>32
	s_setpc_b64 s[14:15]
.LBB1_4009:
	s_or_saveexec_b64 s[6:7], s[6:7]
	v_mov_b32_e32 v0, s10
	s_xor_b64 exec, exec, s[6:7]
	s_cbranch_execz .LBB1_4010
; %bb.18347:
	s_getpc_b64 s[14:15]
.Lpost_getpc5077:
	s_add_u32 s14, s14, (.LBB1_8108-.Lpost_getpc5077)&4294967295
	s_addc_u32 s15, s15, (.LBB1_8108-.Lpost_getpc5077)>>32
	s_setpc_b64 s[14:15]
.LBB1_4010:
	s_or_b64 exec, exec, s[6:7]
	s_and_saveexec_b64 s[6:7], s[4:5]
	s_cbranch_execz .LBB1_4012
.LBB1_4011:
	v_bfe_u32 v0, v5, 8, 3
	v_ffbh_u32_e32 v9, v0
	v_min_u32_e32 v9, 32, v9
	v_lshrrev_b16_e32 v8, 3, v4
	v_subrev_u32_e32 v13, 28, v9
	v_and_b32_e32 v8, 15, v8
	v_lshlrev_b32_e32 v4, v13, v4
	v_sub_u32_e32 v9, 29, v9
	v_and_b32_e32 v4, 7, v4
	v_cmp_eq_u16_e32 vcc, 0, v8
	v_cndmask_b32_e32 v0, v0, v4, vcc
	v_cndmask_b32_e32 v4, v8, v9, vcc
	v_lshlrev_b32_e32 v8, 16, v5
	v_mov_b32_e32 v9, 0x3b800000
	v_lshlrev_b32_e32 v0, 20, v0
	v_and_b32_e32 v8, 0x80000000, v8
	v_lshl_add_u32 v4, v4, 23, v9
	v_or3_b32 v0, v8, v4, v0
.LBB1_4012:
	s_or_b64 exec, exec, s[6:7]
	v_lshrrev_b32_e32 v4, 8, v1
	s_movk_i32 s4, 0x7f
	v_cmp_gt_i16_sdwa s[6:7], v4, s4 src0_sel:BYTE_0 src1_sel:DWORD
	s_mov_b64 s[4:5], 0
                                        ; implicit-def: $sgpr10
	s_and_saveexec_b64 s[8:9], s[6:7]
	s_xor_b64 s[6:7], exec, s[8:9]
	s_cbranch_execz .LBB1_4013
; %bb.18349:
	s_getpc_b64 s[14:15]
.Lpost_getpc5078:
	s_add_u32 s14, s14, (.LBB1_8109-.Lpost_getpc5078)&4294967295
	s_addc_u32 s15, s15, (.LBB1_8109-.Lpost_getpc5078)>>32
	s_setpc_b64 s[14:15]
.LBB1_4013:
	s_or_saveexec_b64 s[6:7], s[6:7]
	v_mov_b32_e32 v8, s10
	s_xor_b64 exec, exec, s[6:7]
	s_cbranch_execz .LBB1_4014
; %bb.18351:
	s_getpc_b64 s[14:15]
.Lpost_getpc5079:
	s_add_u32 s14, s14, (.LBB1_8112-.Lpost_getpc5079)&4294967295
	s_addc_u32 s15, s15, (.LBB1_8112-.Lpost_getpc5079)>>32
	s_setpc_b64 s[14:15]
.LBB1_4014:
	s_or_b64 exec, exec, s[6:7]
	s_and_saveexec_b64 s[6:7], s[4:5]
	s_cbranch_execz .LBB1_4016
.LBB1_4015:
	v_bfe_u32 v8, v1, 8, 2
	v_ffbh_u32_e32 v13, v8
	v_min_u32_e32 v13, 32, v13
	v_lshrrev_b16_e32 v9, 2, v4
	v_subrev_u32_e32 v14, 29, v13
	v_and_b32_e32 v9, 31, v9
	v_lshlrev_b32_e32 v4, v14, v4
	v_sub_u32_e32 v13, 30, v13
	v_and_b32_e32 v4, 3, v4
	v_cmp_eq_u16_e32 vcc, 0, v9
	v_cndmask_b32_e32 v4, v8, v4, vcc
	v_cndmask_b32_e32 v8, v9, v13, vcc
	v_lshlrev_b32_e32 v9, 16, v1
	v_mov_b32_e32 v13, 0x37800000
	v_lshlrev_b32_e32 v4, 21, v4
	v_and_b32_e32 v9, 0x80000000, v9
	v_lshl_add_u32 v8, v8, 23, v13
	v_or3_b32 v8, v9, v8, v4
.LBB1_4016:
	s_or_b64 exec, exec, s[6:7]
	s_nop 0
	v_mfma_f32_16x16x4f32 a[0:3], v0, v8, a[0:3]
	s_movk_i32 s4, 0xff
	v_and_b32_sdwa v4, v5, s4 dst_sel:DWORD dst_unused:UNUSED_PAD src0_sel:WORD_1 src1_sel:DWORD
	s_movk_i32 s4, 0x7f
	v_cmp_lt_i16_e32 vcc, s4, v4
	s_mov_b64 s[4:5], 0
                                        ; implicit-def: $sgpr10
	s_and_saveexec_b64 s[6:7], vcc
	s_xor_b64 s[6:7], exec, s[6:7]
	s_cbranch_execz .LBB1_4017
; %bb.18353:
	s_getpc_b64 s[14:15]
.Lpost_getpc5080:
	s_add_u32 s14, s14, (.LBB1_8113-.Lpost_getpc5080)&4294967295
	s_addc_u32 s15, s15, (.LBB1_8113-.Lpost_getpc5080)>>32
	s_setpc_b64 s[14:15]
.LBB1_4017:
	s_or_saveexec_b64 s[6:7], s[6:7]
	v_mov_b32_e32 v0, s10
	s_xor_b64 exec, exec, s[6:7]
	s_cbranch_execz .LBB1_4018
; %bb.18355:
	s_getpc_b64 s[14:15]
.Lpost_getpc5081:
	s_add_u32 s14, s14, (.LBB1_8116-.Lpost_getpc5081)&4294967295
	s_addc_u32 s15, s15, (.LBB1_8116-.Lpost_getpc5081)>>32
	s_setpc_b64 s[14:15]
.LBB1_4018:
	s_or_b64 exec, exec, s[6:7]
	s_and_saveexec_b64 s[6:7], s[4:5]
	s_cbranch_execz .LBB1_4020
.LBB1_4019:
	v_bfe_u32 v0, v5, 16, 3
	v_ffbh_u32_e32 v9, v0
	v_min_u32_e32 v9, 32, v9
	v_lshrrev_b32_e32 v4, 19, v5
	v_subrev_u32_e32 v13, 28, v9
	v_and_b32_e32 v4, 15, v4
	v_lshlrev_b32_sdwa v13, v13, v5 dst_sel:DWORD dst_unused:UNUSED_PAD src0_sel:DWORD src1_sel:WORD_1
	v_bfe_u32 v8, v5, 19, 4
	v_sub_u32_e32 v9, 29, v9
	v_and_b32_e32 v13, 7, v13
	v_cmp_eq_u16_e32 vcc, 0, v4
	v_cndmask_b32_e32 v0, v0, v13, vcc
	v_cndmask_b32_e32 v4, v8, v9, vcc
	v_lshlrev_b32_e32 v8, 8, v5
	v_mov_b32_e32 v9, 0x3b800000
	v_lshlrev_b32_e32 v0, 20, v0
	v_and_b32_e32 v8, 0x80000000, v8
	v_lshl_add_u32 v4, v4, 23, v9
	v_or3_b32 v0, v8, v4, v0
.LBB1_4020:
	s_or_b64 exec, exec, s[6:7]
	s_movk_i32 s4, 0xff
	v_and_b32_sdwa v4, v1, s4 dst_sel:DWORD dst_unused:UNUSED_PAD src0_sel:WORD_1 src1_sel:DWORD
	s_movk_i32 s4, 0x7f
	v_cmp_lt_i16_e32 vcc, s4, v4
	s_mov_b64 s[4:5], 0
                                        ; implicit-def: $sgpr10
	s_and_saveexec_b64 s[6:7], vcc
	s_xor_b64 s[6:7], exec, s[6:7]
	s_cbranch_execz .LBB1_4021
; %bb.18357:
	s_getpc_b64 s[14:15]
.Lpost_getpc5082:
	s_add_u32 s14, s14, (.LBB1_8117-.Lpost_getpc5082)&4294967295
	s_addc_u32 s15, s15, (.LBB1_8117-.Lpost_getpc5082)>>32
	s_setpc_b64 s[14:15]
.LBB1_4021:
	s_or_saveexec_b64 s[6:7], s[6:7]
	v_mov_b32_e32 v8, s10
	s_xor_b64 exec, exec, s[6:7]
	s_cbranch_execz .LBB1_4022
; %bb.18359:
	s_getpc_b64 s[14:15]
.Lpost_getpc5083:
	s_add_u32 s14, s14, (.LBB1_8120-.Lpost_getpc5083)&4294967295
	s_addc_u32 s15, s15, (.LBB1_8120-.Lpost_getpc5083)>>32
	s_setpc_b64 s[14:15]
.LBB1_4022:
	s_or_b64 exec, exec, s[6:7]
	s_and_saveexec_b64 s[6:7], s[4:5]
	s_cbranch_execz .LBB1_4024
.LBB1_4023:
	v_bfe_u32 v4, v1, 16, 2
	v_ffbh_u32_e32 v13, v4
	v_min_u32_e32 v13, 32, v13
	v_lshrrev_b32_e32 v8, 18, v1
	v_subrev_u32_e32 v14, 29, v13
	v_and_b32_e32 v8, 31, v8
	v_lshlrev_b32_sdwa v14, v14, v1 dst_sel:DWORD dst_unused:UNUSED_PAD src0_sel:DWORD src1_sel:WORD_1
	v_bfe_u32 v9, v1, 18, 5
	v_sub_u32_e32 v13, 30, v13
	v_and_b32_e32 v14, 3, v14
	v_cmp_eq_u16_e32 vcc, 0, v8
	v_cndmask_b32_e32 v4, v4, v14, vcc
	v_cndmask_b32_e32 v8, v9, v13, vcc
	v_lshlrev_b32_e32 v9, 8, v1
	v_mov_b32_e32 v13, 0x37800000
	v_lshlrev_b32_e32 v4, 21, v4
	v_and_b32_e32 v9, 0x80000000, v9
	v_lshl_add_u32 v8, v8, 23, v13
	v_or3_b32 v8, v9, v8, v4
.LBB1_4024:
	s_or_b64 exec, exec, s[6:7]
	s_nop 0
	v_mfma_f32_16x16x4f32 a[0:3], v0, v8, a[0:3]
	s_movk_i32 s4, 0x7f
	v_cmp_gt_i16_sdwa s[6:7], v5, s4 src0_sel:BYTE_3 src1_sel:DWORD
	s_mov_b64 s[4:5], 0
                                        ; implicit-def: $sgpr10
	s_and_saveexec_b64 s[8:9], s[6:7]
	s_xor_b64 s[6:7], exec, s[8:9]
	s_cbranch_execz .LBB1_4025
; %bb.18361:
	s_getpc_b64 s[14:15]
.Lpost_getpc5084:
	s_add_u32 s14, s14, (.LBB1_8121-.Lpost_getpc5084)&4294967295
	s_addc_u32 s15, s15, (.LBB1_8121-.Lpost_getpc5084)>>32
	s_setpc_b64 s[14:15]
.LBB1_4025:
	s_or_saveexec_b64 s[6:7], s[6:7]
	v_mov_b32_e32 v0, s10
	s_xor_b64 exec, exec, s[6:7]
	s_cbranch_execz .LBB1_4026
; %bb.18363:
	s_getpc_b64 s[14:15]
.Lpost_getpc5085:
	s_add_u32 s14, s14, (.LBB1_8124-.Lpost_getpc5085)&4294967295
	s_addc_u32 s15, s15, (.LBB1_8124-.Lpost_getpc5085)>>32
	s_setpc_b64 s[14:15]
.LBB1_4026:
	s_or_b64 exec, exec, s[6:7]
	s_and_saveexec_b64 s[6:7], s[4:5]
	s_cbranch_execz .LBB1_4028
.LBB1_4027:
	v_bfe_u32 v0, v5, 24, 3
	v_ffbh_u32_e32 v13, v0
	v_min_u32_e32 v13, 32, v13
	v_lshrrev_b32_e32 v8, 27, v5
	v_subrev_u32_e32 v14, 28, v13
	v_and_b32_e32 v4, 0x80000000, v5
	v_and_b32_e32 v8, 15, v8
	v_bfe_u32 v9, v5, 27, 4
	v_lshlrev_b32_sdwa v5, v14, v5 dst_sel:DWORD dst_unused:UNUSED_PAD src0_sel:DWORD src1_sel:BYTE_3
	v_sub_u32_e32 v13, 29, v13
	v_and_b32_e32 v5, 7, v5
	v_cmp_eq_u16_e32 vcc, 0, v8
	v_cndmask_b32_e32 v0, v0, v5, vcc
	v_cndmask_b32_e32 v5, v9, v13, vcc
	v_mov_b32_e32 v8, 0x3b800000
	v_lshlrev_b32_e32 v0, 20, v0
	v_lshl_add_u32 v5, v5, 23, v8
	v_or3_b32 v0, v4, v5, v0
.LBB1_4028:
	s_or_b64 exec, exec, s[6:7]
	s_movk_i32 s4, 0x7f
	v_cmp_gt_i16_sdwa s[6:7], v1, s4 src0_sel:BYTE_3 src1_sel:DWORD
	s_mov_b64 s[4:5], 0
                                        ; implicit-def: $sgpr10
	s_and_saveexec_b64 s[8:9], s[6:7]
	s_xor_b64 s[6:7], exec, s[8:9]
	s_cbranch_execz .LBB1_4029
; %bb.18365:
	s_getpc_b64 s[14:15]
.Lpost_getpc5086:
	s_add_u32 s14, s14, (.LBB1_8125-.Lpost_getpc5086)&4294967295
	s_addc_u32 s15, s15, (.LBB1_8125-.Lpost_getpc5086)>>32
	s_setpc_b64 s[14:15]
.LBB1_4029:
	s_or_saveexec_b64 s[6:7], s[6:7]
	v_mov_b32_e32 v4, s10
	s_xor_b64 exec, exec, s[6:7]
	s_cbranch_execz .LBB1_4030
; %bb.18367:
	s_getpc_b64 s[14:15]
.Lpost_getpc5087:
	s_add_u32 s14, s14, (.LBB1_8128-.Lpost_getpc5087)&4294967295
	s_addc_u32 s15, s15, (.LBB1_8128-.Lpost_getpc5087)>>32
	s_setpc_b64 s[14:15]
.LBB1_4030:
	s_or_b64 exec, exec, s[6:7]
	s_and_saveexec_b64 s[6:7], s[4:5]
	s_cbranch_execz .LBB1_4032
.LBB1_4031:
	v_bfe_u32 v4, v1, 24, 2
	v_ffbh_u32_e32 v13, v4
	v_min_u32_e32 v13, 32, v13
	v_lshrrev_b32_e32 v8, 26, v1
	v_subrev_u32_e32 v14, 29, v13
	v_and_b32_e32 v5, 0x80000000, v1
	v_and_b32_e32 v8, 31, v8
	v_bfe_u32 v9, v1, 26, 5
	v_lshlrev_b32_sdwa v1, v14, v1 dst_sel:DWORD dst_unused:UNUSED_PAD src0_sel:DWORD src1_sel:BYTE_3
	v_sub_u32_e32 v13, 30, v13
	v_and_b32_e32 v1, 3, v1
	v_cmp_eq_u16_e32 vcc, 0, v8
	v_cndmask_b32_e32 v1, v4, v1, vcc
	v_cndmask_b32_e32 v4, v9, v13, vcc
	v_mov_b32_e32 v8, 0x37800000
	v_lshlrev_b32_e32 v1, 21, v1
	v_lshl_add_u32 v4, v4, 23, v8
	v_or3_b32 v4, v5, v4, v1
.LBB1_4032:
	s_or_b64 exec, exec, s[6:7]
	s_nop 0
	v_mfma_f32_16x16x4f32 a[0:3], v0, v4, a[0:3]
	s_movk_i32 s4, 0x7f
	v_cmp_gt_i16_sdwa s[6:7], v6, s4 src0_sel:BYTE_0 src1_sel:DWORD
	s_mov_b64 s[4:5], 0
                                        ; implicit-def: $sgpr10
	s_and_saveexec_b64 s[8:9], s[6:7]
	s_xor_b64 s[6:7], exec, s[8:9]
	s_cbranch_execz .LBB1_4033
; %bb.18369:
	s_getpc_b64 s[14:15]
.Lpost_getpc5088:
	s_add_u32 s14, s14, (.LBB1_8129-.Lpost_getpc5088)&4294967295
	s_addc_u32 s15, s15, (.LBB1_8129-.Lpost_getpc5088)>>32
	s_setpc_b64 s[14:15]
.LBB1_4033:
	s_or_saveexec_b64 s[6:7], s[6:7]
	v_mov_b32_e32 v1, s10
	s_xor_b64 exec, exec, s[6:7]
	s_cbranch_execz .LBB1_4034
; %bb.18371:
	s_getpc_b64 s[14:15]
.Lpost_getpc5089:
	s_add_u32 s14, s14, (.LBB1_8132-.Lpost_getpc5089)&4294967295
	s_addc_u32 s15, s15, (.LBB1_8132-.Lpost_getpc5089)>>32
	s_setpc_b64 s[14:15]
.LBB1_4034:
	s_or_b64 exec, exec, s[6:7]
	s_and_saveexec_b64 s[6:7], s[4:5]
	s_cbranch_execz .LBB1_4036
.LBB1_4035:
	v_and_b32_e32 v0, 7, v6
	v_ffbh_u32_e32 v4, v0
	v_min_u32_e32 v4, 32, v4
	v_lshrrev_b16_e32 v1, 3, v6
	v_subrev_u32_e32 v5, 28, v4
	v_and_b32_e32 v1, 15, v1
	v_lshlrev_b32_e32 v5, v5, v6
	v_sub_u32_e32 v4, 29, v4
	v_and_b32_e32 v5, 7, v5
	v_cmp_eq_u16_e32 vcc, 0, v1
	v_cndmask_b32_e32 v0, v0, v5, vcc
	v_cndmask_b32_e32 v1, v1, v4, vcc
	v_lshlrev_b32_e32 v4, 24, v6
	v_mov_b32_e32 v5, 0x3b800000
	v_lshlrev_b32_e32 v0, 20, v0
	v_and_b32_e32 v4, 0x80000000, v4
	v_lshl_add_u32 v1, v1, 23, v5
	v_or3_b32 v1, v4, v1, v0
.LBB1_4036:
	s_or_b64 exec, exec, s[6:7]
	s_movk_i32 s4, 0xff
	v_mov_b32_e32 v0, 8
	v_or_b32_sdwa v4, v2, v12 dst_sel:DWORD dst_unused:UNUSED_PAD src0_sel:BYTE_0 src1_sel:DWORD
	v_lshlrev_b16_sdwa v0, v0, v2 dst_sel:DWORD dst_unused:UNUSED_PAD src0_sel:DWORD src1_sel:BYTE_3
	v_and_b32_sdwa v2, v2, s4 dst_sel:DWORD dst_unused:UNUSED_PAD src0_sel:WORD_1 src1_sel:DWORD
	s_movk_i32 s4, 0x7f
	v_or_b32_sdwa v0, v2, v0 dst_sel:WORD_1 dst_unused:UNUSED_PAD src0_sel:DWORD src1_sel:DWORD
	v_cmp_gt_i16_sdwa s[6:7], v4, s4 src0_sel:BYTE_0 src1_sel:DWORD
	s_mov_b64 s[4:5], 0
                                        ; implicit-def: $sgpr10
	s_and_saveexec_b64 s[8:9], s[6:7]
	s_xor_b64 s[6:7], exec, s[8:9]
	s_cbranch_execz .LBB1_4037
; %bb.18373:
	s_getpc_b64 s[14:15]
.Lpost_getpc5090:
	s_add_u32 s14, s14, (.LBB1_8133-.Lpost_getpc5090)&4294967295
	s_addc_u32 s15, s15, (.LBB1_8133-.Lpost_getpc5090)>>32
	s_setpc_b64 s[14:15]
.LBB1_4037:
	s_or_saveexec_b64 s[6:7], s[6:7]
	v_mov_b32_e32 v2, s10
	s_xor_b64 exec, exec, s[6:7]
	s_cbranch_execz .LBB1_4038
; %bb.18375:
	s_getpc_b64 s[14:15]
.Lpost_getpc5091:
	s_add_u32 s14, s14, (.LBB1_8136-.Lpost_getpc5091)&4294967295
	s_addc_u32 s15, s15, (.LBB1_8136-.Lpost_getpc5091)>>32
	s_setpc_b64 s[14:15]
.LBB1_4038:
	s_or_b64 exec, exec, s[6:7]
	v_or_b32_sdwa v0, v4, v0 dst_sel:DWORD dst_unused:UNUSED_PAD src0_sel:WORD_0 src1_sel:DWORD
	s_and_saveexec_b64 s[6:7], s[4:5]
	s_cbranch_execz .LBB1_4040
.LBB1_4039:
	v_and_b32_e32 v2, 3, v0
	v_ffbh_u32_e32 v5, v2
	v_min_u32_e32 v5, 32, v5
	v_lshrrev_b16_e32 v4, 2, v4
	v_subrev_u32_e32 v8, 29, v5
	v_and_b32_e32 v4, 31, v4
	v_lshlrev_b32_e32 v8, v8, v0
	v_sub_u32_e32 v5, 30, v5
	v_and_b32_e32 v8, 3, v8
	v_cmp_eq_u16_e32 vcc, 0, v4
	v_cndmask_b32_e32 v2, v2, v8, vcc
	v_cndmask_b32_e32 v4, v4, v5, vcc
	v_lshlrev_b32_e32 v5, 24, v0
	v_mov_b32_e32 v8, 0x37800000
	v_lshlrev_b32_e32 v2, 21, v2
	v_and_b32_e32 v5, 0x80000000, v5
	v_lshl_add_u32 v4, v4, 23, v8
	v_or3_b32 v2, v5, v4, v2
.LBB1_4040:
	s_or_b64 exec, exec, s[6:7]
	s_nop 0
	v_mfma_f32_16x16x4f32 a[0:3], v1, v2, a[0:3]
	v_lshrrev_b32_e32 v2, 8, v6
	s_movk_i32 s4, 0x7f
	v_cmp_gt_i16_sdwa s[6:7], v2, s4 src0_sel:BYTE_0 src1_sel:DWORD
	s_mov_b64 s[4:5], 0
                                        ; implicit-def: $sgpr10
	s_and_saveexec_b64 s[8:9], s[6:7]
	s_xor_b64 s[6:7], exec, s[8:9]
	s_cbranch_execz .LBB1_4041
; %bb.18377:
	s_getpc_b64 s[14:15]
.Lpost_getpc5092:
	s_add_u32 s14, s14, (.LBB1_8137-.Lpost_getpc5092)&4294967295
	s_addc_u32 s15, s15, (.LBB1_8137-.Lpost_getpc5092)>>32
	s_setpc_b64 s[14:15]
.LBB1_4041:
	s_or_saveexec_b64 s[6:7], s[6:7]
	v_mov_b32_e32 v1, s10
	s_xor_b64 exec, exec, s[6:7]
	s_cbranch_execz .LBB1_4042
; %bb.18379:
	s_getpc_b64 s[14:15]
.Lpost_getpc5093:
	s_add_u32 s14, s14, (.LBB1_8140-.Lpost_getpc5093)&4294967295
	s_addc_u32 s15, s15, (.LBB1_8140-.Lpost_getpc5093)>>32
	s_setpc_b64 s[14:15]
.LBB1_4042:
	s_or_b64 exec, exec, s[6:7]
	s_and_saveexec_b64 s[6:7], s[4:5]
	s_cbranch_execz .LBB1_4044
.LBB1_4043:
	v_bfe_u32 v1, v6, 8, 3
	v_ffbh_u32_e32 v5, v1
	v_min_u32_e32 v5, 32, v5
	v_lshrrev_b16_e32 v4, 3, v2
	v_subrev_u32_e32 v8, 28, v5
	v_and_b32_e32 v4, 15, v4
	v_lshlrev_b32_e32 v2, v8, v2
	v_sub_u32_e32 v5, 29, v5
	v_and_b32_e32 v2, 7, v2
	v_cmp_eq_u16_e32 vcc, 0, v4
	v_cndmask_b32_e32 v1, v1, v2, vcc
	v_cndmask_b32_e32 v2, v4, v5, vcc
	v_lshlrev_b32_e32 v4, 16, v6
	v_mov_b32_e32 v5, 0x3b800000
	v_lshlrev_b32_e32 v1, 20, v1
	v_and_b32_e32 v4, 0x80000000, v4
	v_lshl_add_u32 v2, v2, 23, v5
	v_or3_b32 v1, v4, v2, v1
.LBB1_4044:
	s_or_b64 exec, exec, s[6:7]
	v_lshrrev_b32_e32 v2, 8, v0
	s_movk_i32 s4, 0x7f
	v_cmp_gt_i16_sdwa s[6:7], v2, s4 src0_sel:BYTE_0 src1_sel:DWORD
	s_mov_b64 s[4:5], 0
                                        ; implicit-def: $sgpr10
	s_and_saveexec_b64 s[8:9], s[6:7]
	s_xor_b64 s[6:7], exec, s[8:9]
	s_cbranch_execz .LBB1_4045
; %bb.18381:
	s_getpc_b64 s[14:15]
.Lpost_getpc5094:
	s_add_u32 s14, s14, (.LBB1_8141-.Lpost_getpc5094)&4294967295
	s_addc_u32 s15, s15, (.LBB1_8141-.Lpost_getpc5094)>>32
	s_setpc_b64 s[14:15]
.LBB1_4045:
	s_or_saveexec_b64 s[6:7], s[6:7]
	v_mov_b32_e32 v4, s10
	s_xor_b64 exec, exec, s[6:7]
	s_cbranch_execz .LBB1_4046
; %bb.18383:
	s_getpc_b64 s[14:15]
.Lpost_getpc5095:
	s_add_u32 s14, s14, (.LBB1_8144-.Lpost_getpc5095)&4294967295
	s_addc_u32 s15, s15, (.LBB1_8144-.Lpost_getpc5095)>>32
	s_setpc_b64 s[14:15]
.LBB1_4046:
	s_or_b64 exec, exec, s[6:7]
	s_and_saveexec_b64 s[6:7], s[4:5]
	s_cbranch_execz .LBB1_4048
.LBB1_4047:
	v_bfe_u32 v4, v0, 8, 2
	v_ffbh_u32_e32 v8, v4
	v_min_u32_e32 v8, 32, v8
	v_lshrrev_b16_e32 v5, 2, v2
	v_subrev_u32_e32 v9, 29, v8
	v_and_b32_e32 v5, 31, v5
	v_lshlrev_b32_e32 v2, v9, v2
	v_sub_u32_e32 v8, 30, v8
	v_and_b32_e32 v2, 3, v2
	v_cmp_eq_u16_e32 vcc, 0, v5
	v_cndmask_b32_e32 v2, v4, v2, vcc
	v_cndmask_b32_e32 v4, v5, v8, vcc
	v_lshlrev_b32_e32 v5, 16, v0
	v_mov_b32_e32 v8, 0x37800000
	v_lshlrev_b32_e32 v2, 21, v2
	v_and_b32_e32 v5, 0x80000000, v5
	v_lshl_add_u32 v4, v4, 23, v8
	v_or3_b32 v4, v5, v4, v2
.LBB1_4048:
	s_or_b64 exec, exec, s[6:7]
	s_nop 0
	v_mfma_f32_16x16x4f32 a[0:3], v1, v4, a[0:3]
	s_movk_i32 s4, 0xff
	v_and_b32_sdwa v2, v6, s4 dst_sel:DWORD dst_unused:UNUSED_PAD src0_sel:WORD_1 src1_sel:DWORD
	s_movk_i32 s4, 0x7f
	v_cmp_lt_i16_e32 vcc, s4, v2
	s_mov_b64 s[4:5], 0
                                        ; implicit-def: $sgpr10
	s_and_saveexec_b64 s[6:7], vcc
	s_xor_b64 s[6:7], exec, s[6:7]
	s_cbranch_execz .LBB1_4049
; %bb.18385:
	s_getpc_b64 s[14:15]
.Lpost_getpc5096:
	s_add_u32 s14, s14, (.LBB1_8145-.Lpost_getpc5096)&4294967295
	s_addc_u32 s15, s15, (.LBB1_8145-.Lpost_getpc5096)>>32
	s_setpc_b64 s[14:15]
.LBB1_4049:
	s_or_saveexec_b64 s[6:7], s[6:7]
	v_mov_b32_e32 v1, s10
	s_xor_b64 exec, exec, s[6:7]
	s_cbranch_execz .LBB1_4050
; %bb.18387:
	s_getpc_b64 s[14:15]
.Lpost_getpc5097:
	s_add_u32 s14, s14, (.LBB1_8148-.Lpost_getpc5097)&4294967295
	s_addc_u32 s15, s15, (.LBB1_8148-.Lpost_getpc5097)>>32
	s_setpc_b64 s[14:15]
.LBB1_4050:
	s_or_b64 exec, exec, s[6:7]
	s_and_saveexec_b64 s[6:7], s[4:5]
	s_cbranch_execz .LBB1_4052
.LBB1_4051:
	v_bfe_u32 v1, v6, 16, 3
	v_ffbh_u32_e32 v5, v1
	v_min_u32_e32 v5, 32, v5
	v_lshrrev_b32_e32 v2, 19, v6
	v_subrev_u32_e32 v8, 28, v5
	v_and_b32_e32 v2, 15, v2
	v_lshlrev_b32_sdwa v8, v8, v6 dst_sel:DWORD dst_unused:UNUSED_PAD src0_sel:DWORD src1_sel:WORD_1
	v_bfe_u32 v4, v6, 19, 4
	v_sub_u32_e32 v5, 29, v5
	v_and_b32_e32 v8, 7, v8
	v_cmp_eq_u16_e32 vcc, 0, v2
	v_cndmask_b32_e32 v1, v1, v8, vcc
	v_cndmask_b32_e32 v2, v4, v5, vcc
	v_lshlrev_b32_e32 v4, 8, v6
	v_mov_b32_e32 v5, 0x3b800000
	v_lshlrev_b32_e32 v1, 20, v1
	v_and_b32_e32 v4, 0x80000000, v4
	v_lshl_add_u32 v2, v2, 23, v5
	v_or3_b32 v1, v4, v2, v1
.LBB1_4052:
	s_or_b64 exec, exec, s[6:7]
	s_movk_i32 s4, 0xff
	v_and_b32_sdwa v2, v0, s4 dst_sel:DWORD dst_unused:UNUSED_PAD src0_sel:WORD_1 src1_sel:DWORD
	s_movk_i32 s4, 0x7f
	v_cmp_lt_i16_e32 vcc, s4, v2
	s_mov_b64 s[4:5], 0
                                        ; implicit-def: $sgpr10
	s_and_saveexec_b64 s[6:7], vcc
	s_xor_b64 s[6:7], exec, s[6:7]
	s_cbranch_execz .LBB1_4053
; %bb.18389:
	s_getpc_b64 s[14:15]
.Lpost_getpc5098:
	s_add_u32 s14, s14, (.LBB1_8149-.Lpost_getpc5098)&4294967295
	s_addc_u32 s15, s15, (.LBB1_8149-.Lpost_getpc5098)>>32
	s_setpc_b64 s[14:15]
.LBB1_4053:
	s_or_saveexec_b64 s[6:7], s[6:7]
	v_mov_b32_e32 v4, s10
	s_xor_b64 exec, exec, s[6:7]
	s_cbranch_execz .LBB1_4054
; %bb.18391:
	s_getpc_b64 s[14:15]
.Lpost_getpc5099:
	s_add_u32 s14, s14, (.LBB1_8152-.Lpost_getpc5099)&4294967295
	s_addc_u32 s15, s15, (.LBB1_8152-.Lpost_getpc5099)>>32
	s_setpc_b64 s[14:15]
.LBB1_4054:
	s_or_b64 exec, exec, s[6:7]
	s_and_saveexec_b64 s[6:7], s[4:5]
	s_cbranch_execz .LBB1_4056
.LBB1_4055:
	v_bfe_u32 v2, v0, 16, 2
	v_ffbh_u32_e32 v8, v2
	v_min_u32_e32 v8, 32, v8
	v_lshrrev_b32_e32 v4, 18, v0
	v_subrev_u32_e32 v9, 29, v8
	v_and_b32_e32 v4, 31, v4
	v_lshlrev_b32_sdwa v9, v9, v0 dst_sel:DWORD dst_unused:UNUSED_PAD src0_sel:DWORD src1_sel:WORD_1
	v_bfe_u32 v5, v0, 18, 5
	v_sub_u32_e32 v8, 30, v8
	v_and_b32_e32 v9, 3, v9
	v_cmp_eq_u16_e32 vcc, 0, v4
	v_cndmask_b32_e32 v2, v2, v9, vcc
	v_cndmask_b32_e32 v4, v5, v8, vcc
	v_lshlrev_b32_e32 v5, 8, v0
	v_mov_b32_e32 v8, 0x37800000
	v_lshlrev_b32_e32 v2, 21, v2
	v_and_b32_e32 v5, 0x80000000, v5
	v_lshl_add_u32 v4, v4, 23, v8
	v_or3_b32 v4, v5, v4, v2
.LBB1_4056:
	s_or_b64 exec, exec, s[6:7]
	s_nop 0
	v_mfma_f32_16x16x4f32 a[0:3], v1, v4, a[0:3]
	s_movk_i32 s4, 0x7f
	v_cmp_gt_i16_sdwa s[6:7], v6, s4 src0_sel:BYTE_3 src1_sel:DWORD
	s_mov_b64 s[4:5], 0
                                        ; implicit-def: $sgpr10
	s_and_saveexec_b64 s[8:9], s[6:7]
	s_xor_b64 s[6:7], exec, s[8:9]
	s_cbranch_execz .LBB1_4057
; %bb.18393:
	s_getpc_b64 s[14:15]
.Lpost_getpc5100:
	s_add_u32 s14, s14, (.LBB1_8153-.Lpost_getpc5100)&4294967295
	s_addc_u32 s15, s15, (.LBB1_8153-.Lpost_getpc5100)>>32
	s_setpc_b64 s[14:15]
.LBB1_4057:
	s_or_saveexec_b64 s[6:7], s[6:7]
	v_mov_b32_e32 v1, s10
	s_xor_b64 exec, exec, s[6:7]
	s_cbranch_execz .LBB1_4058
; %bb.18395:
	s_getpc_b64 s[14:15]
.Lpost_getpc5101:
	s_add_u32 s14, s14, (.LBB1_8156-.Lpost_getpc5101)&4294967295
	s_addc_u32 s15, s15, (.LBB1_8156-.Lpost_getpc5101)>>32
	s_setpc_b64 s[14:15]
.LBB1_4058:
	s_or_b64 exec, exec, s[6:7]
	s_and_saveexec_b64 s[6:7], s[4:5]
	s_cbranch_execz .LBB1_4060
.LBB1_4059:
	v_bfe_u32 v1, v6, 24, 3
	v_ffbh_u32_e32 v8, v1
	v_min_u32_e32 v8, 32, v8
	v_lshrrev_b32_e32 v4, 27, v6
	v_subrev_u32_e32 v9, 28, v8
	v_and_b32_e32 v2, 0x80000000, v6
	v_and_b32_e32 v4, 15, v4
	v_bfe_u32 v5, v6, 27, 4
	v_lshlrev_b32_sdwa v6, v9, v6 dst_sel:DWORD dst_unused:UNUSED_PAD src0_sel:DWORD src1_sel:BYTE_3
	v_sub_u32_e32 v8, 29, v8
	v_and_b32_e32 v6, 7, v6
	v_cmp_eq_u16_e32 vcc, 0, v4
	v_cndmask_b32_e32 v1, v1, v6, vcc
	v_cndmask_b32_e32 v4, v5, v8, vcc
	v_mov_b32_e32 v5, 0x3b800000
	v_lshlrev_b32_e32 v1, 20, v1
	v_lshl_add_u32 v4, v4, 23, v5
	v_or3_b32 v1, v2, v4, v1
.LBB1_4060:
	s_or_b64 exec, exec, s[6:7]
	s_movk_i32 s4, 0x7f
	v_cmp_gt_i16_sdwa s[6:7], v0, s4 src0_sel:BYTE_3 src1_sel:DWORD
	s_mov_b64 s[4:5], 0
                                        ; implicit-def: $sgpr10
	s_and_saveexec_b64 s[8:9], s[6:7]
	s_xor_b64 s[6:7], exec, s[8:9]
	s_cbranch_execz .LBB1_4061
; %bb.18397:
	s_getpc_b64 s[14:15]
.Lpost_getpc5102:
	s_add_u32 s14, s14, (.LBB1_8157-.Lpost_getpc5102)&4294967295
	s_addc_u32 s15, s15, (.LBB1_8157-.Lpost_getpc5102)>>32
	s_setpc_b64 s[14:15]
.LBB1_4061:
	s_or_saveexec_b64 s[6:7], s[6:7]
	v_mov_b32_e32 v2, s10
	s_xor_b64 exec, exec, s[6:7]
	s_cbranch_execz .LBB1_4062
; %bb.18399:
	s_getpc_b64 s[14:15]
.Lpost_getpc5103:
	s_add_u32 s14, s14, (.LBB1_8160-.Lpost_getpc5103)&4294967295
	s_addc_u32 s15, s15, (.LBB1_8160-.Lpost_getpc5103)>>32
	s_setpc_b64 s[14:15]
.LBB1_4062:
	s_or_b64 exec, exec, s[6:7]
	s_and_saveexec_b64 s[6:7], s[4:5]
	s_cbranch_execz .LBB1_4064
.LBB1_4063:
	v_bfe_u32 v2, v0, 24, 2
	v_ffbh_u32_e32 v8, v2
	v_min_u32_e32 v8, 32, v8
	v_lshrrev_b32_e32 v5, 26, v0
	v_subrev_u32_e32 v9, 29, v8
	v_and_b32_e32 v4, 0x80000000, v0
	v_and_b32_e32 v5, 31, v5
	v_bfe_u32 v6, v0, 26, 5
	v_lshlrev_b32_sdwa v0, v9, v0 dst_sel:DWORD dst_unused:UNUSED_PAD src0_sel:DWORD src1_sel:BYTE_3
	v_sub_u32_e32 v8, 30, v8
	v_and_b32_e32 v0, 3, v0
	v_cmp_eq_u16_e32 vcc, 0, v5
	v_cndmask_b32_e32 v0, v2, v0, vcc
	v_cndmask_b32_e32 v2, v6, v8, vcc
	v_mov_b32_e32 v5, 0x37800000
	v_lshlrev_b32_e32 v0, 21, v0
	v_lshl_add_u32 v2, v2, 23, v5
	v_or3_b32 v2, v4, v2, v0
.LBB1_4064:
	s_or_b64 exec, exec, s[6:7]
	s_nop 0
	v_mfma_f32_16x16x4f32 a[0:3], v1, v2, a[0:3]
	s_movk_i32 s4, 0x7f
	v_cmp_gt_i16_sdwa s[6:7], v7, s4 src0_sel:BYTE_0 src1_sel:DWORD
	s_mov_b64 s[4:5], 0
                                        ; implicit-def: $sgpr10
	s_and_saveexec_b64 s[8:9], s[6:7]
	s_xor_b64 s[6:7], exec, s[8:9]
	s_cbranch_execz .LBB1_4065
; %bb.18401:
	s_getpc_b64 s[14:15]
.Lpost_getpc5104:
	s_add_u32 s14, s14, (.LBB1_8161-.Lpost_getpc5104)&4294967295
	s_addc_u32 s15, s15, (.LBB1_8161-.Lpost_getpc5104)>>32
	s_setpc_b64 s[14:15]
.LBB1_4065:
	s_or_saveexec_b64 s[6:7], s[6:7]
	v_mov_b32_e32 v0, s10
	s_xor_b64 exec, exec, s[6:7]
	s_cbranch_execz .LBB1_4066
; %bb.18403:
	s_getpc_b64 s[14:15]
.Lpost_getpc5105:
	s_add_u32 s14, s14, (.LBB1_8164-.Lpost_getpc5105)&4294967295
	s_addc_u32 s15, s15, (.LBB1_8164-.Lpost_getpc5105)>>32
	s_setpc_b64 s[14:15]
.LBB1_4066:
	s_or_b64 exec, exec, s[6:7]
	s_and_saveexec_b64 s[6:7], s[4:5]
	s_cbranch_execz .LBB1_4068
.LBB1_4067:
	v_mov_b32_e32 v0, 8
	v_and_b32_e32 v1, 7, v7
	v_lshrrev_b32_sdwa v0, v0, v7 dst_sel:BYTE_1 dst_unused:UNUSED_PAD src0_sel:DWORD src1_sel:DWORD
	v_ffbh_u32_e32 v2, v1
	v_or_b32_sdwa v0, v7, v0 dst_sel:DWORD dst_unused:UNUSED_PAD src0_sel:BYTE_0 src1_sel:DWORD
	v_min_u32_e32 v2, 32, v2
	v_lshrrev_b16_e32 v0, 3, v0
	v_subrev_u32_e32 v4, 28, v2
	v_and_b32_e32 v0, 15, v0
	v_lshlrev_b32_e32 v4, v4, v7
	v_sub_u32_e32 v2, 29, v2
	v_and_b32_e32 v4, 7, v4
	v_cmp_eq_u16_e32 vcc, 0, v0
	v_cndmask_b32_e32 v1, v1, v4, vcc
	v_cndmask_b32_e32 v0, v0, v2, vcc
	v_lshlrev_b32_e32 v2, 24, v7
	v_mov_b32_e32 v4, 0x3b800000
	v_lshlrev_b32_e32 v1, 20, v1
	v_and_b32_e32 v2, 0x80000000, v2
	v_lshl_add_u32 v0, v0, 23, v4
	v_or3_b32 v0, v2, v0, v1
.LBB1_4068:
	s_or_b64 exec, exec, s[6:7]
	s_movk_i32 s4, 0x7f
	v_cmp_gt_i16_sdwa s[6:7], v3, s4 src0_sel:BYTE_0 src1_sel:DWORD
	s_mov_b64 s[4:5], 0
                                        ; implicit-def: $sgpr10
	s_and_saveexec_b64 s[8:9], s[6:7]
	s_xor_b64 s[6:7], exec, s[8:9]
	s_cbranch_execz .LBB1_4069
; %bb.18405:
	s_getpc_b64 s[14:15]
.Lpost_getpc5106:
	s_add_u32 s14, s14, (.LBB1_8165-.Lpost_getpc5106)&4294967295
	s_addc_u32 s15, s15, (.LBB1_8165-.Lpost_getpc5106)>>32
	s_setpc_b64 s[14:15]
.LBB1_4069:
	s_or_saveexec_b64 s[6:7], s[6:7]
	v_mov_b32_e32 v1, s10
	s_xor_b64 exec, exec, s[6:7]
	s_cbranch_execz .LBB1_4070
; %bb.18407:
	s_getpc_b64 s[14:15]
.Lpost_getpc5107:
	s_add_u32 s14, s14, (.LBB1_8168-.Lpost_getpc5107)&4294967295
	s_addc_u32 s15, s15, (.LBB1_8168-.Lpost_getpc5107)>>32
	s_setpc_b64 s[14:15]
.LBB1_4070:
	s_or_b64 exec, exec, s[6:7]
	s_and_saveexec_b64 s[6:7], s[4:5]
	s_cbranch_execz .LBB1_4072
.LBB1_4071:
	v_and_b32_e32 v1, 3, v3
	v_ffbh_u32_e32 v4, v1
	v_min_u32_e32 v4, 32, v4
	v_lshrrev_b16_e32 v2, 2, v3
	v_subrev_u32_e32 v5, 29, v4
	v_and_b32_e32 v2, 31, v2
	v_lshlrev_b32_e32 v5, v5, v3
	v_sub_u32_e32 v4, 30, v4
	v_and_b32_e32 v5, 3, v5
	v_cmp_eq_u16_e32 vcc, 0, v2
	v_cndmask_b32_e32 v1, v1, v5, vcc
	v_cndmask_b32_e32 v2, v2, v4, vcc
	v_lshlrev_b32_e32 v4, 24, v3
	v_mov_b32_e32 v5, 0x37800000
	v_lshlrev_b32_e32 v1, 21, v1
	v_and_b32_e32 v4, 0x80000000, v4
	v_lshl_add_u32 v2, v2, 23, v5
	v_or3_b32 v1, v4, v2, v1
.LBB1_4072:
	s_or_b64 exec, exec, s[6:7]
	s_nop 0
	v_mfma_f32_16x16x4f32 a[0:3], v0, v1, a[0:3]
	v_lshrrev_b32_e32 v1, 8, v7
	s_movk_i32 s4, 0x7f
	v_cmp_gt_i16_sdwa s[6:7], v1, s4 src0_sel:BYTE_0 src1_sel:DWORD
	s_mov_b64 s[4:5], 0
                                        ; implicit-def: $sgpr10
	s_and_saveexec_b64 s[8:9], s[6:7]
	s_xor_b64 s[6:7], exec, s[8:9]
	s_cbranch_execz .LBB1_4073
; %bb.18409:
	s_getpc_b64 s[14:15]
.Lpost_getpc5108:
	s_add_u32 s14, s14, (.LBB1_8169-.Lpost_getpc5108)&4294967295
	s_addc_u32 s15, s15, (.LBB1_8169-.Lpost_getpc5108)>>32
	s_setpc_b64 s[14:15]
.LBB1_4073:
	s_or_saveexec_b64 s[6:7], s[6:7]
	v_mov_b32_e32 v0, s10
	s_xor_b64 exec, exec, s[6:7]
	s_cbranch_execz .LBB1_4074
; %bb.18411:
	s_getpc_b64 s[14:15]
.Lpost_getpc5109:
	s_add_u32 s14, s14, (.LBB1_8172-.Lpost_getpc5109)&4294967295
	s_addc_u32 s15, s15, (.LBB1_8172-.Lpost_getpc5109)>>32
	s_setpc_b64 s[14:15]
.LBB1_4074:
	s_or_b64 exec, exec, s[6:7]
	s_and_saveexec_b64 s[6:7], s[4:5]
	s_cbranch_execz .LBB1_4076
.LBB1_4075:
	v_bfe_u32 v0, v7, 8, 3
	v_ffbh_u32_e32 v4, v0
	v_min_u32_e32 v4, 32, v4
	v_lshrrev_b16_e32 v2, 3, v1
	v_subrev_u32_e32 v5, 28, v4
	v_and_b32_e32 v2, 15, v2
	v_lshlrev_b32_e32 v1, v5, v1
	v_sub_u32_e32 v4, 29, v4
	v_and_b32_e32 v1, 7, v1
	v_cmp_eq_u16_e32 vcc, 0, v2
	v_cndmask_b32_e32 v0, v0, v1, vcc
	v_cndmask_b32_e32 v1, v2, v4, vcc
	v_lshlrev_b32_e32 v2, 16, v7
	v_mov_b32_e32 v4, 0x3b800000
	v_lshlrev_b32_e32 v0, 20, v0
	v_and_b32_e32 v2, 0x80000000, v2
	v_lshl_add_u32 v1, v1, 23, v4
	v_or3_b32 v0, v2, v1, v0
.LBB1_4076:
	s_or_b64 exec, exec, s[6:7]
	v_lshrrev_b32_e32 v1, 8, v3
	s_movk_i32 s4, 0x7f
	v_cmp_gt_i16_sdwa s[6:7], v1, s4 src0_sel:BYTE_0 src1_sel:DWORD
	s_mov_b64 s[4:5], 0
                                        ; implicit-def: $sgpr10
	s_and_saveexec_b64 s[8:9], s[6:7]
	s_xor_b64 s[6:7], exec, s[8:9]
	s_cbranch_execz .LBB1_4077
; %bb.18413:
	s_getpc_b64 s[14:15]
.Lpost_getpc5110:
	s_add_u32 s14, s14, (.LBB1_8173-.Lpost_getpc5110)&4294967295
	s_addc_u32 s15, s15, (.LBB1_8173-.Lpost_getpc5110)>>32
	s_setpc_b64 s[14:15]
.LBB1_4077:
	s_or_saveexec_b64 s[6:7], s[6:7]
	v_mov_b32_e32 v2, s10
	s_xor_b64 exec, exec, s[6:7]
	s_cbranch_execz .LBB1_4078
; %bb.18415:
	s_getpc_b64 s[14:15]
.Lpost_getpc5111:
	s_add_u32 s14, s14, (.LBB1_8176-.Lpost_getpc5111)&4294967295
	s_addc_u32 s15, s15, (.LBB1_8176-.Lpost_getpc5111)>>32
	s_setpc_b64 s[14:15]
.LBB1_4078:
	s_or_b64 exec, exec, s[6:7]
	s_and_saveexec_b64 s[6:7], s[4:5]
	s_cbranch_execz .LBB1_4080
.LBB1_4079:
	v_bfe_u32 v2, v3, 8, 2
	v_ffbh_u32_e32 v5, v2
	v_min_u32_e32 v5, 32, v5
	v_lshrrev_b16_e32 v4, 2, v1
	v_subrev_u32_e32 v6, 29, v5
	v_and_b32_e32 v4, 31, v4
	v_lshlrev_b32_e32 v1, v6, v1
	v_sub_u32_e32 v5, 30, v5
	v_and_b32_e32 v1, 3, v1
	v_cmp_eq_u16_e32 vcc, 0, v4
	v_cndmask_b32_e32 v1, v2, v1, vcc
	v_cndmask_b32_e32 v2, v4, v5, vcc
	v_lshlrev_b32_e32 v4, 16, v3
	v_mov_b32_e32 v5, 0x37800000
	v_lshlrev_b32_e32 v1, 21, v1
	v_and_b32_e32 v4, 0x80000000, v4
	v_lshl_add_u32 v2, v2, 23, v5
	v_or3_b32 v2, v4, v2, v1
.LBB1_4080:
	s_or_b64 exec, exec, s[6:7]
	s_nop 0
	v_mfma_f32_16x16x4f32 a[0:3], v0, v2, a[0:3]
	s_movk_i32 s4, 0xff
	v_and_b32_sdwa v1, v7, s4 dst_sel:DWORD dst_unused:UNUSED_PAD src0_sel:WORD_1 src1_sel:DWORD
	s_movk_i32 s4, 0x7f
	v_cmp_lt_i16_e32 vcc, s4, v1
	s_mov_b64 s[4:5], 0
                                        ; implicit-def: $sgpr10
	s_and_saveexec_b64 s[6:7], vcc
	s_xor_b64 s[6:7], exec, s[6:7]
	s_cbranch_execz .LBB1_4081
; %bb.18417:
	s_getpc_b64 s[14:15]
.Lpost_getpc5112:
	s_add_u32 s14, s14, (.LBB1_8177-.Lpost_getpc5112)&4294967295
	s_addc_u32 s15, s15, (.LBB1_8177-.Lpost_getpc5112)>>32
	s_setpc_b64 s[14:15]
.LBB1_4081:
	s_or_saveexec_b64 s[6:7], s[6:7]
	v_mov_b32_e32 v0, s10
	s_xor_b64 exec, exec, s[6:7]
	s_cbranch_execz .LBB1_4082
; %bb.18419:
	s_getpc_b64 s[14:15]
.Lpost_getpc5113:
	s_add_u32 s14, s14, (.LBB1_8180-.Lpost_getpc5113)&4294967295
	s_addc_u32 s15, s15, (.LBB1_8180-.Lpost_getpc5113)>>32
	s_setpc_b64 s[14:15]
.LBB1_4082:
	s_or_b64 exec, exec, s[6:7]
	s_and_saveexec_b64 s[6:7], s[4:5]
	s_cbranch_execz .LBB1_4084
.LBB1_4083:
	v_bfe_u32 v0, v7, 16, 3
	v_ffbh_u32_e32 v4, v0
	v_min_u32_e32 v4, 32, v4
	v_lshrrev_b32_e32 v1, 19, v7
	v_subrev_u32_e32 v5, 28, v4
	v_and_b32_e32 v1, 15, v1
	v_lshlrev_b32_sdwa v5, v5, v7 dst_sel:DWORD dst_unused:UNUSED_PAD src0_sel:DWORD src1_sel:WORD_1
	v_bfe_u32 v2, v7, 19, 4
	v_sub_u32_e32 v4, 29, v4
	v_and_b32_e32 v5, 7, v5
	v_cmp_eq_u16_e32 vcc, 0, v1
	v_cndmask_b32_e32 v0, v0, v5, vcc
	v_cndmask_b32_e32 v1, v2, v4, vcc
	v_lshlrev_b32_e32 v2, 8, v7
	v_mov_b32_e32 v4, 0x3b800000
	v_lshlrev_b32_e32 v0, 20, v0
	v_and_b32_e32 v2, 0x80000000, v2
	v_lshl_add_u32 v1, v1, 23, v4
	v_or3_b32 v0, v2, v1, v0
.LBB1_4084:
	s_or_b64 exec, exec, s[6:7]
	s_movk_i32 s4, 0xff
	v_and_b32_sdwa v1, v3, s4 dst_sel:DWORD dst_unused:UNUSED_PAD src0_sel:WORD_1 src1_sel:DWORD
	s_movk_i32 s4, 0x7f
	v_cmp_lt_i16_e32 vcc, s4, v1
	s_mov_b64 s[4:5], 0
                                        ; implicit-def: $sgpr10
	s_and_saveexec_b64 s[6:7], vcc
	s_xor_b64 s[6:7], exec, s[6:7]
	s_cbranch_execz .LBB1_4085
; %bb.18421:
	s_getpc_b64 s[14:15]
.Lpost_getpc5114:
	s_add_u32 s14, s14, (.LBB1_8181-.Lpost_getpc5114)&4294967295
	s_addc_u32 s15, s15, (.LBB1_8181-.Lpost_getpc5114)>>32
	s_setpc_b64 s[14:15]
.LBB1_4085:
	s_or_saveexec_b64 s[6:7], s[6:7]
	v_mov_b32_e32 v2, s10
	s_xor_b64 exec, exec, s[6:7]
	s_cbranch_execz .LBB1_4086
; %bb.18423:
	s_getpc_b64 s[14:15]
.Lpost_getpc5115:
	s_add_u32 s14, s14, (.LBB1_8184-.Lpost_getpc5115)&4294967295
	s_addc_u32 s15, s15, (.LBB1_8184-.Lpost_getpc5115)>>32
	s_setpc_b64 s[14:15]
.LBB1_4086:
	s_or_b64 exec, exec, s[6:7]
	s_and_saveexec_b64 s[6:7], s[4:5]
	s_cbranch_execz .LBB1_4088
.LBB1_4087:
	v_bfe_u32 v1, v3, 16, 2
	v_ffbh_u32_e32 v5, v1
	v_min_u32_e32 v5, 32, v5
	v_lshrrev_b32_e32 v2, 18, v3
	v_subrev_u32_e32 v6, 29, v5
	v_and_b32_e32 v2, 31, v2
	v_lshlrev_b32_sdwa v6, v6, v3 dst_sel:DWORD dst_unused:UNUSED_PAD src0_sel:DWORD src1_sel:WORD_1
	v_bfe_u32 v4, v3, 18, 5
	v_sub_u32_e32 v5, 30, v5
	v_and_b32_e32 v6, 3, v6
	v_cmp_eq_u16_e32 vcc, 0, v2
	v_cndmask_b32_e32 v1, v1, v6, vcc
	v_cndmask_b32_e32 v2, v4, v5, vcc
	v_lshlrev_b32_e32 v4, 8, v3
	v_mov_b32_e32 v5, 0x37800000
	v_lshlrev_b32_e32 v1, 21, v1
	v_and_b32_e32 v4, 0x80000000, v4
	v_lshl_add_u32 v2, v2, 23, v5
	v_or3_b32 v2, v4, v2, v1
.LBB1_4088:
	s_or_b64 exec, exec, s[6:7]
	s_nop 0
	v_mfma_f32_16x16x4f32 a[0:3], v0, v2, a[0:3]
	s_movk_i32 s4, 0x7f
	v_cmp_gt_i16_sdwa s[6:7], v7, s4 src0_sel:BYTE_3 src1_sel:DWORD
	s_mov_b64 s[4:5], 0
                                        ; implicit-def: $sgpr10
	s_and_saveexec_b64 s[8:9], s[6:7]
	s_xor_b64 s[6:7], exec, s[8:9]
	s_cbranch_execz .LBB1_4089
; %bb.18425:
	s_getpc_b64 s[14:15]
.Lpost_getpc5116:
	s_add_u32 s14, s14, (.LBB1_8185-.Lpost_getpc5116)&4294967295
	s_addc_u32 s15, s15, (.LBB1_8185-.Lpost_getpc5116)>>32
	s_setpc_b64 s[14:15]
.LBB1_4089:
	s_or_saveexec_b64 s[6:7], s[6:7]
	v_mov_b32_e32 v0, s10
	s_xor_b64 exec, exec, s[6:7]
	s_cbranch_execz .LBB1_4090
; %bb.18427:
	s_getpc_b64 s[14:15]
.Lpost_getpc5117:
	s_add_u32 s14, s14, (.LBB1_8188-.Lpost_getpc5117)&4294967295
	s_addc_u32 s15, s15, (.LBB1_8188-.Lpost_getpc5117)>>32
	s_setpc_b64 s[14:15]
.LBB1_4090:
	s_or_b64 exec, exec, s[6:7]
	s_and_saveexec_b64 s[6:7], s[4:5]
	s_cbranch_execz .LBB1_4092
.LBB1_4091:
	v_bfe_u32 v0, v7, 24, 3
	v_ffbh_u32_e32 v5, v0
	v_min_u32_e32 v5, 32, v5
	v_lshrrev_b32_e32 v2, 27, v7
	v_subrev_u32_e32 v6, 28, v5
	v_and_b32_e32 v2, 15, v2
	v_lshlrev_b32_sdwa v6, v6, v7 dst_sel:DWORD dst_unused:UNUSED_PAD src0_sel:DWORD src1_sel:BYTE_3
	v_bfe_u32 v4, v7, 27, 4
	v_sub_u32_e32 v5, 29, v5
	v_and_b32_e32 v6, 7, v6
	v_cmp_eq_u16_e32 vcc, 0, v2
	v_cndmask_b32_e32 v0, v0, v6, vcc
	v_cndmask_b32_e32 v2, v4, v5, vcc
	v_mov_b32_e32 v4, 0x3b800000
	v_and_b32_e32 v1, 0x80000000, v7
	v_lshlrev_b32_e32 v0, 20, v0
	v_lshl_add_u32 v2, v2, 23, v4
	v_or3_b32 v0, v1, v2, v0
.LBB1_4092:
	s_or_b64 exec, exec, s[6:7]
	s_movk_i32 s4, 0x7f
	v_cmp_gt_i16_sdwa s[6:7], v3, s4 src0_sel:BYTE_3 src1_sel:DWORD
	s_mov_b64 s[4:5], 0
                                        ; implicit-def: $sgpr10
	s_and_saveexec_b64 s[8:9], s[6:7]
	s_xor_b64 s[6:7], exec, s[8:9]
	s_cbranch_execz .LBB1_4093
; %bb.18429:
	s_getpc_b64 s[14:15]
.Lpost_getpc5118:
	s_add_u32 s14, s14, (.LBB1_8189-.Lpost_getpc5118)&4294967295
	s_addc_u32 s15, s15, (.LBB1_8189-.Lpost_getpc5118)>>32
	s_setpc_b64 s[14:15]
.LBB1_4093:
	s_or_saveexec_b64 s[6:7], s[6:7]
	v_mov_b32_e32 v1, s10
	s_xor_b64 exec, exec, s[6:7]
	s_cbranch_execz .LBB1_4094
; %bb.18431:
	s_getpc_b64 s[14:15]
.Lpost_getpc5119:
	s_add_u32 s14, s14, (.LBB1_8192-.Lpost_getpc5119)&4294967295
	s_addc_u32 s15, s15, (.LBB1_8192-.Lpost_getpc5119)>>32
	s_setpc_b64 s[14:15]
.LBB1_4094:
	s_or_b64 exec, exec, s[6:7]
	s_and_saveexec_b64 s[6:7], s[4:5]
	s_cbranch_execz .LBB1_4096
.LBB1_4095:
	v_bfe_u32 v1, v3, 24, 2
	v_ffbh_u32_e32 v6, v1
	v_min_u32_e32 v6, 32, v6
	v_lshrrev_b32_e32 v4, 26, v3
	v_subrev_u32_e32 v7, 29, v6
	v_and_b32_e32 v2, 0x80000000, v3
	v_and_b32_e32 v4, 31, v4
	v_bfe_u32 v5, v3, 26, 5
	v_lshlrev_b32_sdwa v3, v7, v3 dst_sel:DWORD dst_unused:UNUSED_PAD src0_sel:DWORD src1_sel:BYTE_3
	v_sub_u32_e32 v6, 30, v6
	v_and_b32_e32 v3, 3, v3
	v_cmp_eq_u16_e32 vcc, 0, v4
	v_cndmask_b32_e32 v1, v1, v3, vcc
	v_cndmask_b32_e32 v3, v5, v6, vcc
	v_mov_b32_e32 v4, 0x37800000
	v_lshlrev_b32_e32 v1, 21, v1
	v_lshl_add_u32 v3, v3, 23, v4
	v_or3_b32 v1, v2, v3, v1
.LBB1_4096:
	s_or_b64 exec, exec, s[6:7]
	s_nop 0
	v_mfma_f32_16x16x4f32 a[0:3], v0, v1, a[0:3]
	s_nop 7
	s_nop 2
	flat_store_dwordx4 v[10:11], a[0:3] offset:496
	s_waitcnt vmcnt(0) lgkmcnt(0)
	s_setpc_b64 s[30:31]
.LBB1_4097:
	s_movk_i32 s4, 0x80
	v_cmp_eq_u16_sdwa s[12:13], v16, s4 src0_sel:BYTE_0 src1_sel:DWORD
	s_mov_b64 s[4:5], -1
                                        ; implicit-def: $sgpr10
	s_and_saveexec_b64 s[8:9], s[12:13]
; %bb.4098:
	s_mov_b32 s10, 0x7f800001
	s_xor_b64 s[4:5], exec, -1
; %bb.4099:
	s_or_b64 exec, exec, s[8:9]
	s_and_b64 s[4:5], s[4:5], exec
	s_or_saveexec_b64 s[6:7], s[6:7]
	v_mov_b32_e32 v21, s10
	s_xor_b64 exec, exec, s[6:7]
	s_cbranch_execnz .LBB1_4100
; %bb.12283:
	s_getpc_b64 s[14:15]
.Lpost_getpc2045:
	s_add_u32 s14, s14, (.LBB1_2-.Lpost_getpc2045)&4294967295
	s_addc_u32 s15, s15, (.LBB1_2-.Lpost_getpc2045)>>32
	s_setpc_b64 s[14:15]
.LBB1_4100:
	v_mov_b32_e32 v21, 0
	v_cmp_ne_u16_sdwa s[8:9], v16, v21 src0_sel:BYTE_0 src1_sel:DWORD
	s_andn2_b64 s[4:5], s[4:5], exec
	s_and_b64 s[8:9], s[8:9], exec
	s_or_b64 s[4:5], s[4:5], s[8:9]
	s_or_b64 exec, exec, s[6:7]
	s_and_saveexec_b64 s[6:7], s[4:5]
	s_cbranch_execz .LBB1_8193
; %bb.12285:
	s_getpc_b64 s[14:15]
.Lpost_getpc2046:
	s_add_u32 s14, s14, (.LBB1_3-.Lpost_getpc2046)&4294967295
	s_addc_u32 s15, s15, (.LBB1_3-.Lpost_getpc2046)>>32
	s_setpc_b64 s[14:15]
.LBB1_8193:
	s_getpc_b64 s[14:15]
.Lpost_getpc0:
	s_add_u32 s14, s14, (.LBB1_4-.Lpost_getpc0)&4294967295
	s_addc_u32 s15, s15, (.LBB1_4-.Lpost_getpc0)>>32
	s_setpc_b64 s[14:15]
.LBB1_4101:
	s_movk_i32 s4, 0x80
	v_cmp_eq_u16_sdwa s[12:13], v12, s4 src0_sel:BYTE_0 src1_sel:DWORD
	s_mov_b64 s[4:5], -1
                                        ; implicit-def: $sgpr10
	s_and_saveexec_b64 s[8:9], s[12:13]
; %bb.4102:
	s_mov_b32 s10, 0x7f800001
	s_xor_b64 s[4:5], exec, -1
; %bb.4103:
	s_or_b64 exec, exec, s[8:9]
	s_and_b64 s[4:5], s[4:5], exec
	s_or_saveexec_b64 s[6:7], s[6:7]
	v_mov_b32_e32 v22, s10
	s_xor_b64 exec, exec, s[6:7]
	s_cbranch_execnz .LBB1_4104
; %bb.12287:
	s_getpc_b64 s[14:15]
.Lpost_getpc2047:
	s_add_u32 s14, s14, (.LBB1_6-.Lpost_getpc2047)&4294967295
	s_addc_u32 s15, s15, (.LBB1_6-.Lpost_getpc2047)>>32
	s_setpc_b64 s[14:15]
.LBB1_4104:
	v_mov_b32_e32 v22, 0
	v_cmp_ne_u16_sdwa s[8:9], v12, v22 src0_sel:BYTE_0 src1_sel:DWORD
	s_andn2_b64 s[4:5], s[4:5], exec
	s_and_b64 s[8:9], s[8:9], exec
	s_or_b64 s[4:5], s[4:5], s[8:9]
	s_or_b64 exec, exec, s[6:7]
	s_and_saveexec_b64 s[6:7], s[4:5]
	s_cbranch_execz .LBB1_8195
; %bb.12289:
	s_getpc_b64 s[14:15]
.Lpost_getpc2048:
	s_add_u32 s14, s14, (.LBB1_7-.Lpost_getpc2048)&4294967295
	s_addc_u32 s15, s15, (.LBB1_7-.Lpost_getpc2048)>>32
	s_setpc_b64 s[14:15]
.LBB1_8195:
	s_getpc_b64 s[14:15]
.Lpost_getpc1:
	s_add_u32 s14, s14, (.LBB1_8-.Lpost_getpc1)&4294967295
	s_addc_u32 s15, s15, (.LBB1_8-.Lpost_getpc1)>>32
	s_setpc_b64 s[14:15]
.LBB1_4105:
	s_movk_i32 s4, 0x80
	v_cmp_eq_u16_sdwa s[12:13], v22, s4 src0_sel:BYTE_0 src1_sel:DWORD
	s_mov_b64 s[4:5], -1
                                        ; implicit-def: $sgpr10
	s_and_saveexec_b64 s[8:9], s[12:13]
; %bb.4106:
	s_mov_b32 s10, 0x7f800001
	s_xor_b64 s[4:5], exec, -1
; %bb.4107:
	s_or_b64 exec, exec, s[8:9]
	s_and_b64 s[4:5], s[4:5], exec
	s_or_saveexec_b64 s[6:7], s[6:7]
	v_mov_b32_e32 v21, s10
	s_xor_b64 exec, exec, s[6:7]
	s_cbranch_execnz .LBB1_4108
; %bb.12291:
	s_getpc_b64 s[14:15]
.Lpost_getpc2049:
	s_add_u32 s14, s14, (.LBB1_10-.Lpost_getpc2049)&4294967295
	s_addc_u32 s15, s15, (.LBB1_10-.Lpost_getpc2049)>>32
	s_setpc_b64 s[14:15]
.LBB1_4108:
	v_mov_b32_e32 v21, 0
	v_cmp_ne_u16_sdwa s[8:9], v22, v21 src0_sel:BYTE_0 src1_sel:DWORD
	s_andn2_b64 s[4:5], s[4:5], exec
	s_and_b64 s[8:9], s[8:9], exec
	s_or_b64 s[4:5], s[4:5], s[8:9]
	s_or_b64 exec, exec, s[6:7]
	s_and_saveexec_b64 s[6:7], s[4:5]
	s_cbranch_execz .LBB1_8197
; %bb.12293:
	s_getpc_b64 s[14:15]
.Lpost_getpc2050:
	s_add_u32 s14, s14, (.LBB1_11-.Lpost_getpc2050)&4294967295
	s_addc_u32 s15, s15, (.LBB1_11-.Lpost_getpc2050)>>32
	s_setpc_b64 s[14:15]
.LBB1_8197:
	s_getpc_b64 s[14:15]
.Lpost_getpc2:
	s_add_u32 s14, s14, (.LBB1_12-.Lpost_getpc2)&4294967295
	s_addc_u32 s15, s15, (.LBB1_12-.Lpost_getpc2)>>32
	s_setpc_b64 s[14:15]
.LBB1_4109:
	s_movk_i32 s4, 0x80
	v_cmp_eq_u16_sdwa s[12:13], v22, s4 src0_sel:BYTE_0 src1_sel:DWORD
	s_mov_b64 s[4:5], -1
                                        ; implicit-def: $sgpr10
	s_and_saveexec_b64 s[8:9], s[12:13]
; %bb.4110:
	s_mov_b32 s10, 0x7f800001
	s_xor_b64 s[4:5], exec, -1
; %bb.4111:
	s_or_b64 exec, exec, s[8:9]
	s_and_b64 s[4:5], s[4:5], exec
	s_or_saveexec_b64 s[6:7], s[6:7]
	v_mov_b32_e32 v23, s10
	s_xor_b64 exec, exec, s[6:7]
	s_cbranch_execnz .LBB1_4112
; %bb.12295:
	s_getpc_b64 s[14:15]
.Lpost_getpc2051:
	s_add_u32 s14, s14, (.LBB1_14-.Lpost_getpc2051)&4294967295
	s_addc_u32 s15, s15, (.LBB1_14-.Lpost_getpc2051)>>32
	s_setpc_b64 s[14:15]
.LBB1_4112:
	v_mov_b32_e32 v23, 0
	v_cmp_ne_u16_sdwa s[8:9], v22, v23 src0_sel:BYTE_0 src1_sel:DWORD
	s_andn2_b64 s[4:5], s[4:5], exec
	s_and_b64 s[8:9], s[8:9], exec
	s_or_b64 s[4:5], s[4:5], s[8:9]
	s_or_b64 exec, exec, s[6:7]
	s_and_saveexec_b64 s[6:7], s[4:5]
	s_cbranch_execz .LBB1_8199
; %bb.12297:
	s_getpc_b64 s[14:15]
.Lpost_getpc2052:
	s_add_u32 s14, s14, (.LBB1_15-.Lpost_getpc2052)&4294967295
	s_addc_u32 s15, s15, (.LBB1_15-.Lpost_getpc2052)>>32
	s_setpc_b64 s[14:15]
.LBB1_8199:
	s_getpc_b64 s[14:15]
.Lpost_getpc3:
	s_add_u32 s14, s14, (.LBB1_16-.Lpost_getpc3)&4294967295
	s_addc_u32 s15, s15, (.LBB1_16-.Lpost_getpc3)>>32
	s_setpc_b64 s[14:15]
.LBB1_4113:
	s_movk_i32 s4, 0x80
	v_cmp_eq_u16_e32 vcc, s4, v22
	s_mov_b64 s[4:5], -1
                                        ; implicit-def: $sgpr10
	s_and_saveexec_b64 s[8:9], vcc
; %bb.4114:
	s_mov_b32 s10, 0x7f800001
	s_xor_b64 s[4:5], exec, -1
; %bb.4115:
	s_or_b64 exec, exec, s[8:9]
	s_and_b64 s[4:5], s[4:5], exec
                                        ; implicit-def: $vgpr22
	s_or_saveexec_b64 s[6:7], s[6:7]
	v_mov_b32_e32 v21, s10
	s_xor_b64 exec, exec, s[6:7]
	s_cbranch_execnz .LBB1_4116
; %bb.12299:
	s_getpc_b64 s[14:15]
.Lpost_getpc2053:
	s_add_u32 s14, s14, (.LBB1_18-.Lpost_getpc2053)&4294967295
	s_addc_u32 s15, s15, (.LBB1_18-.Lpost_getpc2053)>>32
	s_setpc_b64 s[14:15]
.LBB1_4116:
	v_cmp_ne_u16_e32 vcc, 0, v22
	s_andn2_b64 s[4:5], s[4:5], exec
	s_and_b64 s[8:9], vcc, exec
	v_mov_b32_e32 v21, 0
	s_or_b64 s[4:5], s[4:5], s[8:9]
	s_or_b64 exec, exec, s[6:7]
	s_and_saveexec_b64 s[6:7], s[4:5]
	s_cbranch_execz .LBB1_8201
; %bb.12301:
	s_getpc_b64 s[14:15]
.Lpost_getpc2054:
	s_add_u32 s14, s14, (.LBB1_19-.Lpost_getpc2054)&4294967295
	s_addc_u32 s15, s15, (.LBB1_19-.Lpost_getpc2054)>>32
	s_setpc_b64 s[14:15]
.LBB1_8201:
	s_getpc_b64 s[14:15]
.Lpost_getpc4:
	s_add_u32 s14, s14, (.LBB1_20-.Lpost_getpc4)&4294967295
	s_addc_u32 s15, s15, (.LBB1_20-.Lpost_getpc4)>>32
	s_setpc_b64 s[14:15]
.LBB1_4117:
	s_movk_i32 s4, 0x80
	v_cmp_eq_u16_e32 vcc, s4, v22
	s_mov_b64 s[4:5], -1
                                        ; implicit-def: $sgpr10
	s_and_saveexec_b64 s[8:9], vcc
; %bb.4118:
	s_mov_b32 s10, 0x7f800001
	s_xor_b64 s[4:5], exec, -1
; %bb.4119:
	s_or_b64 exec, exec, s[8:9]
	s_and_b64 s[4:5], s[4:5], exec
                                        ; implicit-def: $vgpr22
	s_or_saveexec_b64 s[6:7], s[6:7]
	v_mov_b32_e32 v23, s10
	s_xor_b64 exec, exec, s[6:7]
	s_cbranch_execnz .LBB1_4120
; %bb.12303:
	s_getpc_b64 s[14:15]
.Lpost_getpc2055:
	s_add_u32 s14, s14, (.LBB1_22-.Lpost_getpc2055)&4294967295
	s_addc_u32 s15, s15, (.LBB1_22-.Lpost_getpc2055)>>32
	s_setpc_b64 s[14:15]
.LBB1_4120:
	v_cmp_ne_u16_e32 vcc, 0, v22
	s_andn2_b64 s[4:5], s[4:5], exec
	s_and_b64 s[8:9], vcc, exec
	v_mov_b32_e32 v23, 0
	s_or_b64 s[4:5], s[4:5], s[8:9]
	s_or_b64 exec, exec, s[6:7]
	s_and_saveexec_b64 s[6:7], s[4:5]
	s_cbranch_execz .LBB1_8203
; %bb.12305:
	s_getpc_b64 s[14:15]
.Lpost_getpc2056:
	s_add_u32 s14, s14, (.LBB1_23-.Lpost_getpc2056)&4294967295
	s_addc_u32 s15, s15, (.LBB1_23-.Lpost_getpc2056)>>32
	s_setpc_b64 s[14:15]
.LBB1_8203:
	s_getpc_b64 s[14:15]
.Lpost_getpc5:
	s_add_u32 s14, s14, (.LBB1_24-.Lpost_getpc5)&4294967295
	s_addc_u32 s15, s15, (.LBB1_24-.Lpost_getpc5)>>32
	s_setpc_b64 s[14:15]
.LBB1_4121:
	s_movk_i32 s4, 0x80
	v_cmp_eq_u16_sdwa s[12:13], v16, s4 src0_sel:BYTE_3 src1_sel:DWORD
	s_mov_b64 s[4:5], -1
                                        ; implicit-def: $sgpr10
	s_and_saveexec_b64 s[8:9], s[12:13]
; %bb.4122:
	s_mov_b32 s10, 0x7f800001
	s_xor_b64 s[4:5], exec, -1
; %bb.4123:
	s_or_b64 exec, exec, s[8:9]
	s_and_b64 s[4:5], s[4:5], exec
	s_or_saveexec_b64 s[6:7], s[6:7]
	v_mov_b32_e32 v21, s10
	s_xor_b64 exec, exec, s[6:7]
	s_cbranch_execnz .LBB1_4124
; %bb.12307:
	s_getpc_b64 s[14:15]
.Lpost_getpc2057:
	s_add_u32 s14, s14, (.LBB1_26-.Lpost_getpc2057)&4294967295
	s_addc_u32 s15, s15, (.LBB1_26-.Lpost_getpc2057)>>32
	s_setpc_b64 s[14:15]
.LBB1_4124:
	v_mov_b32_e32 v21, 0
	v_cmp_ne_u16_sdwa s[8:9], v16, v21 src0_sel:BYTE_3 src1_sel:DWORD
	s_andn2_b64 s[4:5], s[4:5], exec
	s_and_b64 s[8:9], s[8:9], exec
	s_or_b64 s[4:5], s[4:5], s[8:9]
	s_or_b64 exec, exec, s[6:7]
	s_and_saveexec_b64 s[6:7], s[4:5]
	s_cbranch_execz .LBB1_8205
; %bb.12309:
	s_getpc_b64 s[14:15]
.Lpost_getpc2058:
	s_add_u32 s14, s14, (.LBB1_27-.Lpost_getpc2058)&4294967295
	s_addc_u32 s15, s15, (.LBB1_27-.Lpost_getpc2058)>>32
	s_setpc_b64 s[14:15]
.LBB1_8205:
	s_getpc_b64 s[14:15]
.Lpost_getpc6:
	s_add_u32 s14, s14, (.LBB1_28-.Lpost_getpc6)&4294967295
	s_addc_u32 s15, s15, (.LBB1_28-.Lpost_getpc6)>>32
	s_setpc_b64 s[14:15]
.LBB1_4125:
	s_movk_i32 s4, 0x80
	v_cmp_eq_u16_sdwa s[12:13], v12, s4 src0_sel:BYTE_3 src1_sel:DWORD
	s_mov_b64 s[4:5], -1
                                        ; implicit-def: $sgpr10
	s_and_saveexec_b64 s[8:9], s[12:13]
; %bb.4126:
	s_mov_b32 s10, 0x7f800001
	s_xor_b64 s[4:5], exec, -1
; %bb.4127:
	s_or_b64 exec, exec, s[8:9]
	s_and_b64 s[4:5], s[4:5], exec
	s_or_saveexec_b64 s[6:7], s[6:7]
	v_mov_b32_e32 v16, s10
	s_xor_b64 exec, exec, s[6:7]
	s_cbranch_execnz .LBB1_4128
; %bb.12311:
	s_getpc_b64 s[14:15]
.Lpost_getpc2059:
	s_add_u32 s14, s14, (.LBB1_30-.Lpost_getpc2059)&4294967295
	s_addc_u32 s15, s15, (.LBB1_30-.Lpost_getpc2059)>>32
	s_setpc_b64 s[14:15]
.LBB1_4128:
	v_mov_b32_e32 v16, 0
	v_cmp_ne_u16_sdwa s[8:9], v12, v16 src0_sel:BYTE_3 src1_sel:DWORD
	s_andn2_b64 s[4:5], s[4:5], exec
	s_and_b64 s[8:9], s[8:9], exec
	s_or_b64 s[4:5], s[4:5], s[8:9]
	s_or_b64 exec, exec, s[6:7]
	s_and_saveexec_b64 s[6:7], s[4:5]
	s_cbranch_execz .LBB1_8207
; %bb.12313:
	s_getpc_b64 s[14:15]
.Lpost_getpc2060:
	s_add_u32 s14, s14, (.LBB1_31-.Lpost_getpc2060)&4294967295
	s_addc_u32 s15, s15, (.LBB1_31-.Lpost_getpc2060)>>32
	s_setpc_b64 s[14:15]
.LBB1_8207:
	s_getpc_b64 s[14:15]
.Lpost_getpc7:
	s_add_u32 s14, s14, (.LBB1_32-.Lpost_getpc7)&4294967295
	s_addc_u32 s15, s15, (.LBB1_32-.Lpost_getpc7)>>32
	s_setpc_b64 s[14:15]
.LBB1_4129:
	s_movk_i32 s4, 0x80
	v_cmp_eq_u16_sdwa s[12:13], v17, s4 src0_sel:BYTE_0 src1_sel:DWORD
	s_mov_b64 s[4:5], -1
                                        ; implicit-def: $sgpr10
	s_and_saveexec_b64 s[8:9], s[12:13]
; %bb.4130:
	s_mov_b32 s10, 0x7f800001
	s_xor_b64 s[4:5], exec, -1
; %bb.4131:
	s_or_b64 exec, exec, s[8:9]
	s_and_b64 s[4:5], s[4:5], exec
	s_or_saveexec_b64 s[6:7], s[6:7]
	v_mov_b32_e32 v12, s10
	s_xor_b64 exec, exec, s[6:7]
	s_cbranch_execnz .LBB1_4132
; %bb.12315:
	s_getpc_b64 s[14:15]
.Lpost_getpc2061:
	s_add_u32 s14, s14, (.LBB1_34-.Lpost_getpc2061)&4294967295
	s_addc_u32 s15, s15, (.LBB1_34-.Lpost_getpc2061)>>32
	s_setpc_b64 s[14:15]
.LBB1_4132:
	v_mov_b32_e32 v12, 0
	v_cmp_ne_u16_sdwa s[8:9], v17, v12 src0_sel:BYTE_0 src1_sel:DWORD
	s_andn2_b64 s[4:5], s[4:5], exec
	s_and_b64 s[8:9], s[8:9], exec
	s_or_b64 s[4:5], s[4:5], s[8:9]
	s_or_b64 exec, exec, s[6:7]
	s_and_saveexec_b64 s[6:7], s[4:5]
	s_cbranch_execz .LBB1_8209
; %bb.12317:
	s_getpc_b64 s[14:15]
.Lpost_getpc2062:
	s_add_u32 s14, s14, (.LBB1_35-.Lpost_getpc2062)&4294967295
	s_addc_u32 s15, s15, (.LBB1_35-.Lpost_getpc2062)>>32
	s_setpc_b64 s[14:15]
.LBB1_8209:
	s_getpc_b64 s[14:15]
.Lpost_getpc8:
	s_add_u32 s14, s14, (.LBB1_36-.Lpost_getpc8)&4294967295
	s_addc_u32 s15, s15, (.LBB1_36-.Lpost_getpc8)>>32
	s_setpc_b64 s[14:15]
.LBB1_4133:
	s_movk_i32 s4, 0x80
	v_cmp_eq_u16_sdwa s[12:13], v13, s4 src0_sel:BYTE_0 src1_sel:DWORD
	s_mov_b64 s[4:5], -1
                                        ; implicit-def: $sgpr10
	s_and_saveexec_b64 s[8:9], s[12:13]
; %bb.4134:
	s_mov_b32 s10, 0x7f800001
	s_xor_b64 s[4:5], exec, -1
; %bb.4135:
	s_or_b64 exec, exec, s[8:9]
	s_and_b64 s[4:5], s[4:5], exec
	s_or_saveexec_b64 s[6:7], s[6:7]
	v_mov_b32_e32 v16, s10
	s_xor_b64 exec, exec, s[6:7]
	s_cbranch_execnz .LBB1_4136
; %bb.12319:
	s_getpc_b64 s[14:15]
.Lpost_getpc2063:
	s_add_u32 s14, s14, (.LBB1_38-.Lpost_getpc2063)&4294967295
	s_addc_u32 s15, s15, (.LBB1_38-.Lpost_getpc2063)>>32
	s_setpc_b64 s[14:15]
.LBB1_4136:
	v_mov_b32_e32 v16, 0
	v_cmp_ne_u16_sdwa s[8:9], v13, v16 src0_sel:BYTE_0 src1_sel:DWORD
	s_andn2_b64 s[4:5], s[4:5], exec
	s_and_b64 s[8:9], s[8:9], exec
	s_or_b64 s[4:5], s[4:5], s[8:9]
	s_or_b64 exec, exec, s[6:7]
	s_and_saveexec_b64 s[6:7], s[4:5]
	s_cbranch_execz .LBB1_8211
; %bb.12321:
	s_getpc_b64 s[14:15]
.Lpost_getpc2064:
	s_add_u32 s14, s14, (.LBB1_39-.Lpost_getpc2064)&4294967295
	s_addc_u32 s15, s15, (.LBB1_39-.Lpost_getpc2064)>>32
	s_setpc_b64 s[14:15]
.LBB1_8211:
	s_getpc_b64 s[14:15]
.Lpost_getpc9:
	s_add_u32 s14, s14, (.LBB1_40-.Lpost_getpc9)&4294967295
	s_addc_u32 s15, s15, (.LBB1_40-.Lpost_getpc9)>>32
	s_setpc_b64 s[14:15]
.LBB1_4137:
	s_movk_i32 s4, 0x80
	v_cmp_eq_u16_sdwa s[12:13], v16, s4 src0_sel:BYTE_0 src1_sel:DWORD
	s_mov_b64 s[4:5], -1
                                        ; implicit-def: $sgpr10
	s_and_saveexec_b64 s[8:9], s[12:13]
; %bb.4138:
	s_mov_b32 s10, 0x7f800001
	s_xor_b64 s[4:5], exec, -1
; %bb.4139:
	s_or_b64 exec, exec, s[8:9]
	s_and_b64 s[4:5], s[4:5], exec
	s_or_saveexec_b64 s[6:7], s[6:7]
	v_mov_b32_e32 v12, s10
	s_xor_b64 exec, exec, s[6:7]
	s_cbranch_execnz .LBB1_4140
; %bb.12323:
	s_getpc_b64 s[14:15]
.Lpost_getpc2065:
	s_add_u32 s14, s14, (.LBB1_42-.Lpost_getpc2065)&4294967295
	s_addc_u32 s15, s15, (.LBB1_42-.Lpost_getpc2065)>>32
	s_setpc_b64 s[14:15]
.LBB1_4140:
	v_mov_b32_e32 v12, 0
	v_cmp_ne_u16_sdwa s[8:9], v16, v12 src0_sel:BYTE_0 src1_sel:DWORD
	s_andn2_b64 s[4:5], s[4:5], exec
	s_and_b64 s[8:9], s[8:9], exec
	s_or_b64 s[4:5], s[4:5], s[8:9]
	s_or_b64 exec, exec, s[6:7]
	s_and_saveexec_b64 s[6:7], s[4:5]
	s_cbranch_execz .LBB1_8213
; %bb.12325:
	s_getpc_b64 s[14:15]
.Lpost_getpc2066:
	s_add_u32 s14, s14, (.LBB1_43-.Lpost_getpc2066)&4294967295
	s_addc_u32 s15, s15, (.LBB1_43-.Lpost_getpc2066)>>32
	s_setpc_b64 s[14:15]
.LBB1_8213:
	s_getpc_b64 s[14:15]
.Lpost_getpc10:
	s_add_u32 s14, s14, (.LBB1_44-.Lpost_getpc10)&4294967295
	s_addc_u32 s15, s15, (.LBB1_44-.Lpost_getpc10)>>32
	s_setpc_b64 s[14:15]
.LBB1_4141:
	s_movk_i32 s4, 0x80
	v_cmp_eq_u16_sdwa s[12:13], v16, s4 src0_sel:BYTE_0 src1_sel:DWORD
	s_mov_b64 s[4:5], -1
                                        ; implicit-def: $sgpr10
	s_and_saveexec_b64 s[8:9], s[12:13]
; %bb.4142:
	s_mov_b32 s10, 0x7f800001
	s_xor_b64 s[4:5], exec, -1
; %bb.4143:
	s_or_b64 exec, exec, s[8:9]
	s_and_b64 s[4:5], s[4:5], exec
	s_or_saveexec_b64 s[6:7], s[6:7]
	v_mov_b32_e32 v21, s10
	s_xor_b64 exec, exec, s[6:7]
	s_cbranch_execnz .LBB1_4144
; %bb.12327:
	s_getpc_b64 s[14:15]
.Lpost_getpc2067:
	s_add_u32 s14, s14, (.LBB1_46-.Lpost_getpc2067)&4294967295
	s_addc_u32 s15, s15, (.LBB1_46-.Lpost_getpc2067)>>32
	s_setpc_b64 s[14:15]
.LBB1_4144:
	v_mov_b32_e32 v21, 0
	v_cmp_ne_u16_sdwa s[8:9], v16, v21 src0_sel:BYTE_0 src1_sel:DWORD
	s_andn2_b64 s[4:5], s[4:5], exec
	s_and_b64 s[8:9], s[8:9], exec
	s_or_b64 s[4:5], s[4:5], s[8:9]
	s_or_b64 exec, exec, s[6:7]
	s_and_saveexec_b64 s[6:7], s[4:5]
	s_cbranch_execz .LBB1_8215
; %bb.12329:
	s_getpc_b64 s[14:15]
.Lpost_getpc2068:
	s_add_u32 s14, s14, (.LBB1_47-.Lpost_getpc2068)&4294967295
	s_addc_u32 s15, s15, (.LBB1_47-.Lpost_getpc2068)>>32
	s_setpc_b64 s[14:15]
.LBB1_8215:
	s_getpc_b64 s[14:15]
.Lpost_getpc11:
	s_add_u32 s14, s14, (.LBB1_48-.Lpost_getpc11)&4294967295
	s_addc_u32 s15, s15, (.LBB1_48-.Lpost_getpc11)>>32
	s_setpc_b64 s[14:15]
.LBB1_4145:
	s_movk_i32 s4, 0x80
	v_cmp_eq_u16_e32 vcc, s4, v16
	s_mov_b64 s[4:5], -1
                                        ; implicit-def: $sgpr10
	s_and_saveexec_b64 s[8:9], vcc
; %bb.4146:
	s_mov_b32 s10, 0x7f800001
	s_xor_b64 s[4:5], exec, -1
; %bb.4147:
	s_or_b64 exec, exec, s[8:9]
	s_and_b64 s[4:5], s[4:5], exec
                                        ; implicit-def: $vgpr16
	s_or_saveexec_b64 s[6:7], s[6:7]
	v_mov_b32_e32 v12, s10
	s_xor_b64 exec, exec, s[6:7]
	s_cbranch_execnz .LBB1_4148
; %bb.12331:
	s_getpc_b64 s[14:15]
.Lpost_getpc2069:
	s_add_u32 s14, s14, (.LBB1_50-.Lpost_getpc2069)&4294967295
	s_addc_u32 s15, s15, (.LBB1_50-.Lpost_getpc2069)>>32
	s_setpc_b64 s[14:15]
.LBB1_4148:
	v_cmp_ne_u16_e32 vcc, 0, v16
	s_andn2_b64 s[4:5], s[4:5], exec
	s_and_b64 s[8:9], vcc, exec
	v_mov_b32_e32 v12, 0
	s_or_b64 s[4:5], s[4:5], s[8:9]
	s_or_b64 exec, exec, s[6:7]
	s_and_saveexec_b64 s[6:7], s[4:5]
	s_cbranch_execz .LBB1_8217
; %bb.12333:
	s_getpc_b64 s[14:15]
.Lpost_getpc2070:
	s_add_u32 s14, s14, (.LBB1_51-.Lpost_getpc2070)&4294967295
	s_addc_u32 s15, s15, (.LBB1_51-.Lpost_getpc2070)>>32
	s_setpc_b64 s[14:15]
.LBB1_8217:
	s_getpc_b64 s[14:15]
.Lpost_getpc12:
	s_add_u32 s14, s14, (.LBB1_52-.Lpost_getpc12)&4294967295
	s_addc_u32 s15, s15, (.LBB1_52-.Lpost_getpc12)>>32
	s_setpc_b64 s[14:15]
.LBB1_4149:
	s_movk_i32 s4, 0x80
	v_cmp_eq_u16_e32 vcc, s4, v16
	s_mov_b64 s[4:5], -1
                                        ; implicit-def: $sgpr10
	s_and_saveexec_b64 s[8:9], vcc
; %bb.4150:
	s_mov_b32 s10, 0x7f800001
	s_xor_b64 s[4:5], exec, -1
; %bb.4151:
	s_or_b64 exec, exec, s[8:9]
	s_and_b64 s[4:5], s[4:5], exec
                                        ; implicit-def: $vgpr16
	s_or_saveexec_b64 s[6:7], s[6:7]
	v_mov_b32_e32 v21, s10
	s_xor_b64 exec, exec, s[6:7]
	s_cbranch_execnz .LBB1_4152
; %bb.12335:
	s_getpc_b64 s[14:15]
.Lpost_getpc2071:
	s_add_u32 s14, s14, (.LBB1_54-.Lpost_getpc2071)&4294967295
	s_addc_u32 s15, s15, (.LBB1_54-.Lpost_getpc2071)>>32
	s_setpc_b64 s[14:15]
.LBB1_4152:
	v_cmp_ne_u16_e32 vcc, 0, v16
	s_andn2_b64 s[4:5], s[4:5], exec
	s_and_b64 s[8:9], vcc, exec
	v_mov_b32_e32 v21, 0
	s_or_b64 s[4:5], s[4:5], s[8:9]
	s_or_b64 exec, exec, s[6:7]
	s_and_saveexec_b64 s[6:7], s[4:5]
	s_cbranch_execz .LBB1_8219
; %bb.12337:
	s_getpc_b64 s[14:15]
.Lpost_getpc2072:
	s_add_u32 s14, s14, (.LBB1_55-.Lpost_getpc2072)&4294967295
	s_addc_u32 s15, s15, (.LBB1_55-.Lpost_getpc2072)>>32
	s_setpc_b64 s[14:15]
.LBB1_8219:
	s_getpc_b64 s[14:15]
.Lpost_getpc13:
	s_add_u32 s14, s14, (.LBB1_56-.Lpost_getpc13)&4294967295
	s_addc_u32 s15, s15, (.LBB1_56-.Lpost_getpc13)>>32
	s_setpc_b64 s[14:15]
.LBB1_4153:
	s_movk_i32 s4, 0x80
	v_cmp_eq_u16_sdwa s[12:13], v17, s4 src0_sel:BYTE_3 src1_sel:DWORD
	s_mov_b64 s[4:5], -1
                                        ; implicit-def: $sgpr10
	s_and_saveexec_b64 s[8:9], s[12:13]
; %bb.4154:
	s_mov_b32 s10, 0x7f800001
	s_xor_b64 s[4:5], exec, -1
; %bb.4155:
	s_or_b64 exec, exec, s[8:9]
	s_and_b64 s[4:5], s[4:5], exec
	s_or_saveexec_b64 s[6:7], s[6:7]
	v_mov_b32_e32 v12, s10
	s_xor_b64 exec, exec, s[6:7]
	s_cbranch_execnz .LBB1_4156
; %bb.12339:
	s_getpc_b64 s[14:15]
.Lpost_getpc2073:
	s_add_u32 s14, s14, (.LBB1_58-.Lpost_getpc2073)&4294967295
	s_addc_u32 s15, s15, (.LBB1_58-.Lpost_getpc2073)>>32
	s_setpc_b64 s[14:15]
.LBB1_4156:
	v_mov_b32_e32 v12, 0
	v_cmp_ne_u16_sdwa s[8:9], v17, v12 src0_sel:BYTE_3 src1_sel:DWORD
	s_andn2_b64 s[4:5], s[4:5], exec
	s_and_b64 s[8:9], s[8:9], exec
	s_or_b64 s[4:5], s[4:5], s[8:9]
	s_or_b64 exec, exec, s[6:7]
	s_and_saveexec_b64 s[6:7], s[4:5]
	s_cbranch_execz .LBB1_8221
; %bb.12341:
	s_getpc_b64 s[14:15]
.Lpost_getpc2074:
	s_add_u32 s14, s14, (.LBB1_59-.Lpost_getpc2074)&4294967295
	s_addc_u32 s15, s15, (.LBB1_59-.Lpost_getpc2074)>>32
	s_setpc_b64 s[14:15]
.LBB1_8221:
	s_getpc_b64 s[14:15]
.Lpost_getpc14:
	s_add_u32 s14, s14, (.LBB1_60-.Lpost_getpc14)&4294967295
	s_addc_u32 s15, s15, (.LBB1_60-.Lpost_getpc14)>>32
	s_setpc_b64 s[14:15]
.LBB1_4157:
	s_movk_i32 s4, 0x80
	v_cmp_eq_u16_sdwa s[12:13], v13, s4 src0_sel:BYTE_3 src1_sel:DWORD
	s_mov_b64 s[4:5], -1
                                        ; implicit-def: $sgpr10
	s_and_saveexec_b64 s[8:9], s[12:13]
; %bb.4158:
	s_mov_b32 s10, 0x7f800001
	s_xor_b64 s[4:5], exec, -1
; %bb.4159:
	s_or_b64 exec, exec, s[8:9]
	s_and_b64 s[4:5], s[4:5], exec
	s_or_saveexec_b64 s[6:7], s[6:7]
	v_mov_b32_e32 v16, s10
	s_xor_b64 exec, exec, s[6:7]
	s_cbranch_execnz .LBB1_4160
; %bb.12343:
	s_getpc_b64 s[14:15]
.Lpost_getpc2075:
	s_add_u32 s14, s14, (.LBB1_62-.Lpost_getpc2075)&4294967295
	s_addc_u32 s15, s15, (.LBB1_62-.Lpost_getpc2075)>>32
	s_setpc_b64 s[14:15]
.LBB1_4160:
	v_mov_b32_e32 v16, 0
	v_cmp_ne_u16_sdwa s[8:9], v13, v16 src0_sel:BYTE_3 src1_sel:DWORD
	s_andn2_b64 s[4:5], s[4:5], exec
	s_and_b64 s[8:9], s[8:9], exec
	s_or_b64 s[4:5], s[4:5], s[8:9]
	s_or_b64 exec, exec, s[6:7]
	s_and_saveexec_b64 s[6:7], s[4:5]
	s_cbranch_execz .LBB1_8223
; %bb.12345:
	s_getpc_b64 s[14:15]
.Lpost_getpc2076:
	s_add_u32 s14, s14, (.LBB1_63-.Lpost_getpc2076)&4294967295
	s_addc_u32 s15, s15, (.LBB1_63-.Lpost_getpc2076)>>32
	s_setpc_b64 s[14:15]
.LBB1_8223:
	s_getpc_b64 s[14:15]
.Lpost_getpc15:
	s_add_u32 s14, s14, (.LBB1_64-.Lpost_getpc15)&4294967295
	s_addc_u32 s15, s15, (.LBB1_64-.Lpost_getpc15)>>32
	s_setpc_b64 s[14:15]
.LBB1_4161:
	s_movk_i32 s4, 0x80
	v_cmp_eq_u16_sdwa s[12:13], v18, s4 src0_sel:BYTE_0 src1_sel:DWORD
	s_mov_b64 s[4:5], -1
                                        ; implicit-def: $sgpr10
	s_and_saveexec_b64 s[8:9], s[12:13]
; %bb.4162:
	s_mov_b32 s10, 0x7f800001
	s_xor_b64 s[4:5], exec, -1
; %bb.4163:
	s_or_b64 exec, exec, s[8:9]
	s_and_b64 s[4:5], s[4:5], exec
	s_or_saveexec_b64 s[6:7], s[6:7]
	v_mov_b32_e32 v13, s10
	s_xor_b64 exec, exec, s[6:7]
	s_cbranch_execnz .LBB1_4164
; %bb.12347:
	s_getpc_b64 s[14:15]
.Lpost_getpc2077:
	s_add_u32 s14, s14, (.LBB1_66-.Lpost_getpc2077)&4294967295
	s_addc_u32 s15, s15, (.LBB1_66-.Lpost_getpc2077)>>32
	s_setpc_b64 s[14:15]
.LBB1_4164:
	v_mov_b32_e32 v13, 0
	v_cmp_ne_u16_sdwa s[8:9], v18, v13 src0_sel:BYTE_0 src1_sel:DWORD
	s_andn2_b64 s[4:5], s[4:5], exec
	s_and_b64 s[8:9], s[8:9], exec
	s_or_b64 s[4:5], s[4:5], s[8:9]
	s_or_b64 exec, exec, s[6:7]
	s_and_saveexec_b64 s[6:7], s[4:5]
	s_cbranch_execz .LBB1_8225
; %bb.12349:
	s_getpc_b64 s[14:15]
.Lpost_getpc2078:
	s_add_u32 s14, s14, (.LBB1_67-.Lpost_getpc2078)&4294967295
	s_addc_u32 s15, s15, (.LBB1_67-.Lpost_getpc2078)>>32
	s_setpc_b64 s[14:15]
.LBB1_8225:
	s_getpc_b64 s[14:15]
.Lpost_getpc16:
	s_add_u32 s14, s14, (.LBB1_68-.Lpost_getpc16)&4294967295
	s_addc_u32 s15, s15, (.LBB1_68-.Lpost_getpc16)>>32
	s_setpc_b64 s[14:15]
.LBB1_4165:
	s_movk_i32 s4, 0x80
	v_cmp_eq_u16_sdwa s[12:13], v16, s4 src0_sel:BYTE_0 src1_sel:DWORD
	s_mov_b64 s[4:5], -1
                                        ; implicit-def: $sgpr10
	s_and_saveexec_b64 s[8:9], s[12:13]
; %bb.4166:
	s_mov_b32 s10, 0x7f800001
	s_xor_b64 s[4:5], exec, -1
; %bb.4167:
	s_or_b64 exec, exec, s[8:9]
	s_and_b64 s[4:5], s[4:5], exec
	s_or_saveexec_b64 s[6:7], s[6:7]
	v_mov_b32_e32 v14, s10
	s_xor_b64 exec, exec, s[6:7]
	s_cbranch_execnz .LBB1_4168
; %bb.12351:
	s_getpc_b64 s[14:15]
.Lpost_getpc2079:
	s_add_u32 s14, s14, (.LBB1_70-.Lpost_getpc2079)&4294967295
	s_addc_u32 s15, s15, (.LBB1_70-.Lpost_getpc2079)>>32
	s_setpc_b64 s[14:15]
.LBB1_4168:
	v_mov_b32_e32 v14, 0
	v_cmp_ne_u16_sdwa s[8:9], v16, v14 src0_sel:BYTE_0 src1_sel:DWORD
	s_andn2_b64 s[4:5], s[4:5], exec
	s_and_b64 s[8:9], s[8:9], exec
	s_or_b64 s[4:5], s[4:5], s[8:9]
	s_or_b64 exec, exec, s[6:7]
	v_or_b32_sdwa v12, v16, v12 dst_sel:DWORD dst_unused:UNUSED_PAD src0_sel:WORD_0 src1_sel:DWORD
	s_and_saveexec_b64 s[6:7], s[4:5]
	s_cbranch_execz .LBB1_8227
; %bb.12353:
	s_getpc_b64 s[14:15]
.Lpost_getpc2080:
	s_add_u32 s14, s14, (.LBB1_71-.Lpost_getpc2080)&4294967295
	s_addc_u32 s15, s15, (.LBB1_71-.Lpost_getpc2080)>>32
	s_setpc_b64 s[14:15]
.LBB1_8227:
	s_getpc_b64 s[14:15]
.Lpost_getpc17:
	s_add_u32 s14, s14, (.LBB1_72-.Lpost_getpc17)&4294967295
	s_addc_u32 s15, s15, (.LBB1_72-.Lpost_getpc17)>>32
	s_setpc_b64 s[14:15]
.LBB1_4169:
	s_movk_i32 s4, 0x80
	v_cmp_eq_u16_sdwa s[12:13], v14, s4 src0_sel:BYTE_0 src1_sel:DWORD
	s_mov_b64 s[4:5], -1
                                        ; implicit-def: $sgpr10
	s_and_saveexec_b64 s[8:9], s[12:13]
; %bb.4170:
	s_mov_b32 s10, 0x7f800001
	s_xor_b64 s[4:5], exec, -1
; %bb.4171:
	s_or_b64 exec, exec, s[8:9]
	s_and_b64 s[4:5], s[4:5], exec
	s_or_saveexec_b64 s[6:7], s[6:7]
	v_mov_b32_e32 v13, s10
	s_xor_b64 exec, exec, s[6:7]
	s_cbranch_execnz .LBB1_4172
; %bb.12355:
	s_getpc_b64 s[14:15]
.Lpost_getpc2081:
	s_add_u32 s14, s14, (.LBB1_74-.Lpost_getpc2081)&4294967295
	s_addc_u32 s15, s15, (.LBB1_74-.Lpost_getpc2081)>>32
	s_setpc_b64 s[14:15]
.LBB1_4172:
	v_mov_b32_e32 v13, 0
	v_cmp_ne_u16_sdwa s[8:9], v14, v13 src0_sel:BYTE_0 src1_sel:DWORD
	s_andn2_b64 s[4:5], s[4:5], exec
	s_and_b64 s[8:9], s[8:9], exec
	s_or_b64 s[4:5], s[4:5], s[8:9]
	s_or_b64 exec, exec, s[6:7]
	s_and_saveexec_b64 s[6:7], s[4:5]
	s_cbranch_execz .LBB1_8229
; %bb.12357:
	s_getpc_b64 s[14:15]
.Lpost_getpc2082:
	s_add_u32 s14, s14, (.LBB1_75-.Lpost_getpc2082)&4294967295
	s_addc_u32 s15, s15, (.LBB1_75-.Lpost_getpc2082)>>32
	s_setpc_b64 s[14:15]
.LBB1_8229:
	s_getpc_b64 s[14:15]
.Lpost_getpc18:
	s_add_u32 s14, s14, (.LBB1_76-.Lpost_getpc18)&4294967295
	s_addc_u32 s15, s15, (.LBB1_76-.Lpost_getpc18)>>32
	s_setpc_b64 s[14:15]
.LBB1_4173:
	s_movk_i32 s4, 0x80
	v_cmp_eq_u16_sdwa s[12:13], v14, s4 src0_sel:BYTE_0 src1_sel:DWORD
	s_mov_b64 s[4:5], -1
                                        ; implicit-def: $sgpr10
	s_and_saveexec_b64 s[8:9], s[12:13]
; %bb.4174:
	s_mov_b32 s10, 0x7f800001
	s_xor_b64 s[4:5], exec, -1
; %bb.4175:
	s_or_b64 exec, exec, s[8:9]
	s_and_b64 s[4:5], s[4:5], exec
	s_or_saveexec_b64 s[6:7], s[6:7]
	v_mov_b32_e32 v16, s10
	s_xor_b64 exec, exec, s[6:7]
	s_cbranch_execnz .LBB1_4176
; %bb.12359:
	s_getpc_b64 s[14:15]
.Lpost_getpc2083:
	s_add_u32 s14, s14, (.LBB1_78-.Lpost_getpc2083)&4294967295
	s_addc_u32 s15, s15, (.LBB1_78-.Lpost_getpc2083)>>32
	s_setpc_b64 s[14:15]
.LBB1_4176:
	v_mov_b32_e32 v16, 0
	v_cmp_ne_u16_sdwa s[8:9], v14, v16 src0_sel:BYTE_0 src1_sel:DWORD
	s_andn2_b64 s[4:5], s[4:5], exec
	s_and_b64 s[8:9], s[8:9], exec
	s_or_b64 s[4:5], s[4:5], s[8:9]
	s_or_b64 exec, exec, s[6:7]
	s_and_saveexec_b64 s[6:7], s[4:5]
	s_cbranch_execz .LBB1_8231
; %bb.12361:
	s_getpc_b64 s[14:15]
.Lpost_getpc2084:
	s_add_u32 s14, s14, (.LBB1_79-.Lpost_getpc2084)&4294967295
	s_addc_u32 s15, s15, (.LBB1_79-.Lpost_getpc2084)>>32
	s_setpc_b64 s[14:15]
.LBB1_8231:
	s_getpc_b64 s[14:15]
.Lpost_getpc19:
	s_add_u32 s14, s14, (.LBB1_80-.Lpost_getpc19)&4294967295
	s_addc_u32 s15, s15, (.LBB1_80-.Lpost_getpc19)>>32
	s_setpc_b64 s[14:15]
.LBB1_4177:
	s_movk_i32 s4, 0x80
	v_cmp_eq_u16_e32 vcc, s4, v14
	s_mov_b64 s[4:5], -1
                                        ; implicit-def: $sgpr10
	s_and_saveexec_b64 s[8:9], vcc
; %bb.4178:
	s_mov_b32 s10, 0x7f800001
	s_xor_b64 s[4:5], exec, -1
; %bb.4179:
	s_or_b64 exec, exec, s[8:9]
	s_and_b64 s[4:5], s[4:5], exec
                                        ; implicit-def: $vgpr14
	s_or_saveexec_b64 s[6:7], s[6:7]
	v_mov_b32_e32 v13, s10
	s_xor_b64 exec, exec, s[6:7]
	s_cbranch_execnz .LBB1_4180
; %bb.12363:
	s_getpc_b64 s[14:15]
.Lpost_getpc2085:
	s_add_u32 s14, s14, (.LBB1_82-.Lpost_getpc2085)&4294967295
	s_addc_u32 s15, s15, (.LBB1_82-.Lpost_getpc2085)>>32
	s_setpc_b64 s[14:15]
.LBB1_4180:
	v_cmp_ne_u16_e32 vcc, 0, v14
	s_andn2_b64 s[4:5], s[4:5], exec
	s_and_b64 s[8:9], vcc, exec
	v_mov_b32_e32 v13, 0
	s_or_b64 s[4:5], s[4:5], s[8:9]
	s_or_b64 exec, exec, s[6:7]
	s_and_saveexec_b64 s[6:7], s[4:5]
	s_cbranch_execz .LBB1_8233
; %bb.12365:
	s_getpc_b64 s[14:15]
.Lpost_getpc2086:
	s_add_u32 s14, s14, (.LBB1_83-.Lpost_getpc2086)&4294967295
	s_addc_u32 s15, s15, (.LBB1_83-.Lpost_getpc2086)>>32
	s_setpc_b64 s[14:15]
.LBB1_8233:
	s_getpc_b64 s[14:15]
.Lpost_getpc20:
	s_add_u32 s14, s14, (.LBB1_84-.Lpost_getpc20)&4294967295
	s_addc_u32 s15, s15, (.LBB1_84-.Lpost_getpc20)>>32
	s_setpc_b64 s[14:15]
.LBB1_4181:
	s_movk_i32 s4, 0x80
	v_cmp_eq_u16_e32 vcc, s4, v14
	s_mov_b64 s[4:5], -1
                                        ; implicit-def: $sgpr10
	s_and_saveexec_b64 s[8:9], vcc
; %bb.4182:
	s_mov_b32 s10, 0x7f800001
	s_xor_b64 s[4:5], exec, -1
; %bb.4183:
	s_or_b64 exec, exec, s[8:9]
	s_and_b64 s[4:5], s[4:5], exec
                                        ; implicit-def: $vgpr14
	s_or_saveexec_b64 s[6:7], s[6:7]
	v_mov_b32_e32 v16, s10
	s_xor_b64 exec, exec, s[6:7]
	s_cbranch_execnz .LBB1_4184
; %bb.12367:
	s_getpc_b64 s[14:15]
.Lpost_getpc2087:
	s_add_u32 s14, s14, (.LBB1_86-.Lpost_getpc2087)&4294967295
	s_addc_u32 s15, s15, (.LBB1_86-.Lpost_getpc2087)>>32
	s_setpc_b64 s[14:15]
.LBB1_4184:
	v_cmp_ne_u16_e32 vcc, 0, v14
	s_andn2_b64 s[4:5], s[4:5], exec
	s_and_b64 s[8:9], vcc, exec
	v_mov_b32_e32 v16, 0
	s_or_b64 s[4:5], s[4:5], s[8:9]
	s_or_b64 exec, exec, s[6:7]
	s_and_saveexec_b64 s[6:7], s[4:5]
	s_cbranch_execz .LBB1_8235
; %bb.12369:
	s_getpc_b64 s[14:15]
.Lpost_getpc2088:
	s_add_u32 s14, s14, (.LBB1_87-.Lpost_getpc2088)&4294967295
	s_addc_u32 s15, s15, (.LBB1_87-.Lpost_getpc2088)>>32
	s_setpc_b64 s[14:15]
.LBB1_8235:
	s_getpc_b64 s[14:15]
.Lpost_getpc21:
	s_add_u32 s14, s14, (.LBB1_88-.Lpost_getpc21)&4294967295
	s_addc_u32 s15, s15, (.LBB1_88-.Lpost_getpc21)>>32
	s_setpc_b64 s[14:15]
.LBB1_4185:
	s_movk_i32 s4, 0x80
	v_cmp_eq_u16_sdwa s[12:13], v18, s4 src0_sel:BYTE_3 src1_sel:DWORD
	s_mov_b64 s[4:5], -1
                                        ; implicit-def: $sgpr10
	s_and_saveexec_b64 s[8:9], s[12:13]
; %bb.4186:
	s_mov_b32 s10, 0x7f800001
	s_xor_b64 s[4:5], exec, -1
; %bb.4187:
	s_or_b64 exec, exec, s[8:9]
	s_and_b64 s[4:5], s[4:5], exec
	s_or_saveexec_b64 s[6:7], s[6:7]
	v_mov_b32_e32 v13, s10
	s_xor_b64 exec, exec, s[6:7]
	s_cbranch_execnz .LBB1_4188
; %bb.12371:
	s_getpc_b64 s[14:15]
.Lpost_getpc2089:
	s_add_u32 s14, s14, (.LBB1_90-.Lpost_getpc2089)&4294967295
	s_addc_u32 s15, s15, (.LBB1_90-.Lpost_getpc2089)>>32
	s_setpc_b64 s[14:15]
.LBB1_4188:
	v_mov_b32_e32 v13, 0
	v_cmp_ne_u16_sdwa s[8:9], v18, v13 src0_sel:BYTE_3 src1_sel:DWORD
	s_andn2_b64 s[4:5], s[4:5], exec
	s_and_b64 s[8:9], s[8:9], exec
	s_or_b64 s[4:5], s[4:5], s[8:9]
	s_or_b64 exec, exec, s[6:7]
	s_and_saveexec_b64 s[6:7], s[4:5]
	s_cbranch_execz .LBB1_8237
; %bb.12373:
	s_getpc_b64 s[14:15]
.Lpost_getpc2090:
	s_add_u32 s14, s14, (.LBB1_91-.Lpost_getpc2090)&4294967295
	s_addc_u32 s15, s15, (.LBB1_91-.Lpost_getpc2090)>>32
	s_setpc_b64 s[14:15]
.LBB1_8237:
	s_getpc_b64 s[14:15]
.Lpost_getpc22:
	s_add_u32 s14, s14, (.LBB1_92-.Lpost_getpc22)&4294967295
	s_addc_u32 s15, s15, (.LBB1_92-.Lpost_getpc22)>>32
	s_setpc_b64 s[14:15]
.LBB1_4189:
	s_movk_i32 s4, 0x80
	v_cmp_eq_u16_sdwa s[12:13], v12, s4 src0_sel:BYTE_3 src1_sel:DWORD
	s_mov_b64 s[4:5], -1
                                        ; implicit-def: $sgpr10
	s_and_saveexec_b64 s[8:9], s[12:13]
; %bb.4190:
	s_mov_b32 s10, 0x7f800001
	s_xor_b64 s[4:5], exec, -1
; %bb.4191:
	s_or_b64 exec, exec, s[8:9]
	s_and_b64 s[4:5], s[4:5], exec
	s_or_saveexec_b64 s[6:7], s[6:7]
	v_mov_b32_e32 v14, s10
	s_xor_b64 exec, exec, s[6:7]
	s_cbranch_execnz .LBB1_4192
; %bb.12375:
	s_getpc_b64 s[14:15]
.Lpost_getpc2091:
	s_add_u32 s14, s14, (.LBB1_94-.Lpost_getpc2091)&4294967295
	s_addc_u32 s15, s15, (.LBB1_94-.Lpost_getpc2091)>>32
	s_setpc_b64 s[14:15]
.LBB1_4192:
	v_mov_b32_e32 v14, 0
	v_cmp_ne_u16_sdwa s[8:9], v12, v14 src0_sel:BYTE_3 src1_sel:DWORD
	s_andn2_b64 s[4:5], s[4:5], exec
	s_and_b64 s[8:9], s[8:9], exec
	s_or_b64 s[4:5], s[4:5], s[8:9]
	s_or_b64 exec, exec, s[6:7]
	s_and_saveexec_b64 s[6:7], s[4:5]
	s_cbranch_execz .LBB1_8239
; %bb.12377:
	s_getpc_b64 s[14:15]
.Lpost_getpc2092:
	s_add_u32 s14, s14, (.LBB1_95-.Lpost_getpc2092)&4294967295
	s_addc_u32 s15, s15, (.LBB1_95-.Lpost_getpc2092)>>32
	s_setpc_b64 s[14:15]
.LBB1_8239:
	s_getpc_b64 s[14:15]
.Lpost_getpc23:
	s_add_u32 s14, s14, (.LBB1_96-.Lpost_getpc23)&4294967295
	s_addc_u32 s15, s15, (.LBB1_96-.Lpost_getpc23)>>32
	s_setpc_b64 s[14:15]
.LBB1_4193:
	s_movk_i32 s4, 0x80
	v_cmp_eq_u16_sdwa s[12:13], v19, s4 src0_sel:BYTE_0 src1_sel:DWORD
	s_mov_b64 s[4:5], -1
                                        ; implicit-def: $sgpr10
	s_and_saveexec_b64 s[8:9], s[12:13]
; %bb.4194:
	s_mov_b32 s10, 0x7f800001
	s_xor_b64 s[4:5], exec, -1
; %bb.4195:
	s_or_b64 exec, exec, s[8:9]
	s_and_b64 s[4:5], s[4:5], exec
	s_or_saveexec_b64 s[6:7], s[6:7]
	v_mov_b32_e32 v12, s10
	s_xor_b64 exec, exec, s[6:7]
	s_cbranch_execnz .LBB1_4196
; %bb.12379:
	s_getpc_b64 s[14:15]
.Lpost_getpc2093:
	s_add_u32 s14, s14, (.LBB1_98-.Lpost_getpc2093)&4294967295
	s_addc_u32 s15, s15, (.LBB1_98-.Lpost_getpc2093)>>32
	s_setpc_b64 s[14:15]
.LBB1_4196:
	v_mov_b32_e32 v12, 0
	v_cmp_ne_u16_sdwa s[8:9], v19, v12 src0_sel:BYTE_0 src1_sel:DWORD
	s_andn2_b64 s[4:5], s[4:5], exec
	s_and_b64 s[8:9], s[8:9], exec
	s_or_b64 s[4:5], s[4:5], s[8:9]
	s_or_b64 exec, exec, s[6:7]
	s_and_saveexec_b64 s[6:7], s[4:5]
	s_cbranch_execz .LBB1_8241
; %bb.12381:
	s_getpc_b64 s[14:15]
.Lpost_getpc2094:
	s_add_u32 s14, s14, (.LBB1_99-.Lpost_getpc2094)&4294967295
	s_addc_u32 s15, s15, (.LBB1_99-.Lpost_getpc2094)>>32
	s_setpc_b64 s[14:15]
.LBB1_8241:
	s_getpc_b64 s[14:15]
.Lpost_getpc24:
	s_add_u32 s14, s14, (.LBB1_100-.Lpost_getpc24)&4294967295
	s_addc_u32 s15, s15, (.LBB1_100-.Lpost_getpc24)>>32
	s_setpc_b64 s[14:15]
.LBB1_4197:
	s_movk_i32 s4, 0x80
	v_cmp_eq_u16_sdwa s[12:13], v15, s4 src0_sel:BYTE_0 src1_sel:DWORD
	s_mov_b64 s[4:5], -1
                                        ; implicit-def: $sgpr10
	s_and_saveexec_b64 s[8:9], s[12:13]
; %bb.4198:
	s_mov_b32 s10, 0x7f800001
	s_xor_b64 s[4:5], exec, -1
; %bb.4199:
	s_or_b64 exec, exec, s[8:9]
	s_and_b64 s[4:5], s[4:5], exec
	s_or_saveexec_b64 s[6:7], s[6:7]
	v_mov_b32_e32 v13, s10
	s_xor_b64 exec, exec, s[6:7]
	s_cbranch_execnz .LBB1_4200
; %bb.12383:
	s_getpc_b64 s[14:15]
.Lpost_getpc2095:
	s_add_u32 s14, s14, (.LBB1_102-.Lpost_getpc2095)&4294967295
	s_addc_u32 s15, s15, (.LBB1_102-.Lpost_getpc2095)>>32
	s_setpc_b64 s[14:15]
.LBB1_4200:
	v_mov_b32_e32 v13, 0
	v_cmp_ne_u16_sdwa s[8:9], v15, v13 src0_sel:BYTE_0 src1_sel:DWORD
	s_andn2_b64 s[4:5], s[4:5], exec
	s_and_b64 s[8:9], s[8:9], exec
	s_or_b64 s[4:5], s[4:5], s[8:9]
	s_or_b64 exec, exec, s[6:7]
	s_and_saveexec_b64 s[6:7], s[4:5]
	s_cbranch_execz .LBB1_8243
; %bb.12385:
	s_getpc_b64 s[14:15]
.Lpost_getpc2096:
	s_add_u32 s14, s14, (.LBB1_103-.Lpost_getpc2096)&4294967295
	s_addc_u32 s15, s15, (.LBB1_103-.Lpost_getpc2096)>>32
	s_setpc_b64 s[14:15]
.LBB1_8243:
	s_getpc_b64 s[14:15]
.Lpost_getpc25:
	s_add_u32 s14, s14, (.LBB1_104-.Lpost_getpc25)&4294967295
	s_addc_u32 s15, s15, (.LBB1_104-.Lpost_getpc25)>>32
	s_setpc_b64 s[14:15]
.LBB1_4201:
	s_movk_i32 s4, 0x80
	v_cmp_eq_u16_sdwa s[12:13], v13, s4 src0_sel:BYTE_0 src1_sel:DWORD
	s_mov_b64 s[4:5], -1
                                        ; implicit-def: $sgpr10
	s_and_saveexec_b64 s[8:9], s[12:13]
; %bb.4202:
	s_mov_b32 s10, 0x7f800001
	s_xor_b64 s[4:5], exec, -1
; %bb.4203:
	s_or_b64 exec, exec, s[8:9]
	s_and_b64 s[4:5], s[4:5], exec
	s_or_saveexec_b64 s[6:7], s[6:7]
	v_mov_b32_e32 v12, s10
	s_xor_b64 exec, exec, s[6:7]
	s_cbranch_execnz .LBB1_4204
; %bb.12387:
	s_getpc_b64 s[14:15]
.Lpost_getpc2097:
	s_add_u32 s14, s14, (.LBB1_106-.Lpost_getpc2097)&4294967295
	s_addc_u32 s15, s15, (.LBB1_106-.Lpost_getpc2097)>>32
	s_setpc_b64 s[14:15]
.LBB1_4204:
	v_mov_b32_e32 v12, 0
	v_cmp_ne_u16_sdwa s[8:9], v13, v12 src0_sel:BYTE_0 src1_sel:DWORD
	s_andn2_b64 s[4:5], s[4:5], exec
	s_and_b64 s[8:9], s[8:9], exec
	s_or_b64 s[4:5], s[4:5], s[8:9]
	s_or_b64 exec, exec, s[6:7]
	s_and_saveexec_b64 s[6:7], s[4:5]
	s_cbranch_execz .LBB1_8245
; %bb.12389:
	s_getpc_b64 s[14:15]
.Lpost_getpc2098:
	s_add_u32 s14, s14, (.LBB1_107-.Lpost_getpc2098)&4294967295
	s_addc_u32 s15, s15, (.LBB1_107-.Lpost_getpc2098)>>32
	s_setpc_b64 s[14:15]
.LBB1_8245:
	s_getpc_b64 s[14:15]
.Lpost_getpc26:
	s_add_u32 s14, s14, (.LBB1_108-.Lpost_getpc26)&4294967295
	s_addc_u32 s15, s15, (.LBB1_108-.Lpost_getpc26)>>32
	s_setpc_b64 s[14:15]
.LBB1_4205:
	s_movk_i32 s4, 0x80
	v_cmp_eq_u16_sdwa s[12:13], v13, s4 src0_sel:BYTE_0 src1_sel:DWORD
	s_mov_b64 s[4:5], -1
                                        ; implicit-def: $sgpr10
	s_and_saveexec_b64 s[8:9], s[12:13]
; %bb.4206:
	s_mov_b32 s10, 0x7f800001
	s_xor_b64 s[4:5], exec, -1
; %bb.4207:
	s_or_b64 exec, exec, s[8:9]
	s_and_b64 s[4:5], s[4:5], exec
	s_or_saveexec_b64 s[6:7], s[6:7]
	v_mov_b32_e32 v14, s10
	s_xor_b64 exec, exec, s[6:7]
	s_cbranch_execnz .LBB1_4208
; %bb.12391:
	s_getpc_b64 s[14:15]
.Lpost_getpc2099:
	s_add_u32 s14, s14, (.LBB1_110-.Lpost_getpc2099)&4294967295
	s_addc_u32 s15, s15, (.LBB1_110-.Lpost_getpc2099)>>32
	s_setpc_b64 s[14:15]
.LBB1_4208:
	v_mov_b32_e32 v14, 0
	v_cmp_ne_u16_sdwa s[8:9], v13, v14 src0_sel:BYTE_0 src1_sel:DWORD
	s_andn2_b64 s[4:5], s[4:5], exec
	s_and_b64 s[8:9], s[8:9], exec
	s_or_b64 s[4:5], s[4:5], s[8:9]
	s_or_b64 exec, exec, s[6:7]
	s_and_saveexec_b64 s[6:7], s[4:5]
	s_cbranch_execz .LBB1_8247
; %bb.12393:
	s_getpc_b64 s[14:15]
.Lpost_getpc2100:
	s_add_u32 s14, s14, (.LBB1_111-.Lpost_getpc2100)&4294967295
	s_addc_u32 s15, s15, (.LBB1_111-.Lpost_getpc2100)>>32
	s_setpc_b64 s[14:15]
.LBB1_8247:
	s_getpc_b64 s[14:15]
.Lpost_getpc27:
	s_add_u32 s14, s14, (.LBB1_112-.Lpost_getpc27)&4294967295
	s_addc_u32 s15, s15, (.LBB1_112-.Lpost_getpc27)>>32
	s_setpc_b64 s[14:15]
.LBB1_4209:
	s_movk_i32 s4, 0x80
	v_cmp_eq_u16_e32 vcc, s4, v13
	s_mov_b64 s[4:5], -1
                                        ; implicit-def: $sgpr10
	s_and_saveexec_b64 s[8:9], vcc
; %bb.4210:
	s_mov_b32 s10, 0x7f800001
	s_xor_b64 s[4:5], exec, -1
; %bb.4211:
	s_or_b64 exec, exec, s[8:9]
	s_and_b64 s[4:5], s[4:5], exec
                                        ; implicit-def: $vgpr13
	s_or_saveexec_b64 s[6:7], s[6:7]
	v_mov_b32_e32 v12, s10
	s_xor_b64 exec, exec, s[6:7]
	s_cbranch_execnz .LBB1_4212
; %bb.12395:
	s_getpc_b64 s[14:15]
.Lpost_getpc2101:
	s_add_u32 s14, s14, (.LBB1_114-.Lpost_getpc2101)&4294967295
	s_addc_u32 s15, s15, (.LBB1_114-.Lpost_getpc2101)>>32
	s_setpc_b64 s[14:15]
.LBB1_4212:
	v_cmp_ne_u16_e32 vcc, 0, v13
	s_andn2_b64 s[4:5], s[4:5], exec
	s_and_b64 s[8:9], vcc, exec
	v_mov_b32_e32 v12, 0
	s_or_b64 s[4:5], s[4:5], s[8:9]
	s_or_b64 exec, exec, s[6:7]
	s_and_saveexec_b64 s[6:7], s[4:5]
	s_cbranch_execz .LBB1_8249
; %bb.12397:
	s_getpc_b64 s[14:15]
.Lpost_getpc2102:
	s_add_u32 s14, s14, (.LBB1_115-.Lpost_getpc2102)&4294967295
	s_addc_u32 s15, s15, (.LBB1_115-.Lpost_getpc2102)>>32
	s_setpc_b64 s[14:15]
.LBB1_8249:
	s_getpc_b64 s[14:15]
.Lpost_getpc28:
	s_add_u32 s14, s14, (.LBB1_116-.Lpost_getpc28)&4294967295
	s_addc_u32 s15, s15, (.LBB1_116-.Lpost_getpc28)>>32
	s_setpc_b64 s[14:15]
.LBB1_4213:
	s_movk_i32 s4, 0x80
	v_cmp_eq_u16_e32 vcc, s4, v13
	s_mov_b64 s[4:5], -1
                                        ; implicit-def: $sgpr10
	s_and_saveexec_b64 s[8:9], vcc
; %bb.4214:
	s_mov_b32 s10, 0x7f800001
	s_xor_b64 s[4:5], exec, -1
; %bb.4215:
	s_or_b64 exec, exec, s[8:9]
	s_and_b64 s[4:5], s[4:5], exec
                                        ; implicit-def: $vgpr13
	s_or_saveexec_b64 s[6:7], s[6:7]
	v_mov_b32_e32 v14, s10
	s_xor_b64 exec, exec, s[6:7]
	s_cbranch_execnz .LBB1_4216
; %bb.12399:
	s_getpc_b64 s[14:15]
.Lpost_getpc2103:
	s_add_u32 s14, s14, (.LBB1_118-.Lpost_getpc2103)&4294967295
	s_addc_u32 s15, s15, (.LBB1_118-.Lpost_getpc2103)>>32
	s_setpc_b64 s[14:15]
.LBB1_4216:
	v_cmp_ne_u16_e32 vcc, 0, v13
	s_andn2_b64 s[4:5], s[4:5], exec
	s_and_b64 s[8:9], vcc, exec
	v_mov_b32_e32 v14, 0
	s_or_b64 s[4:5], s[4:5], s[8:9]
	s_or_b64 exec, exec, s[6:7]
	s_and_saveexec_b64 s[6:7], s[4:5]
	s_cbranch_execz .LBB1_8251
; %bb.12401:
	s_getpc_b64 s[14:15]
.Lpost_getpc2104:
	s_add_u32 s14, s14, (.LBB1_119-.Lpost_getpc2104)&4294967295
	s_addc_u32 s15, s15, (.LBB1_119-.Lpost_getpc2104)>>32
	s_setpc_b64 s[14:15]
.LBB1_8251:
	s_getpc_b64 s[14:15]
.Lpost_getpc29:
	s_add_u32 s14, s14, (.LBB1_120-.Lpost_getpc29)&4294967295
	s_addc_u32 s15, s15, (.LBB1_120-.Lpost_getpc29)>>32
	s_setpc_b64 s[14:15]
.LBB1_4217:
	s_movk_i32 s4, 0x80
	v_cmp_eq_u16_sdwa s[12:13], v19, s4 src0_sel:BYTE_3 src1_sel:DWORD
	s_mov_b64 s[4:5], -1
                                        ; implicit-def: $sgpr10
	s_and_saveexec_b64 s[8:9], s[12:13]
; %bb.4218:
	s_mov_b32 s10, 0x7f800001
	s_xor_b64 s[4:5], exec, -1
; %bb.4219:
	s_or_b64 exec, exec, s[8:9]
	s_and_b64 s[4:5], s[4:5], exec
	s_or_saveexec_b64 s[6:7], s[6:7]
	v_mov_b32_e32 v12, s10
	s_xor_b64 exec, exec, s[6:7]
	s_cbranch_execnz .LBB1_4220
; %bb.12403:
	s_getpc_b64 s[14:15]
.Lpost_getpc2105:
	s_add_u32 s14, s14, (.LBB1_122-.Lpost_getpc2105)&4294967295
	s_addc_u32 s15, s15, (.LBB1_122-.Lpost_getpc2105)>>32
	s_setpc_b64 s[14:15]
.LBB1_4220:
	v_mov_b32_e32 v12, 0
	v_cmp_ne_u16_sdwa s[8:9], v19, v12 src0_sel:BYTE_3 src1_sel:DWORD
	s_andn2_b64 s[4:5], s[4:5], exec
	s_and_b64 s[8:9], s[8:9], exec
	s_or_b64 s[4:5], s[4:5], s[8:9]
	s_or_b64 exec, exec, s[6:7]
	s_and_saveexec_b64 s[6:7], s[4:5]
	s_cbranch_execz .LBB1_8253
; %bb.12405:
	s_getpc_b64 s[14:15]
.Lpost_getpc2106:
	s_add_u32 s14, s14, (.LBB1_123-.Lpost_getpc2106)&4294967295
	s_addc_u32 s15, s15, (.LBB1_123-.Lpost_getpc2106)>>32
	s_setpc_b64 s[14:15]
.LBB1_8253:
	s_getpc_b64 s[14:15]
.Lpost_getpc30:
	s_add_u32 s14, s14, (.LBB1_124-.Lpost_getpc30)&4294967295
	s_addc_u32 s15, s15, (.LBB1_124-.Lpost_getpc30)>>32
	s_setpc_b64 s[14:15]
.LBB1_4221:
	s_movk_i32 s4, 0x80
	v_cmp_eq_u16_sdwa s[12:13], v15, s4 src0_sel:BYTE_3 src1_sel:DWORD
	s_mov_b64 s[4:5], -1
                                        ; implicit-def: $sgpr10
	s_and_saveexec_b64 s[8:9], s[12:13]
; %bb.4222:
	s_mov_b32 s10, 0x7f800001
	s_xor_b64 s[4:5], exec, -1
; %bb.4223:
	s_or_b64 exec, exec, s[8:9]
	s_and_b64 s[4:5], s[4:5], exec
	s_or_saveexec_b64 s[6:7], s[6:7]
	v_mov_b32_e32 v13, s10
	s_xor_b64 exec, exec, s[6:7]
	s_cbranch_execnz .LBB1_4224
; %bb.12407:
	s_getpc_b64 s[14:15]
.Lpost_getpc2107:
	s_add_u32 s14, s14, (.LBB1_126-.Lpost_getpc2107)&4294967295
	s_addc_u32 s15, s15, (.LBB1_126-.Lpost_getpc2107)>>32
	s_setpc_b64 s[14:15]
.LBB1_4224:
	v_mov_b32_e32 v13, 0
	v_cmp_ne_u16_sdwa s[8:9], v15, v13 src0_sel:BYTE_3 src1_sel:DWORD
	s_andn2_b64 s[4:5], s[4:5], exec
	s_and_b64 s[8:9], s[8:9], exec
	s_or_b64 s[4:5], s[4:5], s[8:9]
	s_or_b64 exec, exec, s[6:7]
	s_and_saveexec_b64 s[6:7], s[4:5]
	s_cbranch_execz .LBB1_8255
; %bb.12409:
	s_getpc_b64 s[14:15]
.Lpost_getpc2108:
	s_add_u32 s14, s14, (.LBB1_127-.Lpost_getpc2108)&4294967295
	s_addc_u32 s15, s15, (.LBB1_127-.Lpost_getpc2108)>>32
	s_setpc_b64 s[14:15]
.LBB1_8255:
	s_getpc_b64 s[14:15]
.Lpost_getpc31:
	s_add_u32 s14, s14, (.LBB1_128-.Lpost_getpc31)&4294967295
	s_addc_u32 s15, s15, (.LBB1_128-.Lpost_getpc31)>>32
	s_setpc_b64 s[14:15]
.LBB1_4225:
	s_movk_i32 s4, 0x80
	v_cmp_eq_u16_sdwa s[12:13], v16, s4 src0_sel:BYTE_0 src1_sel:DWORD
	s_mov_b64 s[4:5], -1
                                        ; implicit-def: $sgpr10
	s_and_saveexec_b64 s[8:9], s[12:13]
; %bb.4226:
	s_mov_b32 s10, 0x7f800001
	s_xor_b64 s[4:5], exec, -1
; %bb.4227:
	s_or_b64 exec, exec, s[8:9]
	s_and_b64 s[4:5], s[4:5], exec
	s_or_saveexec_b64 s[6:7], s[6:7]
	v_mov_b32_e32 v21, s10
	s_xor_b64 exec, exec, s[6:7]
	s_cbranch_execnz .LBB1_4228
; %bb.12411:
	s_getpc_b64 s[14:15]
.Lpost_getpc2109:
	s_add_u32 s14, s14, (.LBB1_130-.Lpost_getpc2109)&4294967295
	s_addc_u32 s15, s15, (.LBB1_130-.Lpost_getpc2109)>>32
	s_setpc_b64 s[14:15]
.LBB1_4228:
	v_mov_b32_e32 v21, 0
	v_cmp_ne_u16_sdwa s[8:9], v16, v21 src0_sel:BYTE_0 src1_sel:DWORD
	s_andn2_b64 s[4:5], s[4:5], exec
	s_and_b64 s[8:9], s[8:9], exec
	s_or_b64 s[4:5], s[4:5], s[8:9]
	s_or_b64 exec, exec, s[6:7]
	s_and_saveexec_b64 s[6:7], s[4:5]
	s_cbranch_execz .LBB1_8257
; %bb.12413:
	s_getpc_b64 s[14:15]
.Lpost_getpc2110:
	s_add_u32 s14, s14, (.LBB1_131-.Lpost_getpc2110)&4294967295
	s_addc_u32 s15, s15, (.LBB1_131-.Lpost_getpc2110)>>32
	s_setpc_b64 s[14:15]
.LBB1_8257:
	s_getpc_b64 s[14:15]
.Lpost_getpc32:
	s_add_u32 s14, s14, (.LBB1_132-.Lpost_getpc32)&4294967295
	s_addc_u32 s15, s15, (.LBB1_132-.Lpost_getpc32)>>32
	s_setpc_b64 s[14:15]
.LBB1_4229:
	s_movk_i32 s4, 0x80
	v_cmp_eq_u16_sdwa s[12:13], v12, s4 src0_sel:BYTE_0 src1_sel:DWORD
	s_mov_b64 s[4:5], -1
                                        ; implicit-def: $sgpr10
	s_and_saveexec_b64 s[8:9], s[12:13]
; %bb.4230:
	s_mov_b32 s10, 0x7f800001
	s_xor_b64 s[4:5], exec, -1
; %bb.4231:
	s_or_b64 exec, exec, s[8:9]
	s_and_b64 s[4:5], s[4:5], exec
	s_or_saveexec_b64 s[6:7], s[6:7]
	v_mov_b32_e32 v22, s10
	s_xor_b64 exec, exec, s[6:7]
	s_cbranch_execnz .LBB1_4232
; %bb.12415:
	s_getpc_b64 s[14:15]
.Lpost_getpc2111:
	s_add_u32 s14, s14, (.LBB1_134-.Lpost_getpc2111)&4294967295
	s_addc_u32 s15, s15, (.LBB1_134-.Lpost_getpc2111)>>32
	s_setpc_b64 s[14:15]
.LBB1_4232:
	v_mov_b32_e32 v22, 0
	v_cmp_ne_u16_sdwa s[8:9], v12, v22 src0_sel:BYTE_0 src1_sel:DWORD
	s_andn2_b64 s[4:5], s[4:5], exec
	s_and_b64 s[8:9], s[8:9], exec
	s_or_b64 s[4:5], s[4:5], s[8:9]
	s_or_b64 exec, exec, s[6:7]
	s_and_saveexec_b64 s[6:7], s[4:5]
	s_cbranch_execz .LBB1_8259
; %bb.12417:
	s_getpc_b64 s[14:15]
.Lpost_getpc2112:
	s_add_u32 s14, s14, (.LBB1_135-.Lpost_getpc2112)&4294967295
	s_addc_u32 s15, s15, (.LBB1_135-.Lpost_getpc2112)>>32
	s_setpc_b64 s[14:15]
.LBB1_8259:
	s_getpc_b64 s[14:15]
.Lpost_getpc33:
	s_add_u32 s14, s14, (.LBB1_136-.Lpost_getpc33)&4294967295
	s_addc_u32 s15, s15, (.LBB1_136-.Lpost_getpc33)>>32
	s_setpc_b64 s[14:15]
.LBB1_4233:
	s_movk_i32 s4, 0x80
	v_cmp_eq_u16_sdwa s[12:13], v22, s4 src0_sel:BYTE_0 src1_sel:DWORD
	s_mov_b64 s[4:5], -1
                                        ; implicit-def: $sgpr10
	s_and_saveexec_b64 s[8:9], s[12:13]
; %bb.4234:
	s_mov_b32 s10, 0x7f800001
	s_xor_b64 s[4:5], exec, -1
; %bb.4235:
	s_or_b64 exec, exec, s[8:9]
	s_and_b64 s[4:5], s[4:5], exec
	s_or_saveexec_b64 s[6:7], s[6:7]
	v_mov_b32_e32 v21, s10
	s_xor_b64 exec, exec, s[6:7]
	s_cbranch_execnz .LBB1_4236
; %bb.12419:
	s_getpc_b64 s[14:15]
.Lpost_getpc2113:
	s_add_u32 s14, s14, (.LBB1_138-.Lpost_getpc2113)&4294967295
	s_addc_u32 s15, s15, (.LBB1_138-.Lpost_getpc2113)>>32
	s_setpc_b64 s[14:15]
.LBB1_4236:
	v_mov_b32_e32 v21, 0
	v_cmp_ne_u16_sdwa s[8:9], v22, v21 src0_sel:BYTE_0 src1_sel:DWORD
	s_andn2_b64 s[4:5], s[4:5], exec
	s_and_b64 s[8:9], s[8:9], exec
	s_or_b64 s[4:5], s[4:5], s[8:9]
	s_or_b64 exec, exec, s[6:7]
	s_and_saveexec_b64 s[6:7], s[4:5]
	s_cbranch_execz .LBB1_8261
; %bb.12421:
	s_getpc_b64 s[14:15]
.Lpost_getpc2114:
	s_add_u32 s14, s14, (.LBB1_139-.Lpost_getpc2114)&4294967295
	s_addc_u32 s15, s15, (.LBB1_139-.Lpost_getpc2114)>>32
	s_setpc_b64 s[14:15]
.LBB1_8261:
	s_getpc_b64 s[14:15]
.Lpost_getpc34:
	s_add_u32 s14, s14, (.LBB1_140-.Lpost_getpc34)&4294967295
	s_addc_u32 s15, s15, (.LBB1_140-.Lpost_getpc34)>>32
	s_setpc_b64 s[14:15]
.LBB1_4237:
	s_movk_i32 s4, 0x80
	v_cmp_eq_u16_sdwa s[12:13], v22, s4 src0_sel:BYTE_0 src1_sel:DWORD
	s_mov_b64 s[4:5], -1
                                        ; implicit-def: $sgpr10
	s_and_saveexec_b64 s[8:9], s[12:13]
; %bb.4238:
	s_mov_b32 s10, 0x7f800001
	s_xor_b64 s[4:5], exec, -1
; %bb.4239:
	s_or_b64 exec, exec, s[8:9]
	s_and_b64 s[4:5], s[4:5], exec
	s_or_saveexec_b64 s[6:7], s[6:7]
	v_mov_b32_e32 v23, s10
	s_xor_b64 exec, exec, s[6:7]
	s_cbranch_execnz .LBB1_4240
; %bb.12423:
	s_getpc_b64 s[14:15]
.Lpost_getpc2115:
	s_add_u32 s14, s14, (.LBB1_142-.Lpost_getpc2115)&4294967295
	s_addc_u32 s15, s15, (.LBB1_142-.Lpost_getpc2115)>>32
	s_setpc_b64 s[14:15]
.LBB1_4240:
	v_mov_b32_e32 v23, 0
	v_cmp_ne_u16_sdwa s[8:9], v22, v23 src0_sel:BYTE_0 src1_sel:DWORD
	s_andn2_b64 s[4:5], s[4:5], exec
	s_and_b64 s[8:9], s[8:9], exec
	s_or_b64 s[4:5], s[4:5], s[8:9]
	s_or_b64 exec, exec, s[6:7]
	s_and_saveexec_b64 s[6:7], s[4:5]
	s_cbranch_execz .LBB1_8263
; %bb.12425:
	s_getpc_b64 s[14:15]
.Lpost_getpc2116:
	s_add_u32 s14, s14, (.LBB1_143-.Lpost_getpc2116)&4294967295
	s_addc_u32 s15, s15, (.LBB1_143-.Lpost_getpc2116)>>32
	s_setpc_b64 s[14:15]
.LBB1_8263:
	s_getpc_b64 s[14:15]
.Lpost_getpc35:
	s_add_u32 s14, s14, (.LBB1_144-.Lpost_getpc35)&4294967295
	s_addc_u32 s15, s15, (.LBB1_144-.Lpost_getpc35)>>32
	s_setpc_b64 s[14:15]
.LBB1_4241:
	s_movk_i32 s4, 0x80
	v_cmp_eq_u16_e32 vcc, s4, v22
	s_mov_b64 s[4:5], -1
                                        ; implicit-def: $sgpr10
	s_and_saveexec_b64 s[8:9], vcc
; %bb.4242:
	s_mov_b32 s10, 0x7f800001
	s_xor_b64 s[4:5], exec, -1
; %bb.4243:
	s_or_b64 exec, exec, s[8:9]
	s_and_b64 s[4:5], s[4:5], exec
                                        ; implicit-def: $vgpr22
	s_or_saveexec_b64 s[6:7], s[6:7]
	v_mov_b32_e32 v21, s10
	s_xor_b64 exec, exec, s[6:7]
	s_cbranch_execnz .LBB1_4244
; %bb.12427:
	s_getpc_b64 s[14:15]
.Lpost_getpc2117:
	s_add_u32 s14, s14, (.LBB1_146-.Lpost_getpc2117)&4294967295
	s_addc_u32 s15, s15, (.LBB1_146-.Lpost_getpc2117)>>32
	s_setpc_b64 s[14:15]
.LBB1_4244:
	v_cmp_ne_u16_e32 vcc, 0, v22
	s_andn2_b64 s[4:5], s[4:5], exec
	s_and_b64 s[8:9], vcc, exec
	v_mov_b32_e32 v21, 0
	s_or_b64 s[4:5], s[4:5], s[8:9]
	s_or_b64 exec, exec, s[6:7]
	s_and_saveexec_b64 s[6:7], s[4:5]
	s_cbranch_execz .LBB1_8265
; %bb.12429:
	s_getpc_b64 s[14:15]
.Lpost_getpc2118:
	s_add_u32 s14, s14, (.LBB1_147-.Lpost_getpc2118)&4294967295
	s_addc_u32 s15, s15, (.LBB1_147-.Lpost_getpc2118)>>32
	s_setpc_b64 s[14:15]
.LBB1_8265:
	s_getpc_b64 s[14:15]
.Lpost_getpc36:
	s_add_u32 s14, s14, (.LBB1_148-.Lpost_getpc36)&4294967295
	s_addc_u32 s15, s15, (.LBB1_148-.Lpost_getpc36)>>32
	s_setpc_b64 s[14:15]
.LBB1_4245:
	s_movk_i32 s4, 0x80
	v_cmp_eq_u16_e32 vcc, s4, v22
	s_mov_b64 s[4:5], -1
                                        ; implicit-def: $sgpr10
	s_and_saveexec_b64 s[8:9], vcc
; %bb.4246:
	s_mov_b32 s10, 0x7f800001
	s_xor_b64 s[4:5], exec, -1
; %bb.4247:
	s_or_b64 exec, exec, s[8:9]
	s_and_b64 s[4:5], s[4:5], exec
                                        ; implicit-def: $vgpr22
	s_or_saveexec_b64 s[6:7], s[6:7]
	v_mov_b32_e32 v23, s10
	s_xor_b64 exec, exec, s[6:7]
	s_cbranch_execnz .LBB1_4248
; %bb.12431:
	s_getpc_b64 s[14:15]
.Lpost_getpc2119:
	s_add_u32 s14, s14, (.LBB1_150-.Lpost_getpc2119)&4294967295
	s_addc_u32 s15, s15, (.LBB1_150-.Lpost_getpc2119)>>32
	s_setpc_b64 s[14:15]
.LBB1_4248:
	v_cmp_ne_u16_e32 vcc, 0, v22
	s_andn2_b64 s[4:5], s[4:5], exec
	s_and_b64 s[8:9], vcc, exec
	v_mov_b32_e32 v23, 0
	s_or_b64 s[4:5], s[4:5], s[8:9]
	s_or_b64 exec, exec, s[6:7]
	s_and_saveexec_b64 s[6:7], s[4:5]
	s_cbranch_execz .LBB1_8267
; %bb.12433:
	s_getpc_b64 s[14:15]
.Lpost_getpc2120:
	s_add_u32 s14, s14, (.LBB1_151-.Lpost_getpc2120)&4294967295
	s_addc_u32 s15, s15, (.LBB1_151-.Lpost_getpc2120)>>32
	s_setpc_b64 s[14:15]
.LBB1_8267:
	s_getpc_b64 s[14:15]
.Lpost_getpc37:
	s_add_u32 s14, s14, (.LBB1_152-.Lpost_getpc37)&4294967295
	s_addc_u32 s15, s15, (.LBB1_152-.Lpost_getpc37)>>32
	s_setpc_b64 s[14:15]
.LBB1_4249:
	s_movk_i32 s4, 0x80
	v_cmp_eq_u16_sdwa s[12:13], v16, s4 src0_sel:BYTE_3 src1_sel:DWORD
	s_mov_b64 s[4:5], -1
                                        ; implicit-def: $sgpr10
	s_and_saveexec_b64 s[8:9], s[12:13]
; %bb.4250:
	s_mov_b32 s10, 0x7f800001
	s_xor_b64 s[4:5], exec, -1
; %bb.4251:
	s_or_b64 exec, exec, s[8:9]
	s_and_b64 s[4:5], s[4:5], exec
	s_or_saveexec_b64 s[6:7], s[6:7]
	v_mov_b32_e32 v21, s10
	s_xor_b64 exec, exec, s[6:7]
	s_cbranch_execnz .LBB1_4252
; %bb.12435:
	s_getpc_b64 s[14:15]
.Lpost_getpc2121:
	s_add_u32 s14, s14, (.LBB1_154-.Lpost_getpc2121)&4294967295
	s_addc_u32 s15, s15, (.LBB1_154-.Lpost_getpc2121)>>32
	s_setpc_b64 s[14:15]
.LBB1_4252:
	v_mov_b32_e32 v21, 0
	v_cmp_ne_u16_sdwa s[8:9], v16, v21 src0_sel:BYTE_3 src1_sel:DWORD
	s_andn2_b64 s[4:5], s[4:5], exec
	s_and_b64 s[8:9], s[8:9], exec
	s_or_b64 s[4:5], s[4:5], s[8:9]
	s_or_b64 exec, exec, s[6:7]
	s_and_saveexec_b64 s[6:7], s[4:5]
	s_cbranch_execz .LBB1_8269
; %bb.12437:
	s_getpc_b64 s[14:15]
.Lpost_getpc2122:
	s_add_u32 s14, s14, (.LBB1_155-.Lpost_getpc2122)&4294967295
	s_addc_u32 s15, s15, (.LBB1_155-.Lpost_getpc2122)>>32
	s_setpc_b64 s[14:15]
.LBB1_8269:
	s_getpc_b64 s[14:15]
.Lpost_getpc38:
	s_add_u32 s14, s14, (.LBB1_156-.Lpost_getpc38)&4294967295
	s_addc_u32 s15, s15, (.LBB1_156-.Lpost_getpc38)>>32
	s_setpc_b64 s[14:15]
.LBB1_4253:
	s_movk_i32 s4, 0x80
	v_cmp_eq_u16_sdwa s[12:13], v12, s4 src0_sel:BYTE_3 src1_sel:DWORD
	s_mov_b64 s[4:5], -1
                                        ; implicit-def: $sgpr10
	s_and_saveexec_b64 s[8:9], s[12:13]
; %bb.4254:
	s_mov_b32 s10, 0x7f800001
	s_xor_b64 s[4:5], exec, -1
; %bb.4255:
	s_or_b64 exec, exec, s[8:9]
	s_and_b64 s[4:5], s[4:5], exec
	s_or_saveexec_b64 s[6:7], s[6:7]
	v_mov_b32_e32 v16, s10
	s_xor_b64 exec, exec, s[6:7]
	s_cbranch_execnz .LBB1_4256
; %bb.12439:
	s_getpc_b64 s[14:15]
.Lpost_getpc2123:
	s_add_u32 s14, s14, (.LBB1_158-.Lpost_getpc2123)&4294967295
	s_addc_u32 s15, s15, (.LBB1_158-.Lpost_getpc2123)>>32
	s_setpc_b64 s[14:15]
.LBB1_4256:
	v_mov_b32_e32 v16, 0
	v_cmp_ne_u16_sdwa s[8:9], v12, v16 src0_sel:BYTE_3 src1_sel:DWORD
	s_andn2_b64 s[4:5], s[4:5], exec
	s_and_b64 s[8:9], s[8:9], exec
	s_or_b64 s[4:5], s[4:5], s[8:9]
	s_or_b64 exec, exec, s[6:7]
	s_and_saveexec_b64 s[6:7], s[4:5]
	s_cbranch_execz .LBB1_8271
; %bb.12441:
	s_getpc_b64 s[14:15]
.Lpost_getpc2124:
	s_add_u32 s14, s14, (.LBB1_159-.Lpost_getpc2124)&4294967295
	s_addc_u32 s15, s15, (.LBB1_159-.Lpost_getpc2124)>>32
	s_setpc_b64 s[14:15]
.LBB1_8271:
	s_getpc_b64 s[14:15]
.Lpost_getpc39:
	s_add_u32 s14, s14, (.LBB1_160-.Lpost_getpc39)&4294967295
	s_addc_u32 s15, s15, (.LBB1_160-.Lpost_getpc39)>>32
	s_setpc_b64 s[14:15]
.LBB1_4257:
	s_movk_i32 s4, 0x80
	v_cmp_eq_u16_sdwa s[12:13], v17, s4 src0_sel:BYTE_0 src1_sel:DWORD
	s_mov_b64 s[4:5], -1
                                        ; implicit-def: $sgpr10
	s_and_saveexec_b64 s[8:9], s[12:13]
; %bb.4258:
	s_mov_b32 s10, 0x7f800001
	s_xor_b64 s[4:5], exec, -1
; %bb.4259:
	s_or_b64 exec, exec, s[8:9]
	s_and_b64 s[4:5], s[4:5], exec
	s_or_saveexec_b64 s[6:7], s[6:7]
	v_mov_b32_e32 v12, s10
	s_xor_b64 exec, exec, s[6:7]
	s_cbranch_execnz .LBB1_4260
; %bb.12443:
	s_getpc_b64 s[14:15]
.Lpost_getpc2125:
	s_add_u32 s14, s14, (.LBB1_162-.Lpost_getpc2125)&4294967295
	s_addc_u32 s15, s15, (.LBB1_162-.Lpost_getpc2125)>>32
	s_setpc_b64 s[14:15]
.LBB1_4260:
	v_mov_b32_e32 v12, 0
	v_cmp_ne_u16_sdwa s[8:9], v17, v12 src0_sel:BYTE_0 src1_sel:DWORD
	s_andn2_b64 s[4:5], s[4:5], exec
	s_and_b64 s[8:9], s[8:9], exec
	s_or_b64 s[4:5], s[4:5], s[8:9]
	s_or_b64 exec, exec, s[6:7]
	s_and_saveexec_b64 s[6:7], s[4:5]
	s_cbranch_execz .LBB1_8273
; %bb.12445:
	s_getpc_b64 s[14:15]
.Lpost_getpc2126:
	s_add_u32 s14, s14, (.LBB1_163-.Lpost_getpc2126)&4294967295
	s_addc_u32 s15, s15, (.LBB1_163-.Lpost_getpc2126)>>32
	s_setpc_b64 s[14:15]
.LBB1_8273:
	s_getpc_b64 s[14:15]
.Lpost_getpc40:
	s_add_u32 s14, s14, (.LBB1_164-.Lpost_getpc40)&4294967295
	s_addc_u32 s15, s15, (.LBB1_164-.Lpost_getpc40)>>32
	s_setpc_b64 s[14:15]
.LBB1_4261:
	s_movk_i32 s4, 0x80
	v_cmp_eq_u16_sdwa s[12:13], v13, s4 src0_sel:BYTE_0 src1_sel:DWORD
	s_mov_b64 s[4:5], -1
                                        ; implicit-def: $sgpr10
	s_and_saveexec_b64 s[8:9], s[12:13]
; %bb.4262:
	s_mov_b32 s10, 0x7f800001
	s_xor_b64 s[4:5], exec, -1
; %bb.4263:
	s_or_b64 exec, exec, s[8:9]
	s_and_b64 s[4:5], s[4:5], exec
	s_or_saveexec_b64 s[6:7], s[6:7]
	v_mov_b32_e32 v16, s10
	s_xor_b64 exec, exec, s[6:7]
	s_cbranch_execnz .LBB1_4264
; %bb.12447:
	s_getpc_b64 s[14:15]
.Lpost_getpc2127:
	s_add_u32 s14, s14, (.LBB1_166-.Lpost_getpc2127)&4294967295
	s_addc_u32 s15, s15, (.LBB1_166-.Lpost_getpc2127)>>32
	s_setpc_b64 s[14:15]
.LBB1_4264:
	v_mov_b32_e32 v16, 0
	v_cmp_ne_u16_sdwa s[8:9], v13, v16 src0_sel:BYTE_0 src1_sel:DWORD
	s_andn2_b64 s[4:5], s[4:5], exec
	s_and_b64 s[8:9], s[8:9], exec
	s_or_b64 s[4:5], s[4:5], s[8:9]
	s_or_b64 exec, exec, s[6:7]
	s_and_saveexec_b64 s[6:7], s[4:5]
	s_cbranch_execz .LBB1_8275
; %bb.12449:
	s_getpc_b64 s[14:15]
.Lpost_getpc2128:
	s_add_u32 s14, s14, (.LBB1_167-.Lpost_getpc2128)&4294967295
	s_addc_u32 s15, s15, (.LBB1_167-.Lpost_getpc2128)>>32
	s_setpc_b64 s[14:15]
.LBB1_8275:
	s_getpc_b64 s[14:15]
.Lpost_getpc41:
	s_add_u32 s14, s14, (.LBB1_168-.Lpost_getpc41)&4294967295
	s_addc_u32 s15, s15, (.LBB1_168-.Lpost_getpc41)>>32
	s_setpc_b64 s[14:15]
.LBB1_4265:
	s_movk_i32 s4, 0x80
	v_cmp_eq_u16_sdwa s[12:13], v16, s4 src0_sel:BYTE_0 src1_sel:DWORD
	s_mov_b64 s[4:5], -1
                                        ; implicit-def: $sgpr10
	s_and_saveexec_b64 s[8:9], s[12:13]
; %bb.4266:
	s_mov_b32 s10, 0x7f800001
	s_xor_b64 s[4:5], exec, -1
; %bb.4267:
	s_or_b64 exec, exec, s[8:9]
	s_and_b64 s[4:5], s[4:5], exec
	s_or_saveexec_b64 s[6:7], s[6:7]
	v_mov_b32_e32 v12, s10
	s_xor_b64 exec, exec, s[6:7]
	s_cbranch_execnz .LBB1_4268
; %bb.12451:
	s_getpc_b64 s[14:15]
.Lpost_getpc2129:
	s_add_u32 s14, s14, (.LBB1_170-.Lpost_getpc2129)&4294967295
	s_addc_u32 s15, s15, (.LBB1_170-.Lpost_getpc2129)>>32
	s_setpc_b64 s[14:15]
.LBB1_4268:
	v_mov_b32_e32 v12, 0
	v_cmp_ne_u16_sdwa s[8:9], v16, v12 src0_sel:BYTE_0 src1_sel:DWORD
	s_andn2_b64 s[4:5], s[4:5], exec
	s_and_b64 s[8:9], s[8:9], exec
	s_or_b64 s[4:5], s[4:5], s[8:9]
	s_or_b64 exec, exec, s[6:7]
	s_and_saveexec_b64 s[6:7], s[4:5]
	s_cbranch_execz .LBB1_8277
; %bb.12453:
	s_getpc_b64 s[14:15]
.Lpost_getpc2130:
	s_add_u32 s14, s14, (.LBB1_171-.Lpost_getpc2130)&4294967295
	s_addc_u32 s15, s15, (.LBB1_171-.Lpost_getpc2130)>>32
	s_setpc_b64 s[14:15]
.LBB1_8277:
	s_getpc_b64 s[14:15]
.Lpost_getpc42:
	s_add_u32 s14, s14, (.LBB1_172-.Lpost_getpc42)&4294967295
	s_addc_u32 s15, s15, (.LBB1_172-.Lpost_getpc42)>>32
	s_setpc_b64 s[14:15]
.LBB1_4269:
	s_movk_i32 s4, 0x80
	v_cmp_eq_u16_sdwa s[12:13], v16, s4 src0_sel:BYTE_0 src1_sel:DWORD
	s_mov_b64 s[4:5], -1
                                        ; implicit-def: $sgpr10
	s_and_saveexec_b64 s[8:9], s[12:13]
; %bb.4270:
	s_mov_b32 s10, 0x7f800001
	s_xor_b64 s[4:5], exec, -1
; %bb.4271:
	s_or_b64 exec, exec, s[8:9]
	s_and_b64 s[4:5], s[4:5], exec
	s_or_saveexec_b64 s[6:7], s[6:7]
	v_mov_b32_e32 v21, s10
	s_xor_b64 exec, exec, s[6:7]
	s_cbranch_execnz .LBB1_4272
; %bb.12455:
	s_getpc_b64 s[14:15]
.Lpost_getpc2131:
	s_add_u32 s14, s14, (.LBB1_174-.Lpost_getpc2131)&4294967295
	s_addc_u32 s15, s15, (.LBB1_174-.Lpost_getpc2131)>>32
	s_setpc_b64 s[14:15]
.LBB1_4272:
	v_mov_b32_e32 v21, 0
	v_cmp_ne_u16_sdwa s[8:9], v16, v21 src0_sel:BYTE_0 src1_sel:DWORD
	s_andn2_b64 s[4:5], s[4:5], exec
	s_and_b64 s[8:9], s[8:9], exec
	s_or_b64 s[4:5], s[4:5], s[8:9]
	s_or_b64 exec, exec, s[6:7]
	s_and_saveexec_b64 s[6:7], s[4:5]
	s_cbranch_execz .LBB1_8279
; %bb.12457:
	s_getpc_b64 s[14:15]
.Lpost_getpc2132:
	s_add_u32 s14, s14, (.LBB1_175-.Lpost_getpc2132)&4294967295
	s_addc_u32 s15, s15, (.LBB1_175-.Lpost_getpc2132)>>32
	s_setpc_b64 s[14:15]
.LBB1_8279:
	s_getpc_b64 s[14:15]
.Lpost_getpc43:
	s_add_u32 s14, s14, (.LBB1_176-.Lpost_getpc43)&4294967295
	s_addc_u32 s15, s15, (.LBB1_176-.Lpost_getpc43)>>32
	s_setpc_b64 s[14:15]
.LBB1_4273:
	s_movk_i32 s4, 0x80
	v_cmp_eq_u16_e32 vcc, s4, v16
	s_mov_b64 s[4:5], -1
                                        ; implicit-def: $sgpr10
	s_and_saveexec_b64 s[8:9], vcc
; %bb.4274:
	s_mov_b32 s10, 0x7f800001
	s_xor_b64 s[4:5], exec, -1
; %bb.4275:
	s_or_b64 exec, exec, s[8:9]
	s_and_b64 s[4:5], s[4:5], exec
                                        ; implicit-def: $vgpr16
	s_or_saveexec_b64 s[6:7], s[6:7]
	v_mov_b32_e32 v12, s10
	s_xor_b64 exec, exec, s[6:7]
	s_cbranch_execnz .LBB1_4276
; %bb.12459:
	s_getpc_b64 s[14:15]
.Lpost_getpc2133:
	s_add_u32 s14, s14, (.LBB1_178-.Lpost_getpc2133)&4294967295
	s_addc_u32 s15, s15, (.LBB1_178-.Lpost_getpc2133)>>32
	s_setpc_b64 s[14:15]
.LBB1_4276:
	v_cmp_ne_u16_e32 vcc, 0, v16
	s_andn2_b64 s[4:5], s[4:5], exec
	s_and_b64 s[8:9], vcc, exec
	v_mov_b32_e32 v12, 0
	s_or_b64 s[4:5], s[4:5], s[8:9]
	s_or_b64 exec, exec, s[6:7]
	s_and_saveexec_b64 s[6:7], s[4:5]
	s_cbranch_execz .LBB1_8281
; %bb.12461:
	s_getpc_b64 s[14:15]
.Lpost_getpc2134:
	s_add_u32 s14, s14, (.LBB1_179-.Lpost_getpc2134)&4294967295
	s_addc_u32 s15, s15, (.LBB1_179-.Lpost_getpc2134)>>32
	s_setpc_b64 s[14:15]
.LBB1_8281:
	s_getpc_b64 s[14:15]
.Lpost_getpc44:
	s_add_u32 s14, s14, (.LBB1_180-.Lpost_getpc44)&4294967295
	s_addc_u32 s15, s15, (.LBB1_180-.Lpost_getpc44)>>32
	s_setpc_b64 s[14:15]
.LBB1_4277:
	s_movk_i32 s4, 0x80
	v_cmp_eq_u16_e32 vcc, s4, v16
	s_mov_b64 s[4:5], -1
                                        ; implicit-def: $sgpr10
	s_and_saveexec_b64 s[8:9], vcc
; %bb.4278:
	s_mov_b32 s10, 0x7f800001
	s_xor_b64 s[4:5], exec, -1
; %bb.4279:
	s_or_b64 exec, exec, s[8:9]
	s_and_b64 s[4:5], s[4:5], exec
                                        ; implicit-def: $vgpr16
	s_or_saveexec_b64 s[6:7], s[6:7]
	v_mov_b32_e32 v21, s10
	s_xor_b64 exec, exec, s[6:7]
	s_cbranch_execnz .LBB1_4280
; %bb.12463:
	s_getpc_b64 s[14:15]
.Lpost_getpc2135:
	s_add_u32 s14, s14, (.LBB1_182-.Lpost_getpc2135)&4294967295
	s_addc_u32 s15, s15, (.LBB1_182-.Lpost_getpc2135)>>32
	s_setpc_b64 s[14:15]
.LBB1_4280:
	v_cmp_ne_u16_e32 vcc, 0, v16
	s_andn2_b64 s[4:5], s[4:5], exec
	s_and_b64 s[8:9], vcc, exec
	v_mov_b32_e32 v21, 0
	s_or_b64 s[4:5], s[4:5], s[8:9]
	s_or_b64 exec, exec, s[6:7]
	s_and_saveexec_b64 s[6:7], s[4:5]
	s_cbranch_execz .LBB1_8283
; %bb.12465:
	s_getpc_b64 s[14:15]
.Lpost_getpc2136:
	s_add_u32 s14, s14, (.LBB1_183-.Lpost_getpc2136)&4294967295
	s_addc_u32 s15, s15, (.LBB1_183-.Lpost_getpc2136)>>32
	s_setpc_b64 s[14:15]
.LBB1_8283:
	s_getpc_b64 s[14:15]
.Lpost_getpc45:
	s_add_u32 s14, s14, (.LBB1_184-.Lpost_getpc45)&4294967295
	s_addc_u32 s15, s15, (.LBB1_184-.Lpost_getpc45)>>32
	s_setpc_b64 s[14:15]
.LBB1_4281:
	s_movk_i32 s4, 0x80
	v_cmp_eq_u16_sdwa s[12:13], v17, s4 src0_sel:BYTE_3 src1_sel:DWORD
	s_mov_b64 s[4:5], -1
                                        ; implicit-def: $sgpr10
	s_and_saveexec_b64 s[8:9], s[12:13]
; %bb.4282:
	s_mov_b32 s10, 0x7f800001
	s_xor_b64 s[4:5], exec, -1
; %bb.4283:
	s_or_b64 exec, exec, s[8:9]
	s_and_b64 s[4:5], s[4:5], exec
	s_or_saveexec_b64 s[6:7], s[6:7]
	v_mov_b32_e32 v12, s10
	s_xor_b64 exec, exec, s[6:7]
	s_cbranch_execnz .LBB1_4284
; %bb.12467:
	s_getpc_b64 s[14:15]
.Lpost_getpc2137:
	s_add_u32 s14, s14, (.LBB1_186-.Lpost_getpc2137)&4294967295
	s_addc_u32 s15, s15, (.LBB1_186-.Lpost_getpc2137)>>32
	s_setpc_b64 s[14:15]
.LBB1_4284:
	v_mov_b32_e32 v12, 0
	v_cmp_ne_u16_sdwa s[8:9], v17, v12 src0_sel:BYTE_3 src1_sel:DWORD
	s_andn2_b64 s[4:5], s[4:5], exec
	s_and_b64 s[8:9], s[8:9], exec
	s_or_b64 s[4:5], s[4:5], s[8:9]
	s_or_b64 exec, exec, s[6:7]
	s_and_saveexec_b64 s[6:7], s[4:5]
	s_cbranch_execz .LBB1_8285
; %bb.12469:
	s_getpc_b64 s[14:15]
.Lpost_getpc2138:
	s_add_u32 s14, s14, (.LBB1_187-.Lpost_getpc2138)&4294967295
	s_addc_u32 s15, s15, (.LBB1_187-.Lpost_getpc2138)>>32
	s_setpc_b64 s[14:15]
.LBB1_8285:
	s_getpc_b64 s[14:15]
.Lpost_getpc46:
	s_add_u32 s14, s14, (.LBB1_188-.Lpost_getpc46)&4294967295
	s_addc_u32 s15, s15, (.LBB1_188-.Lpost_getpc46)>>32
	s_setpc_b64 s[14:15]
.LBB1_4285:
	s_movk_i32 s4, 0x80
	v_cmp_eq_u16_sdwa s[12:13], v13, s4 src0_sel:BYTE_3 src1_sel:DWORD
	s_mov_b64 s[4:5], -1
                                        ; implicit-def: $sgpr10
	s_and_saveexec_b64 s[8:9], s[12:13]
; %bb.4286:
	s_mov_b32 s10, 0x7f800001
	s_xor_b64 s[4:5], exec, -1
; %bb.4287:
	s_or_b64 exec, exec, s[8:9]
	s_and_b64 s[4:5], s[4:5], exec
	s_or_saveexec_b64 s[6:7], s[6:7]
	v_mov_b32_e32 v16, s10
	s_xor_b64 exec, exec, s[6:7]
	s_cbranch_execnz .LBB1_4288
; %bb.12471:
	s_getpc_b64 s[14:15]
.Lpost_getpc2139:
	s_add_u32 s14, s14, (.LBB1_190-.Lpost_getpc2139)&4294967295
	s_addc_u32 s15, s15, (.LBB1_190-.Lpost_getpc2139)>>32
	s_setpc_b64 s[14:15]
.LBB1_4288:
	v_mov_b32_e32 v16, 0
	v_cmp_ne_u16_sdwa s[8:9], v13, v16 src0_sel:BYTE_3 src1_sel:DWORD
	s_andn2_b64 s[4:5], s[4:5], exec
	s_and_b64 s[8:9], s[8:9], exec
	s_or_b64 s[4:5], s[4:5], s[8:9]
	s_or_b64 exec, exec, s[6:7]
	s_and_saveexec_b64 s[6:7], s[4:5]
	s_cbranch_execz .LBB1_8287
; %bb.12473:
	s_getpc_b64 s[14:15]
.Lpost_getpc2140:
	s_add_u32 s14, s14, (.LBB1_191-.Lpost_getpc2140)&4294967295
	s_addc_u32 s15, s15, (.LBB1_191-.Lpost_getpc2140)>>32
	s_setpc_b64 s[14:15]
.LBB1_8287:
	s_getpc_b64 s[14:15]
.Lpost_getpc47:
	s_add_u32 s14, s14, (.LBB1_192-.Lpost_getpc47)&4294967295
	s_addc_u32 s15, s15, (.LBB1_192-.Lpost_getpc47)>>32
	s_setpc_b64 s[14:15]
.LBB1_4289:
	s_movk_i32 s4, 0x80
	v_cmp_eq_u16_sdwa s[12:13], v18, s4 src0_sel:BYTE_0 src1_sel:DWORD
	s_mov_b64 s[4:5], -1
                                        ; implicit-def: $sgpr10
	s_and_saveexec_b64 s[8:9], s[12:13]
; %bb.4290:
	s_mov_b32 s10, 0x7f800001
	s_xor_b64 s[4:5], exec, -1
; %bb.4291:
	s_or_b64 exec, exec, s[8:9]
	s_and_b64 s[4:5], s[4:5], exec
	s_or_saveexec_b64 s[6:7], s[6:7]
	v_mov_b32_e32 v13, s10
	s_xor_b64 exec, exec, s[6:7]
	s_cbranch_execnz .LBB1_4292
; %bb.12475:
	s_getpc_b64 s[14:15]
.Lpost_getpc2141:
	s_add_u32 s14, s14, (.LBB1_194-.Lpost_getpc2141)&4294967295
	s_addc_u32 s15, s15, (.LBB1_194-.Lpost_getpc2141)>>32
	s_setpc_b64 s[14:15]
.LBB1_4292:
	v_mov_b32_e32 v13, 0
	v_cmp_ne_u16_sdwa s[8:9], v18, v13 src0_sel:BYTE_0 src1_sel:DWORD
	s_andn2_b64 s[4:5], s[4:5], exec
	s_and_b64 s[8:9], s[8:9], exec
	s_or_b64 s[4:5], s[4:5], s[8:9]
	s_or_b64 exec, exec, s[6:7]
	s_and_saveexec_b64 s[6:7], s[4:5]
	s_cbranch_execz .LBB1_8289
; %bb.12477:
	s_getpc_b64 s[14:15]
.Lpost_getpc2142:
	s_add_u32 s14, s14, (.LBB1_195-.Lpost_getpc2142)&4294967295
	s_addc_u32 s15, s15, (.LBB1_195-.Lpost_getpc2142)>>32
	s_setpc_b64 s[14:15]
.LBB1_8289:
	s_getpc_b64 s[14:15]
.Lpost_getpc48:
	s_add_u32 s14, s14, (.LBB1_196-.Lpost_getpc48)&4294967295
	s_addc_u32 s15, s15, (.LBB1_196-.Lpost_getpc48)>>32
	s_setpc_b64 s[14:15]
.LBB1_4293:
	s_movk_i32 s4, 0x80
	v_cmp_eq_u16_sdwa s[12:13], v16, s4 src0_sel:BYTE_0 src1_sel:DWORD
	s_mov_b64 s[4:5], -1
                                        ; implicit-def: $sgpr10
	s_and_saveexec_b64 s[8:9], s[12:13]
; %bb.4294:
	s_mov_b32 s10, 0x7f800001
	s_xor_b64 s[4:5], exec, -1
; %bb.4295:
	s_or_b64 exec, exec, s[8:9]
	s_and_b64 s[4:5], s[4:5], exec
	s_or_saveexec_b64 s[6:7], s[6:7]
	v_mov_b32_e32 v14, s10
	s_xor_b64 exec, exec, s[6:7]
	s_cbranch_execnz .LBB1_4296
; %bb.12479:
	s_getpc_b64 s[14:15]
.Lpost_getpc2143:
	s_add_u32 s14, s14, (.LBB1_198-.Lpost_getpc2143)&4294967295
	s_addc_u32 s15, s15, (.LBB1_198-.Lpost_getpc2143)>>32
	s_setpc_b64 s[14:15]
.LBB1_4296:
	v_mov_b32_e32 v14, 0
	v_cmp_ne_u16_sdwa s[8:9], v16, v14 src0_sel:BYTE_0 src1_sel:DWORD
	s_andn2_b64 s[4:5], s[4:5], exec
	s_and_b64 s[8:9], s[8:9], exec
	s_or_b64 s[4:5], s[4:5], s[8:9]
	s_or_b64 exec, exec, s[6:7]
	v_or_b32_sdwa v12, v16, v12 dst_sel:DWORD dst_unused:UNUSED_PAD src0_sel:WORD_0 src1_sel:DWORD
	s_and_saveexec_b64 s[6:7], s[4:5]
	s_cbranch_execz .LBB1_8291
; %bb.12481:
	s_getpc_b64 s[14:15]
.Lpost_getpc2144:
	s_add_u32 s14, s14, (.LBB1_199-.Lpost_getpc2144)&4294967295
	s_addc_u32 s15, s15, (.LBB1_199-.Lpost_getpc2144)>>32
	s_setpc_b64 s[14:15]
.LBB1_8291:
	s_getpc_b64 s[14:15]
.Lpost_getpc49:
	s_add_u32 s14, s14, (.LBB1_200-.Lpost_getpc49)&4294967295
	s_addc_u32 s15, s15, (.LBB1_200-.Lpost_getpc49)>>32
	s_setpc_b64 s[14:15]
.LBB1_4297:
	s_movk_i32 s4, 0x80
	v_cmp_eq_u16_sdwa s[12:13], v14, s4 src0_sel:BYTE_0 src1_sel:DWORD
	s_mov_b64 s[4:5], -1
                                        ; implicit-def: $sgpr10
	s_and_saveexec_b64 s[8:9], s[12:13]
; %bb.4298:
	s_mov_b32 s10, 0x7f800001
	s_xor_b64 s[4:5], exec, -1
; %bb.4299:
	s_or_b64 exec, exec, s[8:9]
	s_and_b64 s[4:5], s[4:5], exec
	s_or_saveexec_b64 s[6:7], s[6:7]
	v_mov_b32_e32 v13, s10
	s_xor_b64 exec, exec, s[6:7]
	s_cbranch_execnz .LBB1_4300
; %bb.12483:
	s_getpc_b64 s[14:15]
.Lpost_getpc2145:
	s_add_u32 s14, s14, (.LBB1_202-.Lpost_getpc2145)&4294967295
	s_addc_u32 s15, s15, (.LBB1_202-.Lpost_getpc2145)>>32
	s_setpc_b64 s[14:15]
.LBB1_4300:
	v_mov_b32_e32 v13, 0
	v_cmp_ne_u16_sdwa s[8:9], v14, v13 src0_sel:BYTE_0 src1_sel:DWORD
	s_andn2_b64 s[4:5], s[4:5], exec
	s_and_b64 s[8:9], s[8:9], exec
	s_or_b64 s[4:5], s[4:5], s[8:9]
	s_or_b64 exec, exec, s[6:7]
	s_and_saveexec_b64 s[6:7], s[4:5]
	s_cbranch_execz .LBB1_8293
; %bb.12485:
	s_getpc_b64 s[14:15]
.Lpost_getpc2146:
	s_add_u32 s14, s14, (.LBB1_203-.Lpost_getpc2146)&4294967295
	s_addc_u32 s15, s15, (.LBB1_203-.Lpost_getpc2146)>>32
	s_setpc_b64 s[14:15]
.LBB1_8293:
	s_getpc_b64 s[14:15]
.Lpost_getpc50:
	s_add_u32 s14, s14, (.LBB1_204-.Lpost_getpc50)&4294967295
	s_addc_u32 s15, s15, (.LBB1_204-.Lpost_getpc50)>>32
	s_setpc_b64 s[14:15]
.LBB1_4301:
	s_movk_i32 s4, 0x80
	v_cmp_eq_u16_sdwa s[12:13], v14, s4 src0_sel:BYTE_0 src1_sel:DWORD
	s_mov_b64 s[4:5], -1
                                        ; implicit-def: $sgpr10
	s_and_saveexec_b64 s[8:9], s[12:13]
; %bb.4302:
	s_mov_b32 s10, 0x7f800001
	s_xor_b64 s[4:5], exec, -1
; %bb.4303:
	s_or_b64 exec, exec, s[8:9]
	s_and_b64 s[4:5], s[4:5], exec
	s_or_saveexec_b64 s[6:7], s[6:7]
	v_mov_b32_e32 v16, s10
	s_xor_b64 exec, exec, s[6:7]
	s_cbranch_execnz .LBB1_4304
; %bb.12487:
	s_getpc_b64 s[14:15]
.Lpost_getpc2147:
	s_add_u32 s14, s14, (.LBB1_206-.Lpost_getpc2147)&4294967295
	s_addc_u32 s15, s15, (.LBB1_206-.Lpost_getpc2147)>>32
	s_setpc_b64 s[14:15]
.LBB1_4304:
	v_mov_b32_e32 v16, 0
	v_cmp_ne_u16_sdwa s[8:9], v14, v16 src0_sel:BYTE_0 src1_sel:DWORD
	s_andn2_b64 s[4:5], s[4:5], exec
	s_and_b64 s[8:9], s[8:9], exec
	s_or_b64 s[4:5], s[4:5], s[8:9]
	s_or_b64 exec, exec, s[6:7]
	s_and_saveexec_b64 s[6:7], s[4:5]
	s_cbranch_execz .LBB1_8295
; %bb.12489:
	s_getpc_b64 s[14:15]
.Lpost_getpc2148:
	s_add_u32 s14, s14, (.LBB1_207-.Lpost_getpc2148)&4294967295
	s_addc_u32 s15, s15, (.LBB1_207-.Lpost_getpc2148)>>32
	s_setpc_b64 s[14:15]
.LBB1_8295:
	s_getpc_b64 s[14:15]
.Lpost_getpc51:
	s_add_u32 s14, s14, (.LBB1_208-.Lpost_getpc51)&4294967295
	s_addc_u32 s15, s15, (.LBB1_208-.Lpost_getpc51)>>32
	s_setpc_b64 s[14:15]
.LBB1_4305:
	s_movk_i32 s4, 0x80
	v_cmp_eq_u16_e32 vcc, s4, v14
	s_mov_b64 s[4:5], -1
                                        ; implicit-def: $sgpr10
	s_and_saveexec_b64 s[8:9], vcc
; %bb.4306:
	s_mov_b32 s10, 0x7f800001
	s_xor_b64 s[4:5], exec, -1
; %bb.4307:
	s_or_b64 exec, exec, s[8:9]
	s_and_b64 s[4:5], s[4:5], exec
                                        ; implicit-def: $vgpr14
	s_or_saveexec_b64 s[6:7], s[6:7]
	v_mov_b32_e32 v13, s10
	s_xor_b64 exec, exec, s[6:7]
	s_cbranch_execnz .LBB1_4308
; %bb.12491:
	s_getpc_b64 s[14:15]
.Lpost_getpc2149:
	s_add_u32 s14, s14, (.LBB1_210-.Lpost_getpc2149)&4294967295
	s_addc_u32 s15, s15, (.LBB1_210-.Lpost_getpc2149)>>32
	s_setpc_b64 s[14:15]
.LBB1_4308:
	v_cmp_ne_u16_e32 vcc, 0, v14
	s_andn2_b64 s[4:5], s[4:5], exec
	s_and_b64 s[8:9], vcc, exec
	v_mov_b32_e32 v13, 0
	s_or_b64 s[4:5], s[4:5], s[8:9]
	s_or_b64 exec, exec, s[6:7]
	s_and_saveexec_b64 s[6:7], s[4:5]
	s_cbranch_execz .LBB1_8297
; %bb.12493:
	s_getpc_b64 s[14:15]
.Lpost_getpc2150:
	s_add_u32 s14, s14, (.LBB1_211-.Lpost_getpc2150)&4294967295
	s_addc_u32 s15, s15, (.LBB1_211-.Lpost_getpc2150)>>32
	s_setpc_b64 s[14:15]
.LBB1_8297:
	s_getpc_b64 s[14:15]
.Lpost_getpc52:
	s_add_u32 s14, s14, (.LBB1_212-.Lpost_getpc52)&4294967295
	s_addc_u32 s15, s15, (.LBB1_212-.Lpost_getpc52)>>32
	s_setpc_b64 s[14:15]
.LBB1_4309:
	s_movk_i32 s4, 0x80
	v_cmp_eq_u16_e32 vcc, s4, v14
	s_mov_b64 s[4:5], -1
                                        ; implicit-def: $sgpr10
	s_and_saveexec_b64 s[8:9], vcc
; %bb.4310:
	s_mov_b32 s10, 0x7f800001
	s_xor_b64 s[4:5], exec, -1
; %bb.4311:
	s_or_b64 exec, exec, s[8:9]
	s_and_b64 s[4:5], s[4:5], exec
                                        ; implicit-def: $vgpr14
	s_or_saveexec_b64 s[6:7], s[6:7]
	v_mov_b32_e32 v16, s10
	s_xor_b64 exec, exec, s[6:7]
	s_cbranch_execnz .LBB1_4312
; %bb.12495:
	s_getpc_b64 s[14:15]
.Lpost_getpc2151:
	s_add_u32 s14, s14, (.LBB1_214-.Lpost_getpc2151)&4294967295
	s_addc_u32 s15, s15, (.LBB1_214-.Lpost_getpc2151)>>32
	s_setpc_b64 s[14:15]
.LBB1_4312:
	v_cmp_ne_u16_e32 vcc, 0, v14
	s_andn2_b64 s[4:5], s[4:5], exec
	s_and_b64 s[8:9], vcc, exec
	v_mov_b32_e32 v16, 0
	s_or_b64 s[4:5], s[4:5], s[8:9]
	s_or_b64 exec, exec, s[6:7]
	s_and_saveexec_b64 s[6:7], s[4:5]
	s_cbranch_execz .LBB1_8299
; %bb.12497:
	s_getpc_b64 s[14:15]
.Lpost_getpc2152:
	s_add_u32 s14, s14, (.LBB1_215-.Lpost_getpc2152)&4294967295
	s_addc_u32 s15, s15, (.LBB1_215-.Lpost_getpc2152)>>32
	s_setpc_b64 s[14:15]
.LBB1_8299:
	s_getpc_b64 s[14:15]
.Lpost_getpc53:
	s_add_u32 s14, s14, (.LBB1_216-.Lpost_getpc53)&4294967295
	s_addc_u32 s15, s15, (.LBB1_216-.Lpost_getpc53)>>32
	s_setpc_b64 s[14:15]
.LBB1_4313:
	s_movk_i32 s4, 0x80
	v_cmp_eq_u16_sdwa s[12:13], v18, s4 src0_sel:BYTE_3 src1_sel:DWORD
	s_mov_b64 s[4:5], -1
                                        ; implicit-def: $sgpr10
	s_and_saveexec_b64 s[8:9], s[12:13]
; %bb.4314:
	s_mov_b32 s10, 0x7f800001
	s_xor_b64 s[4:5], exec, -1
; %bb.4315:
	s_or_b64 exec, exec, s[8:9]
	s_and_b64 s[4:5], s[4:5], exec
	s_or_saveexec_b64 s[6:7], s[6:7]
	v_mov_b32_e32 v13, s10
	s_xor_b64 exec, exec, s[6:7]
	s_cbranch_execnz .LBB1_4316
; %bb.12499:
	s_getpc_b64 s[14:15]
.Lpost_getpc2153:
	s_add_u32 s14, s14, (.LBB1_218-.Lpost_getpc2153)&4294967295
	s_addc_u32 s15, s15, (.LBB1_218-.Lpost_getpc2153)>>32
	s_setpc_b64 s[14:15]
.LBB1_4316:
	v_mov_b32_e32 v13, 0
	v_cmp_ne_u16_sdwa s[8:9], v18, v13 src0_sel:BYTE_3 src1_sel:DWORD
	s_andn2_b64 s[4:5], s[4:5], exec
	s_and_b64 s[8:9], s[8:9], exec
	s_or_b64 s[4:5], s[4:5], s[8:9]
	s_or_b64 exec, exec, s[6:7]
	s_and_saveexec_b64 s[6:7], s[4:5]
	s_cbranch_execz .LBB1_8301
; %bb.12501:
	s_getpc_b64 s[14:15]
.Lpost_getpc2154:
	s_add_u32 s14, s14, (.LBB1_219-.Lpost_getpc2154)&4294967295
	s_addc_u32 s15, s15, (.LBB1_219-.Lpost_getpc2154)>>32
	s_setpc_b64 s[14:15]
.LBB1_8301:
	s_getpc_b64 s[14:15]
.Lpost_getpc54:
	s_add_u32 s14, s14, (.LBB1_220-.Lpost_getpc54)&4294967295
	s_addc_u32 s15, s15, (.LBB1_220-.Lpost_getpc54)>>32
	s_setpc_b64 s[14:15]
.LBB1_4317:
	s_movk_i32 s4, 0x80
	v_cmp_eq_u16_sdwa s[12:13], v12, s4 src0_sel:BYTE_3 src1_sel:DWORD
	s_mov_b64 s[4:5], -1
                                        ; implicit-def: $sgpr10
	s_and_saveexec_b64 s[8:9], s[12:13]
; %bb.4318:
	s_mov_b32 s10, 0x7f800001
	s_xor_b64 s[4:5], exec, -1
; %bb.4319:
	s_or_b64 exec, exec, s[8:9]
	s_and_b64 s[4:5], s[4:5], exec
	s_or_saveexec_b64 s[6:7], s[6:7]
	v_mov_b32_e32 v14, s10
	s_xor_b64 exec, exec, s[6:7]
	s_cbranch_execnz .LBB1_4320
; %bb.12503:
	s_getpc_b64 s[14:15]
.Lpost_getpc2155:
	s_add_u32 s14, s14, (.LBB1_222-.Lpost_getpc2155)&4294967295
	s_addc_u32 s15, s15, (.LBB1_222-.Lpost_getpc2155)>>32
	s_setpc_b64 s[14:15]
.LBB1_4320:
	v_mov_b32_e32 v14, 0
	v_cmp_ne_u16_sdwa s[8:9], v12, v14 src0_sel:BYTE_3 src1_sel:DWORD
	s_andn2_b64 s[4:5], s[4:5], exec
	s_and_b64 s[8:9], s[8:9], exec
	s_or_b64 s[4:5], s[4:5], s[8:9]
	s_or_b64 exec, exec, s[6:7]
	s_and_saveexec_b64 s[6:7], s[4:5]
	s_cbranch_execz .LBB1_8303
; %bb.12505:
	s_getpc_b64 s[14:15]
.Lpost_getpc2156:
	s_add_u32 s14, s14, (.LBB1_223-.Lpost_getpc2156)&4294967295
	s_addc_u32 s15, s15, (.LBB1_223-.Lpost_getpc2156)>>32
	s_setpc_b64 s[14:15]
.LBB1_8303:
	s_getpc_b64 s[14:15]
.Lpost_getpc55:
	s_add_u32 s14, s14, (.LBB1_224-.Lpost_getpc55)&4294967295
	s_addc_u32 s15, s15, (.LBB1_224-.Lpost_getpc55)>>32
	s_setpc_b64 s[14:15]
.LBB1_4321:
	s_movk_i32 s4, 0x80
	v_cmp_eq_u16_sdwa s[12:13], v19, s4 src0_sel:BYTE_0 src1_sel:DWORD
	s_mov_b64 s[4:5], -1
                                        ; implicit-def: $sgpr10
	s_and_saveexec_b64 s[8:9], s[12:13]
; %bb.4322:
	s_mov_b32 s10, 0x7f800001
	s_xor_b64 s[4:5], exec, -1
; %bb.4323:
	s_or_b64 exec, exec, s[8:9]
	s_and_b64 s[4:5], s[4:5], exec
	s_or_saveexec_b64 s[6:7], s[6:7]
	v_mov_b32_e32 v12, s10
	s_xor_b64 exec, exec, s[6:7]
	s_cbranch_execnz .LBB1_4324
; %bb.12507:
	s_getpc_b64 s[14:15]
.Lpost_getpc2157:
	s_add_u32 s14, s14, (.LBB1_226-.Lpost_getpc2157)&4294967295
	s_addc_u32 s15, s15, (.LBB1_226-.Lpost_getpc2157)>>32
	s_setpc_b64 s[14:15]
.LBB1_4324:
	v_mov_b32_e32 v12, 0
	v_cmp_ne_u16_sdwa s[8:9], v19, v12 src0_sel:BYTE_0 src1_sel:DWORD
	s_andn2_b64 s[4:5], s[4:5], exec
	s_and_b64 s[8:9], s[8:9], exec
	s_or_b64 s[4:5], s[4:5], s[8:9]
	s_or_b64 exec, exec, s[6:7]
	s_and_saveexec_b64 s[6:7], s[4:5]
	s_cbranch_execz .LBB1_8305
; %bb.12509:
	s_getpc_b64 s[14:15]
.Lpost_getpc2158:
	s_add_u32 s14, s14, (.LBB1_227-.Lpost_getpc2158)&4294967295
	s_addc_u32 s15, s15, (.LBB1_227-.Lpost_getpc2158)>>32
	s_setpc_b64 s[14:15]
.LBB1_8305:
	s_getpc_b64 s[14:15]
.Lpost_getpc56:
	s_add_u32 s14, s14, (.LBB1_228-.Lpost_getpc56)&4294967295
	s_addc_u32 s15, s15, (.LBB1_228-.Lpost_getpc56)>>32
	s_setpc_b64 s[14:15]
.LBB1_4325:
	s_movk_i32 s4, 0x80
	v_cmp_eq_u16_sdwa s[12:13], v15, s4 src0_sel:BYTE_0 src1_sel:DWORD
	s_mov_b64 s[4:5], -1
                                        ; implicit-def: $sgpr10
	s_and_saveexec_b64 s[8:9], s[12:13]
; %bb.4326:
	s_mov_b32 s10, 0x7f800001
	s_xor_b64 s[4:5], exec, -1
; %bb.4327:
	s_or_b64 exec, exec, s[8:9]
	s_and_b64 s[4:5], s[4:5], exec
	s_or_saveexec_b64 s[6:7], s[6:7]
	v_mov_b32_e32 v13, s10
	s_xor_b64 exec, exec, s[6:7]
	s_cbranch_execnz .LBB1_4328
; %bb.12511:
	s_getpc_b64 s[14:15]
.Lpost_getpc2159:
	s_add_u32 s14, s14, (.LBB1_230-.Lpost_getpc2159)&4294967295
	s_addc_u32 s15, s15, (.LBB1_230-.Lpost_getpc2159)>>32
	s_setpc_b64 s[14:15]
.LBB1_4328:
	v_mov_b32_e32 v13, 0
	v_cmp_ne_u16_sdwa s[8:9], v15, v13 src0_sel:BYTE_0 src1_sel:DWORD
	s_andn2_b64 s[4:5], s[4:5], exec
	s_and_b64 s[8:9], s[8:9], exec
	s_or_b64 s[4:5], s[4:5], s[8:9]
	s_or_b64 exec, exec, s[6:7]
	s_and_saveexec_b64 s[6:7], s[4:5]
	s_cbranch_execz .LBB1_8307
; %bb.12513:
	s_getpc_b64 s[14:15]
.Lpost_getpc2160:
	s_add_u32 s14, s14, (.LBB1_231-.Lpost_getpc2160)&4294967295
	s_addc_u32 s15, s15, (.LBB1_231-.Lpost_getpc2160)>>32
	s_setpc_b64 s[14:15]
.LBB1_8307:
	s_getpc_b64 s[14:15]
.Lpost_getpc57:
	s_add_u32 s14, s14, (.LBB1_232-.Lpost_getpc57)&4294967295
	s_addc_u32 s15, s15, (.LBB1_232-.Lpost_getpc57)>>32
	s_setpc_b64 s[14:15]
.LBB1_4329:
	s_movk_i32 s4, 0x80
	v_cmp_eq_u16_sdwa s[12:13], v13, s4 src0_sel:BYTE_0 src1_sel:DWORD
	s_mov_b64 s[4:5], -1
                                        ; implicit-def: $sgpr10
	s_and_saveexec_b64 s[8:9], s[12:13]
; %bb.4330:
	s_mov_b32 s10, 0x7f800001
	s_xor_b64 s[4:5], exec, -1
; %bb.4331:
	s_or_b64 exec, exec, s[8:9]
	s_and_b64 s[4:5], s[4:5], exec
	s_or_saveexec_b64 s[6:7], s[6:7]
	v_mov_b32_e32 v12, s10
	s_xor_b64 exec, exec, s[6:7]
	s_cbranch_execnz .LBB1_4332
; %bb.12515:
	s_getpc_b64 s[14:15]
.Lpost_getpc2161:
	s_add_u32 s14, s14, (.LBB1_234-.Lpost_getpc2161)&4294967295
	s_addc_u32 s15, s15, (.LBB1_234-.Lpost_getpc2161)>>32
	s_setpc_b64 s[14:15]
.LBB1_4332:
	v_mov_b32_e32 v12, 0
	v_cmp_ne_u16_sdwa s[8:9], v13, v12 src0_sel:BYTE_0 src1_sel:DWORD
	s_andn2_b64 s[4:5], s[4:5], exec
	s_and_b64 s[8:9], s[8:9], exec
	s_or_b64 s[4:5], s[4:5], s[8:9]
	s_or_b64 exec, exec, s[6:7]
	s_and_saveexec_b64 s[6:7], s[4:5]
	s_cbranch_execz .LBB1_8309
; %bb.12517:
	s_getpc_b64 s[14:15]
.Lpost_getpc2162:
	s_add_u32 s14, s14, (.LBB1_235-.Lpost_getpc2162)&4294967295
	s_addc_u32 s15, s15, (.LBB1_235-.Lpost_getpc2162)>>32
	s_setpc_b64 s[14:15]
.LBB1_8309:
	s_getpc_b64 s[14:15]
.Lpost_getpc58:
	s_add_u32 s14, s14, (.LBB1_236-.Lpost_getpc58)&4294967295
	s_addc_u32 s15, s15, (.LBB1_236-.Lpost_getpc58)>>32
	s_setpc_b64 s[14:15]
.LBB1_4333:
	s_movk_i32 s4, 0x80
	v_cmp_eq_u16_sdwa s[12:13], v13, s4 src0_sel:BYTE_0 src1_sel:DWORD
	s_mov_b64 s[4:5], -1
                                        ; implicit-def: $sgpr10
	s_and_saveexec_b64 s[8:9], s[12:13]
; %bb.4334:
	s_mov_b32 s10, 0x7f800001
	s_xor_b64 s[4:5], exec, -1
; %bb.4335:
	s_or_b64 exec, exec, s[8:9]
	s_and_b64 s[4:5], s[4:5], exec
	s_or_saveexec_b64 s[6:7], s[6:7]
	v_mov_b32_e32 v14, s10
	s_xor_b64 exec, exec, s[6:7]
	s_cbranch_execnz .LBB1_4336
; %bb.12519:
	s_getpc_b64 s[14:15]
.Lpost_getpc2163:
	s_add_u32 s14, s14, (.LBB1_238-.Lpost_getpc2163)&4294967295
	s_addc_u32 s15, s15, (.LBB1_238-.Lpost_getpc2163)>>32
	s_setpc_b64 s[14:15]
.LBB1_4336:
	v_mov_b32_e32 v14, 0
	v_cmp_ne_u16_sdwa s[8:9], v13, v14 src0_sel:BYTE_0 src1_sel:DWORD
	s_andn2_b64 s[4:5], s[4:5], exec
	s_and_b64 s[8:9], s[8:9], exec
	s_or_b64 s[4:5], s[4:5], s[8:9]
	s_or_b64 exec, exec, s[6:7]
	s_and_saveexec_b64 s[6:7], s[4:5]
	s_cbranch_execz .LBB1_8311
; %bb.12521:
	s_getpc_b64 s[14:15]
.Lpost_getpc2164:
	s_add_u32 s14, s14, (.LBB1_239-.Lpost_getpc2164)&4294967295
	s_addc_u32 s15, s15, (.LBB1_239-.Lpost_getpc2164)>>32
	s_setpc_b64 s[14:15]
.LBB1_8311:
	s_getpc_b64 s[14:15]
.Lpost_getpc59:
	s_add_u32 s14, s14, (.LBB1_240-.Lpost_getpc59)&4294967295
	s_addc_u32 s15, s15, (.LBB1_240-.Lpost_getpc59)>>32
	s_setpc_b64 s[14:15]
.LBB1_4337:
	s_movk_i32 s4, 0x80
	v_cmp_eq_u16_e32 vcc, s4, v13
	s_mov_b64 s[4:5], -1
                                        ; implicit-def: $sgpr10
	s_and_saveexec_b64 s[8:9], vcc
; %bb.4338:
	s_mov_b32 s10, 0x7f800001
	s_xor_b64 s[4:5], exec, -1
; %bb.4339:
	s_or_b64 exec, exec, s[8:9]
	s_and_b64 s[4:5], s[4:5], exec
                                        ; implicit-def: $vgpr13
	s_or_saveexec_b64 s[6:7], s[6:7]
	v_mov_b32_e32 v12, s10
	s_xor_b64 exec, exec, s[6:7]
	s_cbranch_execnz .LBB1_4340
; %bb.12523:
	s_getpc_b64 s[14:15]
.Lpost_getpc2165:
	s_add_u32 s14, s14, (.LBB1_242-.Lpost_getpc2165)&4294967295
	s_addc_u32 s15, s15, (.LBB1_242-.Lpost_getpc2165)>>32
	s_setpc_b64 s[14:15]
.LBB1_4340:
	v_cmp_ne_u16_e32 vcc, 0, v13
	s_andn2_b64 s[4:5], s[4:5], exec
	s_and_b64 s[8:9], vcc, exec
	v_mov_b32_e32 v12, 0
	s_or_b64 s[4:5], s[4:5], s[8:9]
	s_or_b64 exec, exec, s[6:7]
	s_and_saveexec_b64 s[6:7], s[4:5]
	s_cbranch_execz .LBB1_8313
; %bb.12525:
	s_getpc_b64 s[14:15]
.Lpost_getpc2166:
	s_add_u32 s14, s14, (.LBB1_243-.Lpost_getpc2166)&4294967295
	s_addc_u32 s15, s15, (.LBB1_243-.Lpost_getpc2166)>>32
	s_setpc_b64 s[14:15]
.LBB1_8313:
	s_getpc_b64 s[14:15]
.Lpost_getpc60:
	s_add_u32 s14, s14, (.LBB1_244-.Lpost_getpc60)&4294967295
	s_addc_u32 s15, s15, (.LBB1_244-.Lpost_getpc60)>>32
	s_setpc_b64 s[14:15]
.LBB1_4341:
	s_movk_i32 s4, 0x80
	v_cmp_eq_u16_e32 vcc, s4, v13
	s_mov_b64 s[4:5], -1
                                        ; implicit-def: $sgpr10
	s_and_saveexec_b64 s[8:9], vcc
; %bb.4342:
	s_mov_b32 s10, 0x7f800001
	s_xor_b64 s[4:5], exec, -1
; %bb.4343:
	s_or_b64 exec, exec, s[8:9]
	s_and_b64 s[4:5], s[4:5], exec
                                        ; implicit-def: $vgpr13
	s_or_saveexec_b64 s[6:7], s[6:7]
	v_mov_b32_e32 v14, s10
	s_xor_b64 exec, exec, s[6:7]
	s_cbranch_execnz .LBB1_4344
; %bb.12527:
	s_getpc_b64 s[14:15]
.Lpost_getpc2167:
	s_add_u32 s14, s14, (.LBB1_246-.Lpost_getpc2167)&4294967295
	s_addc_u32 s15, s15, (.LBB1_246-.Lpost_getpc2167)>>32
	s_setpc_b64 s[14:15]
.LBB1_4344:
	v_cmp_ne_u16_e32 vcc, 0, v13
	s_andn2_b64 s[4:5], s[4:5], exec
	s_and_b64 s[8:9], vcc, exec
	v_mov_b32_e32 v14, 0
	s_or_b64 s[4:5], s[4:5], s[8:9]
	s_or_b64 exec, exec, s[6:7]
	s_and_saveexec_b64 s[6:7], s[4:5]
	s_cbranch_execz .LBB1_8315
; %bb.12529:
	s_getpc_b64 s[14:15]
.Lpost_getpc2168:
	s_add_u32 s14, s14, (.LBB1_247-.Lpost_getpc2168)&4294967295
	s_addc_u32 s15, s15, (.LBB1_247-.Lpost_getpc2168)>>32
	s_setpc_b64 s[14:15]
.LBB1_8315:
	s_getpc_b64 s[14:15]
.Lpost_getpc61:
	s_add_u32 s14, s14, (.LBB1_248-.Lpost_getpc61)&4294967295
	s_addc_u32 s15, s15, (.LBB1_248-.Lpost_getpc61)>>32
	s_setpc_b64 s[14:15]
.LBB1_4345:
	s_movk_i32 s4, 0x80
	v_cmp_eq_u16_sdwa s[12:13], v19, s4 src0_sel:BYTE_3 src1_sel:DWORD
	s_mov_b64 s[4:5], -1
                                        ; implicit-def: $sgpr10
	s_and_saveexec_b64 s[8:9], s[12:13]
; %bb.4346:
	s_mov_b32 s10, 0x7f800001
	s_xor_b64 s[4:5], exec, -1
; %bb.4347:
	s_or_b64 exec, exec, s[8:9]
	s_and_b64 s[4:5], s[4:5], exec
	s_or_saveexec_b64 s[6:7], s[6:7]
	v_mov_b32_e32 v12, s10
	s_xor_b64 exec, exec, s[6:7]
	s_cbranch_execnz .LBB1_4348
; %bb.12531:
	s_getpc_b64 s[14:15]
.Lpost_getpc2169:
	s_add_u32 s14, s14, (.LBB1_250-.Lpost_getpc2169)&4294967295
	s_addc_u32 s15, s15, (.LBB1_250-.Lpost_getpc2169)>>32
	s_setpc_b64 s[14:15]
.LBB1_4348:
	v_mov_b32_e32 v12, 0
	v_cmp_ne_u16_sdwa s[8:9], v19, v12 src0_sel:BYTE_3 src1_sel:DWORD
	s_andn2_b64 s[4:5], s[4:5], exec
	s_and_b64 s[8:9], s[8:9], exec
	s_or_b64 s[4:5], s[4:5], s[8:9]
	s_or_b64 exec, exec, s[6:7]
	s_and_saveexec_b64 s[6:7], s[4:5]
	s_cbranch_execz .LBB1_8317
; %bb.12533:
	s_getpc_b64 s[14:15]
.Lpost_getpc2170:
	s_add_u32 s14, s14, (.LBB1_251-.Lpost_getpc2170)&4294967295
	s_addc_u32 s15, s15, (.LBB1_251-.Lpost_getpc2170)>>32
	s_setpc_b64 s[14:15]
.LBB1_8317:
	s_getpc_b64 s[14:15]
.Lpost_getpc62:
	s_add_u32 s14, s14, (.LBB1_252-.Lpost_getpc62)&4294967295
	s_addc_u32 s15, s15, (.LBB1_252-.Lpost_getpc62)>>32
	s_setpc_b64 s[14:15]
.LBB1_4349:
	s_movk_i32 s4, 0x80
	v_cmp_eq_u16_sdwa s[12:13], v15, s4 src0_sel:BYTE_3 src1_sel:DWORD
	s_mov_b64 s[4:5], -1
                                        ; implicit-def: $sgpr10
	s_and_saveexec_b64 s[8:9], s[12:13]
; %bb.4350:
	s_mov_b32 s10, 0x7f800001
	s_xor_b64 s[4:5], exec, -1
; %bb.4351:
	s_or_b64 exec, exec, s[8:9]
	s_and_b64 s[4:5], s[4:5], exec
	s_or_saveexec_b64 s[6:7], s[6:7]
	v_mov_b32_e32 v13, s10
	s_xor_b64 exec, exec, s[6:7]
	s_cbranch_execnz .LBB1_4352
; %bb.12535:
	s_getpc_b64 s[14:15]
.Lpost_getpc2171:
	s_add_u32 s14, s14, (.LBB1_254-.Lpost_getpc2171)&4294967295
	s_addc_u32 s15, s15, (.LBB1_254-.Lpost_getpc2171)>>32
	s_setpc_b64 s[14:15]
.LBB1_4352:
	v_mov_b32_e32 v13, 0
	v_cmp_ne_u16_sdwa s[8:9], v15, v13 src0_sel:BYTE_3 src1_sel:DWORD
	s_andn2_b64 s[4:5], s[4:5], exec
	s_and_b64 s[8:9], s[8:9], exec
	s_or_b64 s[4:5], s[4:5], s[8:9]
	s_or_b64 exec, exec, s[6:7]
	s_and_saveexec_b64 s[6:7], s[4:5]
	s_cbranch_execz .LBB1_8319
; %bb.12537:
	s_getpc_b64 s[14:15]
.Lpost_getpc2172:
	s_add_u32 s14, s14, (.LBB1_255-.Lpost_getpc2172)&4294967295
	s_addc_u32 s15, s15, (.LBB1_255-.Lpost_getpc2172)>>32
	s_setpc_b64 s[14:15]
.LBB1_8319:
	s_getpc_b64 s[14:15]
.Lpost_getpc63:
	s_add_u32 s14, s14, (.LBB1_256-.Lpost_getpc63)&4294967295
	s_addc_u32 s15, s15, (.LBB1_256-.Lpost_getpc63)>>32
	s_setpc_b64 s[14:15]
.LBB1_4353:
	s_movk_i32 s4, 0x80
	v_cmp_eq_u16_sdwa s[12:13], v16, s4 src0_sel:BYTE_0 src1_sel:DWORD
	s_mov_b64 s[4:5], -1
                                        ; implicit-def: $sgpr10
	s_and_saveexec_b64 s[8:9], s[12:13]
; %bb.4354:
	s_mov_b32 s10, 0x7f800001
	s_xor_b64 s[4:5], exec, -1
; %bb.4355:
	s_or_b64 exec, exec, s[8:9]
	s_and_b64 s[4:5], s[4:5], exec
	s_or_saveexec_b64 s[6:7], s[6:7]
	v_mov_b32_e32 v21, s10
	s_xor_b64 exec, exec, s[6:7]
	s_cbranch_execnz .LBB1_4356
; %bb.12539:
	s_getpc_b64 s[14:15]
.Lpost_getpc2173:
	s_add_u32 s14, s14, (.LBB1_258-.Lpost_getpc2173)&4294967295
	s_addc_u32 s15, s15, (.LBB1_258-.Lpost_getpc2173)>>32
	s_setpc_b64 s[14:15]
.LBB1_4356:
	v_mov_b32_e32 v21, 0
	v_cmp_ne_u16_sdwa s[8:9], v16, v21 src0_sel:BYTE_0 src1_sel:DWORD
	s_andn2_b64 s[4:5], s[4:5], exec
	s_and_b64 s[8:9], s[8:9], exec
	s_or_b64 s[4:5], s[4:5], s[8:9]
	s_or_b64 exec, exec, s[6:7]
	s_and_saveexec_b64 s[6:7], s[4:5]
	s_cbranch_execz .LBB1_8321
; %bb.12541:
	s_getpc_b64 s[14:15]
.Lpost_getpc2174:
	s_add_u32 s14, s14, (.LBB1_259-.Lpost_getpc2174)&4294967295
	s_addc_u32 s15, s15, (.LBB1_259-.Lpost_getpc2174)>>32
	s_setpc_b64 s[14:15]
.LBB1_8321:
	s_getpc_b64 s[14:15]
.Lpost_getpc64:
	s_add_u32 s14, s14, (.LBB1_260-.Lpost_getpc64)&4294967295
	s_addc_u32 s15, s15, (.LBB1_260-.Lpost_getpc64)>>32
	s_setpc_b64 s[14:15]
.LBB1_4357:
	s_movk_i32 s4, 0x80
	v_cmp_eq_u16_sdwa s[12:13], v12, s4 src0_sel:BYTE_0 src1_sel:DWORD
	s_mov_b64 s[4:5], -1
                                        ; implicit-def: $sgpr10
	s_and_saveexec_b64 s[8:9], s[12:13]
; %bb.4358:
	s_mov_b32 s10, 0x7f800001
	s_xor_b64 s[4:5], exec, -1
; %bb.4359:
	s_or_b64 exec, exec, s[8:9]
	s_and_b64 s[4:5], s[4:5], exec
	s_or_saveexec_b64 s[6:7], s[6:7]
	v_mov_b32_e32 v22, s10
	s_xor_b64 exec, exec, s[6:7]
	s_cbranch_execnz .LBB1_4360
; %bb.12543:
	s_getpc_b64 s[14:15]
.Lpost_getpc2175:
	s_add_u32 s14, s14, (.LBB1_262-.Lpost_getpc2175)&4294967295
	s_addc_u32 s15, s15, (.LBB1_262-.Lpost_getpc2175)>>32
	s_setpc_b64 s[14:15]
.LBB1_4360:
	v_mov_b32_e32 v22, 0
	v_cmp_ne_u16_sdwa s[8:9], v12, v22 src0_sel:BYTE_0 src1_sel:DWORD
	s_andn2_b64 s[4:5], s[4:5], exec
	s_and_b64 s[8:9], s[8:9], exec
	s_or_b64 s[4:5], s[4:5], s[8:9]
	s_or_b64 exec, exec, s[6:7]
	s_and_saveexec_b64 s[6:7], s[4:5]
	s_cbranch_execz .LBB1_8323
; %bb.12545:
	s_getpc_b64 s[14:15]
.Lpost_getpc2176:
	s_add_u32 s14, s14, (.LBB1_263-.Lpost_getpc2176)&4294967295
	s_addc_u32 s15, s15, (.LBB1_263-.Lpost_getpc2176)>>32
	s_setpc_b64 s[14:15]
.LBB1_8323:
	s_getpc_b64 s[14:15]
.Lpost_getpc65:
	s_add_u32 s14, s14, (.LBB1_264-.Lpost_getpc65)&4294967295
	s_addc_u32 s15, s15, (.LBB1_264-.Lpost_getpc65)>>32
	s_setpc_b64 s[14:15]
.LBB1_4361:
	s_movk_i32 s4, 0x80
	v_cmp_eq_u16_sdwa s[12:13], v22, s4 src0_sel:BYTE_0 src1_sel:DWORD
	s_mov_b64 s[4:5], -1
                                        ; implicit-def: $sgpr10
	s_and_saveexec_b64 s[8:9], s[12:13]
; %bb.4362:
	s_mov_b32 s10, 0x7f800001
	s_xor_b64 s[4:5], exec, -1
; %bb.4363:
	s_or_b64 exec, exec, s[8:9]
	s_and_b64 s[4:5], s[4:5], exec
	s_or_saveexec_b64 s[6:7], s[6:7]
	v_mov_b32_e32 v21, s10
	s_xor_b64 exec, exec, s[6:7]
	s_cbranch_execnz .LBB1_4364
; %bb.12547:
	s_getpc_b64 s[14:15]
.Lpost_getpc2177:
	s_add_u32 s14, s14, (.LBB1_266-.Lpost_getpc2177)&4294967295
	s_addc_u32 s15, s15, (.LBB1_266-.Lpost_getpc2177)>>32
	s_setpc_b64 s[14:15]
.LBB1_4364:
	v_mov_b32_e32 v21, 0
	v_cmp_ne_u16_sdwa s[8:9], v22, v21 src0_sel:BYTE_0 src1_sel:DWORD
	s_andn2_b64 s[4:5], s[4:5], exec
	s_and_b64 s[8:9], s[8:9], exec
	s_or_b64 s[4:5], s[4:5], s[8:9]
	s_or_b64 exec, exec, s[6:7]
	s_and_saveexec_b64 s[6:7], s[4:5]
	s_cbranch_execz .LBB1_8325
; %bb.12549:
	s_getpc_b64 s[14:15]
.Lpost_getpc2178:
	s_add_u32 s14, s14, (.LBB1_267-.Lpost_getpc2178)&4294967295
	s_addc_u32 s15, s15, (.LBB1_267-.Lpost_getpc2178)>>32
	s_setpc_b64 s[14:15]
.LBB1_8325:
	s_getpc_b64 s[14:15]
.Lpost_getpc66:
	s_add_u32 s14, s14, (.LBB1_268-.Lpost_getpc66)&4294967295
	s_addc_u32 s15, s15, (.LBB1_268-.Lpost_getpc66)>>32
	s_setpc_b64 s[14:15]
.LBB1_4365:
	s_movk_i32 s4, 0x80
	v_cmp_eq_u16_sdwa s[12:13], v22, s4 src0_sel:BYTE_0 src1_sel:DWORD
	s_mov_b64 s[4:5], -1
                                        ; implicit-def: $sgpr10
	s_and_saveexec_b64 s[8:9], s[12:13]
; %bb.4366:
	s_mov_b32 s10, 0x7f800001
	s_xor_b64 s[4:5], exec, -1
; %bb.4367:
	s_or_b64 exec, exec, s[8:9]
	s_and_b64 s[4:5], s[4:5], exec
	s_or_saveexec_b64 s[6:7], s[6:7]
	v_mov_b32_e32 v23, s10
	s_xor_b64 exec, exec, s[6:7]
	s_cbranch_execnz .LBB1_4368
; %bb.12551:
	s_getpc_b64 s[14:15]
.Lpost_getpc2179:
	s_add_u32 s14, s14, (.LBB1_270-.Lpost_getpc2179)&4294967295
	s_addc_u32 s15, s15, (.LBB1_270-.Lpost_getpc2179)>>32
	s_setpc_b64 s[14:15]
.LBB1_4368:
	v_mov_b32_e32 v23, 0
	v_cmp_ne_u16_sdwa s[8:9], v22, v23 src0_sel:BYTE_0 src1_sel:DWORD
	s_andn2_b64 s[4:5], s[4:5], exec
	s_and_b64 s[8:9], s[8:9], exec
	s_or_b64 s[4:5], s[4:5], s[8:9]
	s_or_b64 exec, exec, s[6:7]
	s_and_saveexec_b64 s[6:7], s[4:5]
	s_cbranch_execz .LBB1_8327
; %bb.12553:
	s_getpc_b64 s[14:15]
.Lpost_getpc2180:
	s_add_u32 s14, s14, (.LBB1_271-.Lpost_getpc2180)&4294967295
	s_addc_u32 s15, s15, (.LBB1_271-.Lpost_getpc2180)>>32
	s_setpc_b64 s[14:15]
.LBB1_8327:
	s_getpc_b64 s[14:15]
.Lpost_getpc67:
	s_add_u32 s14, s14, (.LBB1_272-.Lpost_getpc67)&4294967295
	s_addc_u32 s15, s15, (.LBB1_272-.Lpost_getpc67)>>32
	s_setpc_b64 s[14:15]
.LBB1_4369:
	s_movk_i32 s4, 0x80
	v_cmp_eq_u16_e32 vcc, s4, v22
	s_mov_b64 s[4:5], -1
                                        ; implicit-def: $sgpr10
	s_and_saveexec_b64 s[8:9], vcc
; %bb.4370:
	s_mov_b32 s10, 0x7f800001
	s_xor_b64 s[4:5], exec, -1
; %bb.4371:
	s_or_b64 exec, exec, s[8:9]
	s_and_b64 s[4:5], s[4:5], exec
                                        ; implicit-def: $vgpr22
	s_or_saveexec_b64 s[6:7], s[6:7]
	v_mov_b32_e32 v21, s10
	s_xor_b64 exec, exec, s[6:7]
	s_cbranch_execnz .LBB1_4372
; %bb.12555:
	s_getpc_b64 s[14:15]
.Lpost_getpc2181:
	s_add_u32 s14, s14, (.LBB1_274-.Lpost_getpc2181)&4294967295
	s_addc_u32 s15, s15, (.LBB1_274-.Lpost_getpc2181)>>32
	s_setpc_b64 s[14:15]
.LBB1_4372:
	v_cmp_ne_u16_e32 vcc, 0, v22
	s_andn2_b64 s[4:5], s[4:5], exec
	s_and_b64 s[8:9], vcc, exec
	v_mov_b32_e32 v21, 0
	s_or_b64 s[4:5], s[4:5], s[8:9]
	s_or_b64 exec, exec, s[6:7]
	s_and_saveexec_b64 s[6:7], s[4:5]
	s_cbranch_execz .LBB1_8329
; %bb.12557:
	s_getpc_b64 s[14:15]
.Lpost_getpc2182:
	s_add_u32 s14, s14, (.LBB1_275-.Lpost_getpc2182)&4294967295
	s_addc_u32 s15, s15, (.LBB1_275-.Lpost_getpc2182)>>32
	s_setpc_b64 s[14:15]
.LBB1_8329:
	s_getpc_b64 s[14:15]
.Lpost_getpc68:
	s_add_u32 s14, s14, (.LBB1_276-.Lpost_getpc68)&4294967295
	s_addc_u32 s15, s15, (.LBB1_276-.Lpost_getpc68)>>32
	s_setpc_b64 s[14:15]
.LBB1_4373:
	s_movk_i32 s4, 0x80
	v_cmp_eq_u16_e32 vcc, s4, v22
	s_mov_b64 s[4:5], -1
                                        ; implicit-def: $sgpr10
	s_and_saveexec_b64 s[8:9], vcc
; %bb.4374:
	s_mov_b32 s10, 0x7f800001
	s_xor_b64 s[4:5], exec, -1
; %bb.4375:
	s_or_b64 exec, exec, s[8:9]
	s_and_b64 s[4:5], s[4:5], exec
                                        ; implicit-def: $vgpr22
	s_or_saveexec_b64 s[6:7], s[6:7]
	v_mov_b32_e32 v23, s10
	s_xor_b64 exec, exec, s[6:7]
	s_cbranch_execnz .LBB1_4376
; %bb.12559:
	s_getpc_b64 s[14:15]
.Lpost_getpc2183:
	s_add_u32 s14, s14, (.LBB1_278-.Lpost_getpc2183)&4294967295
	s_addc_u32 s15, s15, (.LBB1_278-.Lpost_getpc2183)>>32
	s_setpc_b64 s[14:15]
.LBB1_4376:
	v_cmp_ne_u16_e32 vcc, 0, v22
	s_andn2_b64 s[4:5], s[4:5], exec
	s_and_b64 s[8:9], vcc, exec
	v_mov_b32_e32 v23, 0
	s_or_b64 s[4:5], s[4:5], s[8:9]
	s_or_b64 exec, exec, s[6:7]
	s_and_saveexec_b64 s[6:7], s[4:5]
	s_cbranch_execz .LBB1_8331
; %bb.12561:
	s_getpc_b64 s[14:15]
.Lpost_getpc2184:
	s_add_u32 s14, s14, (.LBB1_279-.Lpost_getpc2184)&4294967295
	s_addc_u32 s15, s15, (.LBB1_279-.Lpost_getpc2184)>>32
	s_setpc_b64 s[14:15]
.LBB1_8331:
	s_getpc_b64 s[14:15]
.Lpost_getpc69:
	s_add_u32 s14, s14, (.LBB1_280-.Lpost_getpc69)&4294967295
	s_addc_u32 s15, s15, (.LBB1_280-.Lpost_getpc69)>>32
	s_setpc_b64 s[14:15]
.LBB1_4377:
	s_movk_i32 s4, 0x80
	v_cmp_eq_u16_sdwa s[12:13], v16, s4 src0_sel:BYTE_3 src1_sel:DWORD
	s_mov_b64 s[4:5], -1
                                        ; implicit-def: $sgpr10
	s_and_saveexec_b64 s[8:9], s[12:13]
; %bb.4378:
	s_mov_b32 s10, 0x7f800001
	s_xor_b64 s[4:5], exec, -1
; %bb.4379:
	s_or_b64 exec, exec, s[8:9]
	s_and_b64 s[4:5], s[4:5], exec
	s_or_saveexec_b64 s[6:7], s[6:7]
	v_mov_b32_e32 v21, s10
	s_xor_b64 exec, exec, s[6:7]
	s_cbranch_execnz .LBB1_4380
; %bb.12563:
	s_getpc_b64 s[14:15]
.Lpost_getpc2185:
	s_add_u32 s14, s14, (.LBB1_282-.Lpost_getpc2185)&4294967295
	s_addc_u32 s15, s15, (.LBB1_282-.Lpost_getpc2185)>>32
	s_setpc_b64 s[14:15]
.LBB1_4380:
	v_mov_b32_e32 v21, 0
	v_cmp_ne_u16_sdwa s[8:9], v16, v21 src0_sel:BYTE_3 src1_sel:DWORD
	s_andn2_b64 s[4:5], s[4:5], exec
	s_and_b64 s[8:9], s[8:9], exec
	s_or_b64 s[4:5], s[4:5], s[8:9]
	s_or_b64 exec, exec, s[6:7]
	s_and_saveexec_b64 s[6:7], s[4:5]
	s_cbranch_execz .LBB1_8333
; %bb.12565:
	s_getpc_b64 s[14:15]
.Lpost_getpc2186:
	s_add_u32 s14, s14, (.LBB1_283-.Lpost_getpc2186)&4294967295
	s_addc_u32 s15, s15, (.LBB1_283-.Lpost_getpc2186)>>32
	s_setpc_b64 s[14:15]
.LBB1_8333:
	s_getpc_b64 s[14:15]
.Lpost_getpc70:
	s_add_u32 s14, s14, (.LBB1_284-.Lpost_getpc70)&4294967295
	s_addc_u32 s15, s15, (.LBB1_284-.Lpost_getpc70)>>32
	s_setpc_b64 s[14:15]
.LBB1_4381:
	s_movk_i32 s4, 0x80
	v_cmp_eq_u16_sdwa s[12:13], v12, s4 src0_sel:BYTE_3 src1_sel:DWORD
	s_mov_b64 s[4:5], -1
                                        ; implicit-def: $sgpr10
	s_and_saveexec_b64 s[8:9], s[12:13]
; %bb.4382:
	s_mov_b32 s10, 0x7f800001
	s_xor_b64 s[4:5], exec, -1
; %bb.4383:
	s_or_b64 exec, exec, s[8:9]
	s_and_b64 s[4:5], s[4:5], exec
	s_or_saveexec_b64 s[6:7], s[6:7]
	v_mov_b32_e32 v16, s10
	s_xor_b64 exec, exec, s[6:7]
	s_cbranch_execnz .LBB1_4384
; %bb.12567:
	s_getpc_b64 s[14:15]
.Lpost_getpc2187:
	s_add_u32 s14, s14, (.LBB1_286-.Lpost_getpc2187)&4294967295
	s_addc_u32 s15, s15, (.LBB1_286-.Lpost_getpc2187)>>32
	s_setpc_b64 s[14:15]
.LBB1_4384:
	v_mov_b32_e32 v16, 0
	v_cmp_ne_u16_sdwa s[8:9], v12, v16 src0_sel:BYTE_3 src1_sel:DWORD
	s_andn2_b64 s[4:5], s[4:5], exec
	s_and_b64 s[8:9], s[8:9], exec
	s_or_b64 s[4:5], s[4:5], s[8:9]
	s_or_b64 exec, exec, s[6:7]
	s_and_saveexec_b64 s[6:7], s[4:5]
	s_cbranch_execz .LBB1_8335
; %bb.12569:
	s_getpc_b64 s[14:15]
.Lpost_getpc2188:
	s_add_u32 s14, s14, (.LBB1_287-.Lpost_getpc2188)&4294967295
	s_addc_u32 s15, s15, (.LBB1_287-.Lpost_getpc2188)>>32
	s_setpc_b64 s[14:15]
.LBB1_8335:
	s_getpc_b64 s[14:15]
.Lpost_getpc71:
	s_add_u32 s14, s14, (.LBB1_288-.Lpost_getpc71)&4294967295
	s_addc_u32 s15, s15, (.LBB1_288-.Lpost_getpc71)>>32
	s_setpc_b64 s[14:15]
.LBB1_4385:
	s_movk_i32 s4, 0x80
	v_cmp_eq_u16_sdwa s[12:13], v17, s4 src0_sel:BYTE_0 src1_sel:DWORD
	s_mov_b64 s[4:5], -1
                                        ; implicit-def: $sgpr10
	s_and_saveexec_b64 s[8:9], s[12:13]
; %bb.4386:
	s_mov_b32 s10, 0x7f800001
	s_xor_b64 s[4:5], exec, -1
; %bb.4387:
	s_or_b64 exec, exec, s[8:9]
	s_and_b64 s[4:5], s[4:5], exec
	s_or_saveexec_b64 s[6:7], s[6:7]
	v_mov_b32_e32 v12, s10
	s_xor_b64 exec, exec, s[6:7]
	s_cbranch_execnz .LBB1_4388
; %bb.12571:
	s_getpc_b64 s[14:15]
.Lpost_getpc2189:
	s_add_u32 s14, s14, (.LBB1_290-.Lpost_getpc2189)&4294967295
	s_addc_u32 s15, s15, (.LBB1_290-.Lpost_getpc2189)>>32
	s_setpc_b64 s[14:15]
.LBB1_4388:
	v_mov_b32_e32 v12, 0
	v_cmp_ne_u16_sdwa s[8:9], v17, v12 src0_sel:BYTE_0 src1_sel:DWORD
	s_andn2_b64 s[4:5], s[4:5], exec
	s_and_b64 s[8:9], s[8:9], exec
	s_or_b64 s[4:5], s[4:5], s[8:9]
	s_or_b64 exec, exec, s[6:7]
	s_and_saveexec_b64 s[6:7], s[4:5]
	s_cbranch_execz .LBB1_8337
; %bb.12573:
	s_getpc_b64 s[14:15]
.Lpost_getpc2190:
	s_add_u32 s14, s14, (.LBB1_291-.Lpost_getpc2190)&4294967295
	s_addc_u32 s15, s15, (.LBB1_291-.Lpost_getpc2190)>>32
	s_setpc_b64 s[14:15]
.LBB1_8337:
	s_getpc_b64 s[14:15]
.Lpost_getpc72:
	s_add_u32 s14, s14, (.LBB1_292-.Lpost_getpc72)&4294967295
	s_addc_u32 s15, s15, (.LBB1_292-.Lpost_getpc72)>>32
	s_setpc_b64 s[14:15]
.LBB1_4389:
	s_movk_i32 s4, 0x80
	v_cmp_eq_u16_sdwa s[12:13], v13, s4 src0_sel:BYTE_0 src1_sel:DWORD
	s_mov_b64 s[4:5], -1
                                        ; implicit-def: $sgpr10
	s_and_saveexec_b64 s[8:9], s[12:13]
; %bb.4390:
	s_mov_b32 s10, 0x7f800001
	s_xor_b64 s[4:5], exec, -1
; %bb.4391:
	s_or_b64 exec, exec, s[8:9]
	s_and_b64 s[4:5], s[4:5], exec
	s_or_saveexec_b64 s[6:7], s[6:7]
	v_mov_b32_e32 v16, s10
	s_xor_b64 exec, exec, s[6:7]
	s_cbranch_execnz .LBB1_4392
; %bb.12575:
	s_getpc_b64 s[14:15]
.Lpost_getpc2191:
	s_add_u32 s14, s14, (.LBB1_294-.Lpost_getpc2191)&4294967295
	s_addc_u32 s15, s15, (.LBB1_294-.Lpost_getpc2191)>>32
	s_setpc_b64 s[14:15]
.LBB1_4392:
	v_mov_b32_e32 v16, 0
	v_cmp_ne_u16_sdwa s[8:9], v13, v16 src0_sel:BYTE_0 src1_sel:DWORD
	s_andn2_b64 s[4:5], s[4:5], exec
	s_and_b64 s[8:9], s[8:9], exec
	s_or_b64 s[4:5], s[4:5], s[8:9]
	s_or_b64 exec, exec, s[6:7]
	s_and_saveexec_b64 s[6:7], s[4:5]
	s_cbranch_execz .LBB1_8339
; %bb.12577:
	s_getpc_b64 s[14:15]
.Lpost_getpc2192:
	s_add_u32 s14, s14, (.LBB1_295-.Lpost_getpc2192)&4294967295
	s_addc_u32 s15, s15, (.LBB1_295-.Lpost_getpc2192)>>32
	s_setpc_b64 s[14:15]
.LBB1_8339:
	s_getpc_b64 s[14:15]
.Lpost_getpc73:
	s_add_u32 s14, s14, (.LBB1_296-.Lpost_getpc73)&4294967295
	s_addc_u32 s15, s15, (.LBB1_296-.Lpost_getpc73)>>32
	s_setpc_b64 s[14:15]
.LBB1_4393:
	s_movk_i32 s4, 0x80
	v_cmp_eq_u16_sdwa s[12:13], v16, s4 src0_sel:BYTE_0 src1_sel:DWORD
	s_mov_b64 s[4:5], -1
                                        ; implicit-def: $sgpr10
	s_and_saveexec_b64 s[8:9], s[12:13]
; %bb.4394:
	s_mov_b32 s10, 0x7f800001
	s_xor_b64 s[4:5], exec, -1
; %bb.4395:
	s_or_b64 exec, exec, s[8:9]
	s_and_b64 s[4:5], s[4:5], exec
	s_or_saveexec_b64 s[6:7], s[6:7]
	v_mov_b32_e32 v12, s10
	s_xor_b64 exec, exec, s[6:7]
	s_cbranch_execnz .LBB1_4396
; %bb.12579:
	s_getpc_b64 s[14:15]
.Lpost_getpc2193:
	s_add_u32 s14, s14, (.LBB1_298-.Lpost_getpc2193)&4294967295
	s_addc_u32 s15, s15, (.LBB1_298-.Lpost_getpc2193)>>32
	s_setpc_b64 s[14:15]
.LBB1_4396:
	v_mov_b32_e32 v12, 0
	v_cmp_ne_u16_sdwa s[8:9], v16, v12 src0_sel:BYTE_0 src1_sel:DWORD
	s_andn2_b64 s[4:5], s[4:5], exec
	s_and_b64 s[8:9], s[8:9], exec
	s_or_b64 s[4:5], s[4:5], s[8:9]
	s_or_b64 exec, exec, s[6:7]
	s_and_saveexec_b64 s[6:7], s[4:5]
	s_cbranch_execz .LBB1_8341
; %bb.12581:
	s_getpc_b64 s[14:15]
.Lpost_getpc2194:
	s_add_u32 s14, s14, (.LBB1_299-.Lpost_getpc2194)&4294967295
	s_addc_u32 s15, s15, (.LBB1_299-.Lpost_getpc2194)>>32
	s_setpc_b64 s[14:15]
.LBB1_8341:
	s_getpc_b64 s[14:15]
.Lpost_getpc74:
	s_add_u32 s14, s14, (.LBB1_300-.Lpost_getpc74)&4294967295
	s_addc_u32 s15, s15, (.LBB1_300-.Lpost_getpc74)>>32
	s_setpc_b64 s[14:15]
.LBB1_4397:
	s_movk_i32 s4, 0x80
	v_cmp_eq_u16_sdwa s[12:13], v16, s4 src0_sel:BYTE_0 src1_sel:DWORD
	s_mov_b64 s[4:5], -1
                                        ; implicit-def: $sgpr10
	s_and_saveexec_b64 s[8:9], s[12:13]
; %bb.4398:
	s_mov_b32 s10, 0x7f800001
	s_xor_b64 s[4:5], exec, -1
; %bb.4399:
	s_or_b64 exec, exec, s[8:9]
	s_and_b64 s[4:5], s[4:5], exec
	s_or_saveexec_b64 s[6:7], s[6:7]
	v_mov_b32_e32 v21, s10
	s_xor_b64 exec, exec, s[6:7]
	s_cbranch_execnz .LBB1_4400
; %bb.12583:
	s_getpc_b64 s[14:15]
.Lpost_getpc2195:
	s_add_u32 s14, s14, (.LBB1_302-.Lpost_getpc2195)&4294967295
	s_addc_u32 s15, s15, (.LBB1_302-.Lpost_getpc2195)>>32
	s_setpc_b64 s[14:15]
.LBB1_4400:
	v_mov_b32_e32 v21, 0
	v_cmp_ne_u16_sdwa s[8:9], v16, v21 src0_sel:BYTE_0 src1_sel:DWORD
	s_andn2_b64 s[4:5], s[4:5], exec
	s_and_b64 s[8:9], s[8:9], exec
	s_or_b64 s[4:5], s[4:5], s[8:9]
	s_or_b64 exec, exec, s[6:7]
	s_and_saveexec_b64 s[6:7], s[4:5]
	s_cbranch_execz .LBB1_8343
; %bb.12585:
	s_getpc_b64 s[14:15]
.Lpost_getpc2196:
	s_add_u32 s14, s14, (.LBB1_303-.Lpost_getpc2196)&4294967295
	s_addc_u32 s15, s15, (.LBB1_303-.Lpost_getpc2196)>>32
	s_setpc_b64 s[14:15]
.LBB1_8343:
	s_getpc_b64 s[14:15]
.Lpost_getpc75:
	s_add_u32 s14, s14, (.LBB1_304-.Lpost_getpc75)&4294967295
	s_addc_u32 s15, s15, (.LBB1_304-.Lpost_getpc75)>>32
	s_setpc_b64 s[14:15]
.LBB1_4401:
	s_movk_i32 s4, 0x80
	v_cmp_eq_u16_e32 vcc, s4, v16
	s_mov_b64 s[4:5], -1
                                        ; implicit-def: $sgpr10
	s_and_saveexec_b64 s[8:9], vcc
; %bb.4402:
	s_mov_b32 s10, 0x7f800001
	s_xor_b64 s[4:5], exec, -1
; %bb.4403:
	s_or_b64 exec, exec, s[8:9]
	s_and_b64 s[4:5], s[4:5], exec
                                        ; implicit-def: $vgpr16
	s_or_saveexec_b64 s[6:7], s[6:7]
	v_mov_b32_e32 v12, s10
	s_xor_b64 exec, exec, s[6:7]
	s_cbranch_execnz .LBB1_4404
; %bb.12587:
	s_getpc_b64 s[14:15]
.Lpost_getpc2197:
	s_add_u32 s14, s14, (.LBB1_306-.Lpost_getpc2197)&4294967295
	s_addc_u32 s15, s15, (.LBB1_306-.Lpost_getpc2197)>>32
	s_setpc_b64 s[14:15]
.LBB1_4404:
	v_cmp_ne_u16_e32 vcc, 0, v16
	s_andn2_b64 s[4:5], s[4:5], exec
	s_and_b64 s[8:9], vcc, exec
	v_mov_b32_e32 v12, 0
	s_or_b64 s[4:5], s[4:5], s[8:9]
	s_or_b64 exec, exec, s[6:7]
	s_and_saveexec_b64 s[6:7], s[4:5]
	s_cbranch_execz .LBB1_8345
; %bb.12589:
	s_getpc_b64 s[14:15]
.Lpost_getpc2198:
	s_add_u32 s14, s14, (.LBB1_307-.Lpost_getpc2198)&4294967295
	s_addc_u32 s15, s15, (.LBB1_307-.Lpost_getpc2198)>>32
	s_setpc_b64 s[14:15]
.LBB1_8345:
	s_getpc_b64 s[14:15]
.Lpost_getpc76:
	s_add_u32 s14, s14, (.LBB1_308-.Lpost_getpc76)&4294967295
	s_addc_u32 s15, s15, (.LBB1_308-.Lpost_getpc76)>>32
	s_setpc_b64 s[14:15]
.LBB1_4405:
	s_movk_i32 s4, 0x80
	v_cmp_eq_u16_e32 vcc, s4, v16
	s_mov_b64 s[4:5], -1
                                        ; implicit-def: $sgpr10
	s_and_saveexec_b64 s[8:9], vcc
; %bb.4406:
	s_mov_b32 s10, 0x7f800001
	s_xor_b64 s[4:5], exec, -1
; %bb.4407:
	s_or_b64 exec, exec, s[8:9]
	s_and_b64 s[4:5], s[4:5], exec
                                        ; implicit-def: $vgpr16
	s_or_saveexec_b64 s[6:7], s[6:7]
	v_mov_b32_e32 v21, s10
	s_xor_b64 exec, exec, s[6:7]
	s_cbranch_execnz .LBB1_4408
; %bb.12591:
	s_getpc_b64 s[14:15]
.Lpost_getpc2199:
	s_add_u32 s14, s14, (.LBB1_310-.Lpost_getpc2199)&4294967295
	s_addc_u32 s15, s15, (.LBB1_310-.Lpost_getpc2199)>>32
	s_setpc_b64 s[14:15]
.LBB1_4408:
	v_cmp_ne_u16_e32 vcc, 0, v16
	s_andn2_b64 s[4:5], s[4:5], exec
	s_and_b64 s[8:9], vcc, exec
	v_mov_b32_e32 v21, 0
	s_or_b64 s[4:5], s[4:5], s[8:9]
	s_or_b64 exec, exec, s[6:7]
	s_and_saveexec_b64 s[6:7], s[4:5]
	s_cbranch_execz .LBB1_8347
; %bb.12593:
	s_getpc_b64 s[14:15]
.Lpost_getpc2200:
	s_add_u32 s14, s14, (.LBB1_311-.Lpost_getpc2200)&4294967295
	s_addc_u32 s15, s15, (.LBB1_311-.Lpost_getpc2200)>>32
	s_setpc_b64 s[14:15]
.LBB1_8347:
	s_getpc_b64 s[14:15]
.Lpost_getpc77:
	s_add_u32 s14, s14, (.LBB1_312-.Lpost_getpc77)&4294967295
	s_addc_u32 s15, s15, (.LBB1_312-.Lpost_getpc77)>>32
	s_setpc_b64 s[14:15]
.LBB1_4409:
	s_movk_i32 s4, 0x80
	v_cmp_eq_u16_sdwa s[12:13], v17, s4 src0_sel:BYTE_3 src1_sel:DWORD
	s_mov_b64 s[4:5], -1
                                        ; implicit-def: $sgpr10
	s_and_saveexec_b64 s[8:9], s[12:13]
; %bb.4410:
	s_mov_b32 s10, 0x7f800001
	s_xor_b64 s[4:5], exec, -1
; %bb.4411:
	s_or_b64 exec, exec, s[8:9]
	s_and_b64 s[4:5], s[4:5], exec
	s_or_saveexec_b64 s[6:7], s[6:7]
	v_mov_b32_e32 v12, s10
	s_xor_b64 exec, exec, s[6:7]
	s_cbranch_execnz .LBB1_4412
; %bb.12595:
	s_getpc_b64 s[14:15]
.Lpost_getpc2201:
	s_add_u32 s14, s14, (.LBB1_314-.Lpost_getpc2201)&4294967295
	s_addc_u32 s15, s15, (.LBB1_314-.Lpost_getpc2201)>>32
	s_setpc_b64 s[14:15]
.LBB1_4412:
	v_mov_b32_e32 v12, 0
	v_cmp_ne_u16_sdwa s[8:9], v17, v12 src0_sel:BYTE_3 src1_sel:DWORD
	s_andn2_b64 s[4:5], s[4:5], exec
	s_and_b64 s[8:9], s[8:9], exec
	s_or_b64 s[4:5], s[4:5], s[8:9]
	s_or_b64 exec, exec, s[6:7]
	s_and_saveexec_b64 s[6:7], s[4:5]
	s_cbranch_execz .LBB1_8349
; %bb.12597:
	s_getpc_b64 s[14:15]
.Lpost_getpc2202:
	s_add_u32 s14, s14, (.LBB1_315-.Lpost_getpc2202)&4294967295
	s_addc_u32 s15, s15, (.LBB1_315-.Lpost_getpc2202)>>32
	s_setpc_b64 s[14:15]
.LBB1_8349:
	s_getpc_b64 s[14:15]
.Lpost_getpc78:
	s_add_u32 s14, s14, (.LBB1_316-.Lpost_getpc78)&4294967295
	s_addc_u32 s15, s15, (.LBB1_316-.Lpost_getpc78)>>32
	s_setpc_b64 s[14:15]
.LBB1_4413:
	s_movk_i32 s4, 0x80
	v_cmp_eq_u16_sdwa s[12:13], v13, s4 src0_sel:BYTE_3 src1_sel:DWORD
	s_mov_b64 s[4:5], -1
                                        ; implicit-def: $sgpr10
	s_and_saveexec_b64 s[8:9], s[12:13]
; %bb.4414:
	s_mov_b32 s10, 0x7f800001
	s_xor_b64 s[4:5], exec, -1
; %bb.4415:
	s_or_b64 exec, exec, s[8:9]
	s_and_b64 s[4:5], s[4:5], exec
	s_or_saveexec_b64 s[6:7], s[6:7]
	v_mov_b32_e32 v16, s10
	s_xor_b64 exec, exec, s[6:7]
	s_cbranch_execnz .LBB1_4416
; %bb.12599:
	s_getpc_b64 s[14:15]
.Lpost_getpc2203:
	s_add_u32 s14, s14, (.LBB1_318-.Lpost_getpc2203)&4294967295
	s_addc_u32 s15, s15, (.LBB1_318-.Lpost_getpc2203)>>32
	s_setpc_b64 s[14:15]
.LBB1_4416:
	v_mov_b32_e32 v16, 0
	v_cmp_ne_u16_sdwa s[8:9], v13, v16 src0_sel:BYTE_3 src1_sel:DWORD
	s_andn2_b64 s[4:5], s[4:5], exec
	s_and_b64 s[8:9], s[8:9], exec
	s_or_b64 s[4:5], s[4:5], s[8:9]
	s_or_b64 exec, exec, s[6:7]
	s_and_saveexec_b64 s[6:7], s[4:5]
	s_cbranch_execz .LBB1_8351
; %bb.12601:
	s_getpc_b64 s[14:15]
.Lpost_getpc2204:
	s_add_u32 s14, s14, (.LBB1_319-.Lpost_getpc2204)&4294967295
	s_addc_u32 s15, s15, (.LBB1_319-.Lpost_getpc2204)>>32
	s_setpc_b64 s[14:15]
.LBB1_8351:
	s_getpc_b64 s[14:15]
.Lpost_getpc79:
	s_add_u32 s14, s14, (.LBB1_320-.Lpost_getpc79)&4294967295
	s_addc_u32 s15, s15, (.LBB1_320-.Lpost_getpc79)>>32
	s_setpc_b64 s[14:15]
.LBB1_4417:
	s_movk_i32 s4, 0x80
	v_cmp_eq_u16_sdwa s[12:13], v18, s4 src0_sel:BYTE_0 src1_sel:DWORD
	s_mov_b64 s[4:5], -1
                                        ; implicit-def: $sgpr10
	s_and_saveexec_b64 s[8:9], s[12:13]
; %bb.4418:
	s_mov_b32 s10, 0x7f800001
	s_xor_b64 s[4:5], exec, -1
; %bb.4419:
	s_or_b64 exec, exec, s[8:9]
	s_and_b64 s[4:5], s[4:5], exec
	s_or_saveexec_b64 s[6:7], s[6:7]
	v_mov_b32_e32 v13, s10
	s_xor_b64 exec, exec, s[6:7]
	s_cbranch_execnz .LBB1_4420
; %bb.12603:
	s_getpc_b64 s[14:15]
.Lpost_getpc2205:
	s_add_u32 s14, s14, (.LBB1_322-.Lpost_getpc2205)&4294967295
	s_addc_u32 s15, s15, (.LBB1_322-.Lpost_getpc2205)>>32
	s_setpc_b64 s[14:15]
.LBB1_4420:
	v_mov_b32_e32 v13, 0
	v_cmp_ne_u16_sdwa s[8:9], v18, v13 src0_sel:BYTE_0 src1_sel:DWORD
	s_andn2_b64 s[4:5], s[4:5], exec
	s_and_b64 s[8:9], s[8:9], exec
	s_or_b64 s[4:5], s[4:5], s[8:9]
	s_or_b64 exec, exec, s[6:7]
	s_and_saveexec_b64 s[6:7], s[4:5]
	s_cbranch_execz .LBB1_8353
; %bb.12605:
	s_getpc_b64 s[14:15]
.Lpost_getpc2206:
	s_add_u32 s14, s14, (.LBB1_323-.Lpost_getpc2206)&4294967295
	s_addc_u32 s15, s15, (.LBB1_323-.Lpost_getpc2206)>>32
	s_setpc_b64 s[14:15]
.LBB1_8353:
	s_getpc_b64 s[14:15]
.Lpost_getpc80:
	s_add_u32 s14, s14, (.LBB1_324-.Lpost_getpc80)&4294967295
	s_addc_u32 s15, s15, (.LBB1_324-.Lpost_getpc80)>>32
	s_setpc_b64 s[14:15]
.LBB1_4421:
	s_movk_i32 s4, 0x80
	v_cmp_eq_u16_sdwa s[12:13], v16, s4 src0_sel:BYTE_0 src1_sel:DWORD
	s_mov_b64 s[4:5], -1
                                        ; implicit-def: $sgpr10
	s_and_saveexec_b64 s[8:9], s[12:13]
; %bb.4422:
	s_mov_b32 s10, 0x7f800001
	s_xor_b64 s[4:5], exec, -1
; %bb.4423:
	s_or_b64 exec, exec, s[8:9]
	s_and_b64 s[4:5], s[4:5], exec
	s_or_saveexec_b64 s[6:7], s[6:7]
	v_mov_b32_e32 v14, s10
	s_xor_b64 exec, exec, s[6:7]
	s_cbranch_execnz .LBB1_4424
; %bb.12607:
	s_getpc_b64 s[14:15]
.Lpost_getpc2207:
	s_add_u32 s14, s14, (.LBB1_326-.Lpost_getpc2207)&4294967295
	s_addc_u32 s15, s15, (.LBB1_326-.Lpost_getpc2207)>>32
	s_setpc_b64 s[14:15]
.LBB1_4424:
	v_mov_b32_e32 v14, 0
	v_cmp_ne_u16_sdwa s[8:9], v16, v14 src0_sel:BYTE_0 src1_sel:DWORD
	s_andn2_b64 s[4:5], s[4:5], exec
	s_and_b64 s[8:9], s[8:9], exec
	s_or_b64 s[4:5], s[4:5], s[8:9]
	s_or_b64 exec, exec, s[6:7]
	v_or_b32_sdwa v12, v16, v12 dst_sel:DWORD dst_unused:UNUSED_PAD src0_sel:WORD_0 src1_sel:DWORD
	s_and_saveexec_b64 s[6:7], s[4:5]
	s_cbranch_execz .LBB1_8355
; %bb.12609:
	s_getpc_b64 s[14:15]
.Lpost_getpc2208:
	s_add_u32 s14, s14, (.LBB1_327-.Lpost_getpc2208)&4294967295
	s_addc_u32 s15, s15, (.LBB1_327-.Lpost_getpc2208)>>32
	s_setpc_b64 s[14:15]
.LBB1_8355:
	s_getpc_b64 s[14:15]
.Lpost_getpc81:
	s_add_u32 s14, s14, (.LBB1_328-.Lpost_getpc81)&4294967295
	s_addc_u32 s15, s15, (.LBB1_328-.Lpost_getpc81)>>32
	s_setpc_b64 s[14:15]
.LBB1_4425:
	s_movk_i32 s4, 0x80
	v_cmp_eq_u16_sdwa s[12:13], v14, s4 src0_sel:BYTE_0 src1_sel:DWORD
	s_mov_b64 s[4:5], -1
                                        ; implicit-def: $sgpr10
	s_and_saveexec_b64 s[8:9], s[12:13]
; %bb.4426:
	s_mov_b32 s10, 0x7f800001
	s_xor_b64 s[4:5], exec, -1
; %bb.4427:
	s_or_b64 exec, exec, s[8:9]
	s_and_b64 s[4:5], s[4:5], exec
	s_or_saveexec_b64 s[6:7], s[6:7]
	v_mov_b32_e32 v13, s10
	s_xor_b64 exec, exec, s[6:7]
	s_cbranch_execnz .LBB1_4428
; %bb.12611:
	s_getpc_b64 s[14:15]
.Lpost_getpc2209:
	s_add_u32 s14, s14, (.LBB1_330-.Lpost_getpc2209)&4294967295
	s_addc_u32 s15, s15, (.LBB1_330-.Lpost_getpc2209)>>32
	s_setpc_b64 s[14:15]
.LBB1_4428:
	v_mov_b32_e32 v13, 0
	v_cmp_ne_u16_sdwa s[8:9], v14, v13 src0_sel:BYTE_0 src1_sel:DWORD
	s_andn2_b64 s[4:5], s[4:5], exec
	s_and_b64 s[8:9], s[8:9], exec
	s_or_b64 s[4:5], s[4:5], s[8:9]
	s_or_b64 exec, exec, s[6:7]
	s_and_saveexec_b64 s[6:7], s[4:5]
	s_cbranch_execz .LBB1_8357
; %bb.12613:
	s_getpc_b64 s[14:15]
.Lpost_getpc2210:
	s_add_u32 s14, s14, (.LBB1_331-.Lpost_getpc2210)&4294967295
	s_addc_u32 s15, s15, (.LBB1_331-.Lpost_getpc2210)>>32
	s_setpc_b64 s[14:15]
.LBB1_8357:
	s_getpc_b64 s[14:15]
.Lpost_getpc82:
	s_add_u32 s14, s14, (.LBB1_332-.Lpost_getpc82)&4294967295
	s_addc_u32 s15, s15, (.LBB1_332-.Lpost_getpc82)>>32
	s_setpc_b64 s[14:15]
.LBB1_4429:
	s_movk_i32 s4, 0x80
	v_cmp_eq_u16_sdwa s[12:13], v14, s4 src0_sel:BYTE_0 src1_sel:DWORD
	s_mov_b64 s[4:5], -1
                                        ; implicit-def: $sgpr10
	s_and_saveexec_b64 s[8:9], s[12:13]
; %bb.4430:
	s_mov_b32 s10, 0x7f800001
	s_xor_b64 s[4:5], exec, -1
; %bb.4431:
	s_or_b64 exec, exec, s[8:9]
	s_and_b64 s[4:5], s[4:5], exec
	s_or_saveexec_b64 s[6:7], s[6:7]
	v_mov_b32_e32 v16, s10
	s_xor_b64 exec, exec, s[6:7]
	s_cbranch_execnz .LBB1_4432
; %bb.12615:
	s_getpc_b64 s[14:15]
.Lpost_getpc2211:
	s_add_u32 s14, s14, (.LBB1_334-.Lpost_getpc2211)&4294967295
	s_addc_u32 s15, s15, (.LBB1_334-.Lpost_getpc2211)>>32
	s_setpc_b64 s[14:15]
.LBB1_4432:
	v_mov_b32_e32 v16, 0
	v_cmp_ne_u16_sdwa s[8:9], v14, v16 src0_sel:BYTE_0 src1_sel:DWORD
	s_andn2_b64 s[4:5], s[4:5], exec
	s_and_b64 s[8:9], s[8:9], exec
	s_or_b64 s[4:5], s[4:5], s[8:9]
	s_or_b64 exec, exec, s[6:7]
	s_and_saveexec_b64 s[6:7], s[4:5]
	s_cbranch_execz .LBB1_8359
; %bb.12617:
	s_getpc_b64 s[14:15]
.Lpost_getpc2212:
	s_add_u32 s14, s14, (.LBB1_335-.Lpost_getpc2212)&4294967295
	s_addc_u32 s15, s15, (.LBB1_335-.Lpost_getpc2212)>>32
	s_setpc_b64 s[14:15]
.LBB1_8359:
	s_getpc_b64 s[14:15]
.Lpost_getpc83:
	s_add_u32 s14, s14, (.LBB1_336-.Lpost_getpc83)&4294967295
	s_addc_u32 s15, s15, (.LBB1_336-.Lpost_getpc83)>>32
	s_setpc_b64 s[14:15]
.LBB1_4433:
	s_movk_i32 s4, 0x80
	v_cmp_eq_u16_e32 vcc, s4, v14
	s_mov_b64 s[4:5], -1
                                        ; implicit-def: $sgpr10
	s_and_saveexec_b64 s[8:9], vcc
; %bb.4434:
	s_mov_b32 s10, 0x7f800001
	s_xor_b64 s[4:5], exec, -1
; %bb.4435:
	s_or_b64 exec, exec, s[8:9]
	s_and_b64 s[4:5], s[4:5], exec
                                        ; implicit-def: $vgpr14
	s_or_saveexec_b64 s[6:7], s[6:7]
	v_mov_b32_e32 v13, s10
	s_xor_b64 exec, exec, s[6:7]
	s_cbranch_execnz .LBB1_4436
; %bb.12619:
	s_getpc_b64 s[14:15]
.Lpost_getpc2213:
	s_add_u32 s14, s14, (.LBB1_338-.Lpost_getpc2213)&4294967295
	s_addc_u32 s15, s15, (.LBB1_338-.Lpost_getpc2213)>>32
	s_setpc_b64 s[14:15]
.LBB1_4436:
	v_cmp_ne_u16_e32 vcc, 0, v14
	s_andn2_b64 s[4:5], s[4:5], exec
	s_and_b64 s[8:9], vcc, exec
	v_mov_b32_e32 v13, 0
	s_or_b64 s[4:5], s[4:5], s[8:9]
	s_or_b64 exec, exec, s[6:7]
	s_and_saveexec_b64 s[6:7], s[4:5]
	s_cbranch_execz .LBB1_8361
; %bb.12621:
	s_getpc_b64 s[14:15]
.Lpost_getpc2214:
	s_add_u32 s14, s14, (.LBB1_339-.Lpost_getpc2214)&4294967295
	s_addc_u32 s15, s15, (.LBB1_339-.Lpost_getpc2214)>>32
	s_setpc_b64 s[14:15]
.LBB1_8361:
	s_getpc_b64 s[14:15]
.Lpost_getpc84:
	s_add_u32 s14, s14, (.LBB1_340-.Lpost_getpc84)&4294967295
	s_addc_u32 s15, s15, (.LBB1_340-.Lpost_getpc84)>>32
	s_setpc_b64 s[14:15]
.LBB1_4437:
	s_movk_i32 s4, 0x80
	v_cmp_eq_u16_e32 vcc, s4, v14
	s_mov_b64 s[4:5], -1
                                        ; implicit-def: $sgpr10
	s_and_saveexec_b64 s[8:9], vcc
; %bb.4438:
	s_mov_b32 s10, 0x7f800001
	s_xor_b64 s[4:5], exec, -1
; %bb.4439:
	s_or_b64 exec, exec, s[8:9]
	s_and_b64 s[4:5], s[4:5], exec
                                        ; implicit-def: $vgpr14
	s_or_saveexec_b64 s[6:7], s[6:7]
	v_mov_b32_e32 v16, s10
	s_xor_b64 exec, exec, s[6:7]
	s_cbranch_execnz .LBB1_4440
; %bb.12623:
	s_getpc_b64 s[14:15]
.Lpost_getpc2215:
	s_add_u32 s14, s14, (.LBB1_342-.Lpost_getpc2215)&4294967295
	s_addc_u32 s15, s15, (.LBB1_342-.Lpost_getpc2215)>>32
	s_setpc_b64 s[14:15]
.LBB1_4440:
	v_cmp_ne_u16_e32 vcc, 0, v14
	s_andn2_b64 s[4:5], s[4:5], exec
	s_and_b64 s[8:9], vcc, exec
	v_mov_b32_e32 v16, 0
	s_or_b64 s[4:5], s[4:5], s[8:9]
	s_or_b64 exec, exec, s[6:7]
	s_and_saveexec_b64 s[6:7], s[4:5]
	s_cbranch_execz .LBB1_8363
; %bb.12625:
	s_getpc_b64 s[14:15]
.Lpost_getpc2216:
	s_add_u32 s14, s14, (.LBB1_343-.Lpost_getpc2216)&4294967295
	s_addc_u32 s15, s15, (.LBB1_343-.Lpost_getpc2216)>>32
	s_setpc_b64 s[14:15]
.LBB1_8363:
	s_getpc_b64 s[14:15]
.Lpost_getpc85:
	s_add_u32 s14, s14, (.LBB1_344-.Lpost_getpc85)&4294967295
	s_addc_u32 s15, s15, (.LBB1_344-.Lpost_getpc85)>>32
	s_setpc_b64 s[14:15]
.LBB1_4441:
	s_movk_i32 s4, 0x80
	v_cmp_eq_u16_sdwa s[12:13], v18, s4 src0_sel:BYTE_3 src1_sel:DWORD
	s_mov_b64 s[4:5], -1
                                        ; implicit-def: $sgpr10
	s_and_saveexec_b64 s[8:9], s[12:13]
; %bb.4442:
	s_mov_b32 s10, 0x7f800001
	s_xor_b64 s[4:5], exec, -1
; %bb.4443:
	s_or_b64 exec, exec, s[8:9]
	s_and_b64 s[4:5], s[4:5], exec
	s_or_saveexec_b64 s[6:7], s[6:7]
	v_mov_b32_e32 v13, s10
	s_xor_b64 exec, exec, s[6:7]
	s_cbranch_execnz .LBB1_4444
; %bb.12627:
	s_getpc_b64 s[14:15]
.Lpost_getpc2217:
	s_add_u32 s14, s14, (.LBB1_346-.Lpost_getpc2217)&4294967295
	s_addc_u32 s15, s15, (.LBB1_346-.Lpost_getpc2217)>>32
	s_setpc_b64 s[14:15]
.LBB1_4444:
	v_mov_b32_e32 v13, 0
	v_cmp_ne_u16_sdwa s[8:9], v18, v13 src0_sel:BYTE_3 src1_sel:DWORD
	s_andn2_b64 s[4:5], s[4:5], exec
	s_and_b64 s[8:9], s[8:9], exec
	s_or_b64 s[4:5], s[4:5], s[8:9]
	s_or_b64 exec, exec, s[6:7]
	s_and_saveexec_b64 s[6:7], s[4:5]
	s_cbranch_execz .LBB1_8365
; %bb.12629:
	s_getpc_b64 s[14:15]
.Lpost_getpc2218:
	s_add_u32 s14, s14, (.LBB1_347-.Lpost_getpc2218)&4294967295
	s_addc_u32 s15, s15, (.LBB1_347-.Lpost_getpc2218)>>32
	s_setpc_b64 s[14:15]
.LBB1_8365:
	s_getpc_b64 s[14:15]
.Lpost_getpc86:
	s_add_u32 s14, s14, (.LBB1_348-.Lpost_getpc86)&4294967295
	s_addc_u32 s15, s15, (.LBB1_348-.Lpost_getpc86)>>32
	s_setpc_b64 s[14:15]
.LBB1_4445:
	s_movk_i32 s4, 0x80
	v_cmp_eq_u16_sdwa s[12:13], v12, s4 src0_sel:BYTE_3 src1_sel:DWORD
	s_mov_b64 s[4:5], -1
                                        ; implicit-def: $sgpr10
	s_and_saveexec_b64 s[8:9], s[12:13]
; %bb.4446:
	s_mov_b32 s10, 0x7f800001
	s_xor_b64 s[4:5], exec, -1
; %bb.4447:
	s_or_b64 exec, exec, s[8:9]
	s_and_b64 s[4:5], s[4:5], exec
	s_or_saveexec_b64 s[6:7], s[6:7]
	v_mov_b32_e32 v14, s10
	s_xor_b64 exec, exec, s[6:7]
	s_cbranch_execnz .LBB1_4448
; %bb.12631:
	s_getpc_b64 s[14:15]
.Lpost_getpc2219:
	s_add_u32 s14, s14, (.LBB1_350-.Lpost_getpc2219)&4294967295
	s_addc_u32 s15, s15, (.LBB1_350-.Lpost_getpc2219)>>32
	s_setpc_b64 s[14:15]
.LBB1_4448:
	v_mov_b32_e32 v14, 0
	v_cmp_ne_u16_sdwa s[8:9], v12, v14 src0_sel:BYTE_3 src1_sel:DWORD
	s_andn2_b64 s[4:5], s[4:5], exec
	s_and_b64 s[8:9], s[8:9], exec
	s_or_b64 s[4:5], s[4:5], s[8:9]
	s_or_b64 exec, exec, s[6:7]
	s_and_saveexec_b64 s[6:7], s[4:5]
	s_cbranch_execz .LBB1_8367
; %bb.12633:
	s_getpc_b64 s[14:15]
.Lpost_getpc2220:
	s_add_u32 s14, s14, (.LBB1_351-.Lpost_getpc2220)&4294967295
	s_addc_u32 s15, s15, (.LBB1_351-.Lpost_getpc2220)>>32
	s_setpc_b64 s[14:15]
.LBB1_8367:
	s_getpc_b64 s[14:15]
.Lpost_getpc87:
	s_add_u32 s14, s14, (.LBB1_352-.Lpost_getpc87)&4294967295
	s_addc_u32 s15, s15, (.LBB1_352-.Lpost_getpc87)>>32
	s_setpc_b64 s[14:15]
.LBB1_4449:
	s_movk_i32 s4, 0x80
	v_cmp_eq_u16_sdwa s[12:13], v19, s4 src0_sel:BYTE_0 src1_sel:DWORD
	s_mov_b64 s[4:5], -1
                                        ; implicit-def: $sgpr10
	s_and_saveexec_b64 s[8:9], s[12:13]
; %bb.4450:
	s_mov_b32 s10, 0x7f800001
	s_xor_b64 s[4:5], exec, -1
; %bb.4451:
	s_or_b64 exec, exec, s[8:9]
	s_and_b64 s[4:5], s[4:5], exec
	s_or_saveexec_b64 s[6:7], s[6:7]
	v_mov_b32_e32 v12, s10
	s_xor_b64 exec, exec, s[6:7]
	s_cbranch_execnz .LBB1_4452
; %bb.12635:
	s_getpc_b64 s[14:15]
.Lpost_getpc2221:
	s_add_u32 s14, s14, (.LBB1_354-.Lpost_getpc2221)&4294967295
	s_addc_u32 s15, s15, (.LBB1_354-.Lpost_getpc2221)>>32
	s_setpc_b64 s[14:15]
.LBB1_4452:
	v_mov_b32_e32 v12, 0
	v_cmp_ne_u16_sdwa s[8:9], v19, v12 src0_sel:BYTE_0 src1_sel:DWORD
	s_andn2_b64 s[4:5], s[4:5], exec
	s_and_b64 s[8:9], s[8:9], exec
	s_or_b64 s[4:5], s[4:5], s[8:9]
	s_or_b64 exec, exec, s[6:7]
	s_and_saveexec_b64 s[6:7], s[4:5]
	s_cbranch_execz .LBB1_8369
; %bb.12637:
	s_getpc_b64 s[14:15]
.Lpost_getpc2222:
	s_add_u32 s14, s14, (.LBB1_355-.Lpost_getpc2222)&4294967295
	s_addc_u32 s15, s15, (.LBB1_355-.Lpost_getpc2222)>>32
	s_setpc_b64 s[14:15]
.LBB1_8369:
	s_getpc_b64 s[14:15]
.Lpost_getpc88:
	s_add_u32 s14, s14, (.LBB1_356-.Lpost_getpc88)&4294967295
	s_addc_u32 s15, s15, (.LBB1_356-.Lpost_getpc88)>>32
	s_setpc_b64 s[14:15]
.LBB1_4453:
	s_movk_i32 s4, 0x80
	v_cmp_eq_u16_sdwa s[12:13], v15, s4 src0_sel:BYTE_0 src1_sel:DWORD
	s_mov_b64 s[4:5], -1
                                        ; implicit-def: $sgpr10
	s_and_saveexec_b64 s[8:9], s[12:13]
; %bb.4454:
	s_mov_b32 s10, 0x7f800001
	s_xor_b64 s[4:5], exec, -1
; %bb.4455:
	s_or_b64 exec, exec, s[8:9]
	s_and_b64 s[4:5], s[4:5], exec
	s_or_saveexec_b64 s[6:7], s[6:7]
	v_mov_b32_e32 v13, s10
	s_xor_b64 exec, exec, s[6:7]
	s_cbranch_execnz .LBB1_4456
; %bb.12639:
	s_getpc_b64 s[14:15]
.Lpost_getpc2223:
	s_add_u32 s14, s14, (.LBB1_358-.Lpost_getpc2223)&4294967295
	s_addc_u32 s15, s15, (.LBB1_358-.Lpost_getpc2223)>>32
	s_setpc_b64 s[14:15]
.LBB1_4456:
	v_mov_b32_e32 v13, 0
	v_cmp_ne_u16_sdwa s[8:9], v15, v13 src0_sel:BYTE_0 src1_sel:DWORD
	s_andn2_b64 s[4:5], s[4:5], exec
	s_and_b64 s[8:9], s[8:9], exec
	s_or_b64 s[4:5], s[4:5], s[8:9]
	s_or_b64 exec, exec, s[6:7]
	s_and_saveexec_b64 s[6:7], s[4:5]
	s_cbranch_execz .LBB1_8371
; %bb.12641:
	s_getpc_b64 s[14:15]
.Lpost_getpc2224:
	s_add_u32 s14, s14, (.LBB1_359-.Lpost_getpc2224)&4294967295
	s_addc_u32 s15, s15, (.LBB1_359-.Lpost_getpc2224)>>32
	s_setpc_b64 s[14:15]
.LBB1_8371:
	s_getpc_b64 s[14:15]
.Lpost_getpc89:
	s_add_u32 s14, s14, (.LBB1_360-.Lpost_getpc89)&4294967295
	s_addc_u32 s15, s15, (.LBB1_360-.Lpost_getpc89)>>32
	s_setpc_b64 s[14:15]
.LBB1_4457:
	s_movk_i32 s4, 0x80
	v_cmp_eq_u16_sdwa s[12:13], v13, s4 src0_sel:BYTE_0 src1_sel:DWORD
	s_mov_b64 s[4:5], -1
                                        ; implicit-def: $sgpr10
	s_and_saveexec_b64 s[8:9], s[12:13]
; %bb.4458:
	s_mov_b32 s10, 0x7f800001
	s_xor_b64 s[4:5], exec, -1
; %bb.4459:
	s_or_b64 exec, exec, s[8:9]
	s_and_b64 s[4:5], s[4:5], exec
	s_or_saveexec_b64 s[6:7], s[6:7]
	v_mov_b32_e32 v12, s10
	s_xor_b64 exec, exec, s[6:7]
	s_cbranch_execnz .LBB1_4460
; %bb.12643:
	s_getpc_b64 s[14:15]
.Lpost_getpc2225:
	s_add_u32 s14, s14, (.LBB1_362-.Lpost_getpc2225)&4294967295
	s_addc_u32 s15, s15, (.LBB1_362-.Lpost_getpc2225)>>32
	s_setpc_b64 s[14:15]
.LBB1_4460:
	v_mov_b32_e32 v12, 0
	v_cmp_ne_u16_sdwa s[8:9], v13, v12 src0_sel:BYTE_0 src1_sel:DWORD
	s_andn2_b64 s[4:5], s[4:5], exec
	s_and_b64 s[8:9], s[8:9], exec
	s_or_b64 s[4:5], s[4:5], s[8:9]
	s_or_b64 exec, exec, s[6:7]
	s_and_saveexec_b64 s[6:7], s[4:5]
	s_cbranch_execz .LBB1_8373
; %bb.12645:
	s_getpc_b64 s[14:15]
.Lpost_getpc2226:
	s_add_u32 s14, s14, (.LBB1_363-.Lpost_getpc2226)&4294967295
	s_addc_u32 s15, s15, (.LBB1_363-.Lpost_getpc2226)>>32
	s_setpc_b64 s[14:15]
.LBB1_8373:
	s_getpc_b64 s[14:15]
.Lpost_getpc90:
	s_add_u32 s14, s14, (.LBB1_364-.Lpost_getpc90)&4294967295
	s_addc_u32 s15, s15, (.LBB1_364-.Lpost_getpc90)>>32
	s_setpc_b64 s[14:15]
.LBB1_4461:
	s_movk_i32 s4, 0x80
	v_cmp_eq_u16_sdwa s[12:13], v13, s4 src0_sel:BYTE_0 src1_sel:DWORD
	s_mov_b64 s[4:5], -1
                                        ; implicit-def: $sgpr10
	s_and_saveexec_b64 s[8:9], s[12:13]
; %bb.4462:
	s_mov_b32 s10, 0x7f800001
	s_xor_b64 s[4:5], exec, -1
; %bb.4463:
	s_or_b64 exec, exec, s[8:9]
	s_and_b64 s[4:5], s[4:5], exec
	s_or_saveexec_b64 s[6:7], s[6:7]
	v_mov_b32_e32 v14, s10
	s_xor_b64 exec, exec, s[6:7]
	s_cbranch_execnz .LBB1_4464
; %bb.12647:
	s_getpc_b64 s[14:15]
.Lpost_getpc2227:
	s_add_u32 s14, s14, (.LBB1_366-.Lpost_getpc2227)&4294967295
	s_addc_u32 s15, s15, (.LBB1_366-.Lpost_getpc2227)>>32
	s_setpc_b64 s[14:15]
.LBB1_4464:
	v_mov_b32_e32 v14, 0
	v_cmp_ne_u16_sdwa s[8:9], v13, v14 src0_sel:BYTE_0 src1_sel:DWORD
	s_andn2_b64 s[4:5], s[4:5], exec
	s_and_b64 s[8:9], s[8:9], exec
	s_or_b64 s[4:5], s[4:5], s[8:9]
	s_or_b64 exec, exec, s[6:7]
	s_and_saveexec_b64 s[6:7], s[4:5]
	s_cbranch_execz .LBB1_8375
; %bb.12649:
	s_getpc_b64 s[14:15]
.Lpost_getpc2228:
	s_add_u32 s14, s14, (.LBB1_367-.Lpost_getpc2228)&4294967295
	s_addc_u32 s15, s15, (.LBB1_367-.Lpost_getpc2228)>>32
	s_setpc_b64 s[14:15]
.LBB1_8375:
	s_getpc_b64 s[14:15]
.Lpost_getpc91:
	s_add_u32 s14, s14, (.LBB1_368-.Lpost_getpc91)&4294967295
	s_addc_u32 s15, s15, (.LBB1_368-.Lpost_getpc91)>>32
	s_setpc_b64 s[14:15]
.LBB1_4465:
	s_movk_i32 s4, 0x80
	v_cmp_eq_u16_e32 vcc, s4, v13
	s_mov_b64 s[4:5], -1
                                        ; implicit-def: $sgpr10
	s_and_saveexec_b64 s[8:9], vcc
; %bb.4466:
	s_mov_b32 s10, 0x7f800001
	s_xor_b64 s[4:5], exec, -1
; %bb.4467:
	s_or_b64 exec, exec, s[8:9]
	s_and_b64 s[4:5], s[4:5], exec
                                        ; implicit-def: $vgpr13
	s_or_saveexec_b64 s[6:7], s[6:7]
	v_mov_b32_e32 v12, s10
	s_xor_b64 exec, exec, s[6:7]
	s_cbranch_execnz .LBB1_4468
; %bb.12651:
	s_getpc_b64 s[14:15]
.Lpost_getpc2229:
	s_add_u32 s14, s14, (.LBB1_370-.Lpost_getpc2229)&4294967295
	s_addc_u32 s15, s15, (.LBB1_370-.Lpost_getpc2229)>>32
	s_setpc_b64 s[14:15]
.LBB1_4468:
	v_cmp_ne_u16_e32 vcc, 0, v13
	s_andn2_b64 s[4:5], s[4:5], exec
	s_and_b64 s[8:9], vcc, exec
	v_mov_b32_e32 v12, 0
	s_or_b64 s[4:5], s[4:5], s[8:9]
	s_or_b64 exec, exec, s[6:7]
	s_and_saveexec_b64 s[6:7], s[4:5]
	s_cbranch_execz .LBB1_8377
; %bb.12653:
	s_getpc_b64 s[14:15]
.Lpost_getpc2230:
	s_add_u32 s14, s14, (.LBB1_371-.Lpost_getpc2230)&4294967295
	s_addc_u32 s15, s15, (.LBB1_371-.Lpost_getpc2230)>>32
	s_setpc_b64 s[14:15]
.LBB1_8377:
	s_getpc_b64 s[14:15]
.Lpost_getpc92:
	s_add_u32 s14, s14, (.LBB1_372-.Lpost_getpc92)&4294967295
	s_addc_u32 s15, s15, (.LBB1_372-.Lpost_getpc92)>>32
	s_setpc_b64 s[14:15]
.LBB1_4469:
	s_movk_i32 s4, 0x80
	v_cmp_eq_u16_e32 vcc, s4, v13
	s_mov_b64 s[4:5], -1
                                        ; implicit-def: $sgpr10
	s_and_saveexec_b64 s[8:9], vcc
; %bb.4470:
	s_mov_b32 s10, 0x7f800001
	s_xor_b64 s[4:5], exec, -1
; %bb.4471:
	s_or_b64 exec, exec, s[8:9]
	s_and_b64 s[4:5], s[4:5], exec
                                        ; implicit-def: $vgpr13
	s_or_saveexec_b64 s[6:7], s[6:7]
	v_mov_b32_e32 v14, s10
	s_xor_b64 exec, exec, s[6:7]
	s_cbranch_execnz .LBB1_4472
; %bb.12655:
	s_getpc_b64 s[14:15]
.Lpost_getpc2231:
	s_add_u32 s14, s14, (.LBB1_374-.Lpost_getpc2231)&4294967295
	s_addc_u32 s15, s15, (.LBB1_374-.Lpost_getpc2231)>>32
	s_setpc_b64 s[14:15]
.LBB1_4472:
	v_cmp_ne_u16_e32 vcc, 0, v13
	s_andn2_b64 s[4:5], s[4:5], exec
	s_and_b64 s[8:9], vcc, exec
	v_mov_b32_e32 v14, 0
	s_or_b64 s[4:5], s[4:5], s[8:9]
	s_or_b64 exec, exec, s[6:7]
	s_and_saveexec_b64 s[6:7], s[4:5]
	s_cbranch_execz .LBB1_8379
; %bb.12657:
	s_getpc_b64 s[14:15]
.Lpost_getpc2232:
	s_add_u32 s14, s14, (.LBB1_375-.Lpost_getpc2232)&4294967295
	s_addc_u32 s15, s15, (.LBB1_375-.Lpost_getpc2232)>>32
	s_setpc_b64 s[14:15]
.LBB1_8379:
	s_getpc_b64 s[14:15]
.Lpost_getpc93:
	s_add_u32 s14, s14, (.LBB1_376-.Lpost_getpc93)&4294967295
	s_addc_u32 s15, s15, (.LBB1_376-.Lpost_getpc93)>>32
	s_setpc_b64 s[14:15]
.LBB1_4473:
	s_movk_i32 s4, 0x80
	v_cmp_eq_u16_sdwa s[12:13], v19, s4 src0_sel:BYTE_3 src1_sel:DWORD
	s_mov_b64 s[4:5], -1
                                        ; implicit-def: $sgpr10
	s_and_saveexec_b64 s[8:9], s[12:13]
; %bb.4474:
	s_mov_b32 s10, 0x7f800001
	s_xor_b64 s[4:5], exec, -1
; %bb.4475:
	s_or_b64 exec, exec, s[8:9]
	s_and_b64 s[4:5], s[4:5], exec
	s_or_saveexec_b64 s[6:7], s[6:7]
	v_mov_b32_e32 v12, s10
	s_xor_b64 exec, exec, s[6:7]
	s_cbranch_execnz .LBB1_4476
; %bb.12659:
	s_getpc_b64 s[14:15]
.Lpost_getpc2233:
	s_add_u32 s14, s14, (.LBB1_378-.Lpost_getpc2233)&4294967295
	s_addc_u32 s15, s15, (.LBB1_378-.Lpost_getpc2233)>>32
	s_setpc_b64 s[14:15]
.LBB1_4476:
	v_mov_b32_e32 v12, 0
	v_cmp_ne_u16_sdwa s[8:9], v19, v12 src0_sel:BYTE_3 src1_sel:DWORD
	s_andn2_b64 s[4:5], s[4:5], exec
	s_and_b64 s[8:9], s[8:9], exec
	s_or_b64 s[4:5], s[4:5], s[8:9]
	s_or_b64 exec, exec, s[6:7]
	s_and_saveexec_b64 s[6:7], s[4:5]
	s_cbranch_execz .LBB1_8381
; %bb.12661:
	s_getpc_b64 s[14:15]
.Lpost_getpc2234:
	s_add_u32 s14, s14, (.LBB1_379-.Lpost_getpc2234)&4294967295
	s_addc_u32 s15, s15, (.LBB1_379-.Lpost_getpc2234)>>32
	s_setpc_b64 s[14:15]
.LBB1_8381:
	s_getpc_b64 s[14:15]
.Lpost_getpc94:
	s_add_u32 s14, s14, (.LBB1_380-.Lpost_getpc94)&4294967295
	s_addc_u32 s15, s15, (.LBB1_380-.Lpost_getpc94)>>32
	s_setpc_b64 s[14:15]
.LBB1_4477:
	s_movk_i32 s4, 0x80
	v_cmp_eq_u16_sdwa s[12:13], v15, s4 src0_sel:BYTE_3 src1_sel:DWORD
	s_mov_b64 s[4:5], -1
                                        ; implicit-def: $sgpr10
	s_and_saveexec_b64 s[8:9], s[12:13]
; %bb.4478:
	s_mov_b32 s10, 0x7f800001
	s_xor_b64 s[4:5], exec, -1
; %bb.4479:
	s_or_b64 exec, exec, s[8:9]
	s_and_b64 s[4:5], s[4:5], exec
	s_or_saveexec_b64 s[6:7], s[6:7]
	v_mov_b32_e32 v13, s10
	s_xor_b64 exec, exec, s[6:7]
	s_cbranch_execnz .LBB1_4480
; %bb.12663:
	s_getpc_b64 s[14:15]
.Lpost_getpc2235:
	s_add_u32 s14, s14, (.LBB1_382-.Lpost_getpc2235)&4294967295
	s_addc_u32 s15, s15, (.LBB1_382-.Lpost_getpc2235)>>32
	s_setpc_b64 s[14:15]
.LBB1_4480:
	v_mov_b32_e32 v13, 0
	v_cmp_ne_u16_sdwa s[8:9], v15, v13 src0_sel:BYTE_3 src1_sel:DWORD
	s_andn2_b64 s[4:5], s[4:5], exec
	s_and_b64 s[8:9], s[8:9], exec
	s_or_b64 s[4:5], s[4:5], s[8:9]
	s_or_b64 exec, exec, s[6:7]
	s_and_saveexec_b64 s[6:7], s[4:5]
	s_cbranch_execz .LBB1_8383
; %bb.12665:
	s_getpc_b64 s[14:15]
.Lpost_getpc2236:
	s_add_u32 s14, s14, (.LBB1_383-.Lpost_getpc2236)&4294967295
	s_addc_u32 s15, s15, (.LBB1_383-.Lpost_getpc2236)>>32
	s_setpc_b64 s[14:15]
.LBB1_8383:
	s_getpc_b64 s[14:15]
.Lpost_getpc95:
	s_add_u32 s14, s14, (.LBB1_384-.Lpost_getpc95)&4294967295
	s_addc_u32 s15, s15, (.LBB1_384-.Lpost_getpc95)>>32
	s_setpc_b64 s[14:15]
.LBB1_4481:
	s_movk_i32 s4, 0x80
	v_cmp_eq_u16_sdwa s[12:13], v16, s4 src0_sel:BYTE_0 src1_sel:DWORD
	s_mov_b64 s[4:5], -1
                                        ; implicit-def: $sgpr10
	s_and_saveexec_b64 s[8:9], s[12:13]
; %bb.4482:
	s_mov_b32 s10, 0x7f800001
	s_xor_b64 s[4:5], exec, -1
; %bb.4483:
	s_or_b64 exec, exec, s[8:9]
	s_and_b64 s[4:5], s[4:5], exec
	s_or_saveexec_b64 s[6:7], s[6:7]
	v_mov_b32_e32 v21, s10
	s_xor_b64 exec, exec, s[6:7]
	s_cbranch_execnz .LBB1_4484
; %bb.12667:
	s_getpc_b64 s[14:15]
.Lpost_getpc2237:
	s_add_u32 s14, s14, (.LBB1_386-.Lpost_getpc2237)&4294967295
	s_addc_u32 s15, s15, (.LBB1_386-.Lpost_getpc2237)>>32
	s_setpc_b64 s[14:15]
.LBB1_4484:
	v_mov_b32_e32 v21, 0
	v_cmp_ne_u16_sdwa s[8:9], v16, v21 src0_sel:BYTE_0 src1_sel:DWORD
	s_andn2_b64 s[4:5], s[4:5], exec
	s_and_b64 s[8:9], s[8:9], exec
	s_or_b64 s[4:5], s[4:5], s[8:9]
	s_or_b64 exec, exec, s[6:7]
	s_and_saveexec_b64 s[6:7], s[4:5]
	s_cbranch_execz .LBB1_8385
; %bb.12669:
	s_getpc_b64 s[14:15]
.Lpost_getpc2238:
	s_add_u32 s14, s14, (.LBB1_387-.Lpost_getpc2238)&4294967295
	s_addc_u32 s15, s15, (.LBB1_387-.Lpost_getpc2238)>>32
	s_setpc_b64 s[14:15]
.LBB1_8385:
	s_getpc_b64 s[14:15]
.Lpost_getpc96:
	s_add_u32 s14, s14, (.LBB1_388-.Lpost_getpc96)&4294967295
	s_addc_u32 s15, s15, (.LBB1_388-.Lpost_getpc96)>>32
	s_setpc_b64 s[14:15]
.LBB1_4485:
	s_movk_i32 s4, 0x80
	v_cmp_eq_u16_sdwa s[12:13], v12, s4 src0_sel:BYTE_0 src1_sel:DWORD
	s_mov_b64 s[4:5], -1
                                        ; implicit-def: $sgpr10
	s_and_saveexec_b64 s[8:9], s[12:13]
; %bb.4486:
	s_mov_b32 s10, 0x7f800001
	s_xor_b64 s[4:5], exec, -1
; %bb.4487:
	s_or_b64 exec, exec, s[8:9]
	s_and_b64 s[4:5], s[4:5], exec
	s_or_saveexec_b64 s[6:7], s[6:7]
	v_mov_b32_e32 v22, s10
	s_xor_b64 exec, exec, s[6:7]
	s_cbranch_execnz .LBB1_4488
; %bb.12671:
	s_getpc_b64 s[14:15]
.Lpost_getpc2239:
	s_add_u32 s14, s14, (.LBB1_390-.Lpost_getpc2239)&4294967295
	s_addc_u32 s15, s15, (.LBB1_390-.Lpost_getpc2239)>>32
	s_setpc_b64 s[14:15]
.LBB1_4488:
	v_mov_b32_e32 v22, 0
	v_cmp_ne_u16_sdwa s[8:9], v12, v22 src0_sel:BYTE_0 src1_sel:DWORD
	s_andn2_b64 s[4:5], s[4:5], exec
	s_and_b64 s[8:9], s[8:9], exec
	s_or_b64 s[4:5], s[4:5], s[8:9]
	s_or_b64 exec, exec, s[6:7]
	s_and_saveexec_b64 s[6:7], s[4:5]
	s_cbranch_execz .LBB1_8387
; %bb.12673:
	s_getpc_b64 s[14:15]
.Lpost_getpc2240:
	s_add_u32 s14, s14, (.LBB1_391-.Lpost_getpc2240)&4294967295
	s_addc_u32 s15, s15, (.LBB1_391-.Lpost_getpc2240)>>32
	s_setpc_b64 s[14:15]
.LBB1_8387:
	s_getpc_b64 s[14:15]
.Lpost_getpc97:
	s_add_u32 s14, s14, (.LBB1_392-.Lpost_getpc97)&4294967295
	s_addc_u32 s15, s15, (.LBB1_392-.Lpost_getpc97)>>32
	s_setpc_b64 s[14:15]
.LBB1_4489:
	s_movk_i32 s4, 0x80
	v_cmp_eq_u16_sdwa s[12:13], v22, s4 src0_sel:BYTE_0 src1_sel:DWORD
	s_mov_b64 s[4:5], -1
                                        ; implicit-def: $sgpr10
	s_and_saveexec_b64 s[8:9], s[12:13]
; %bb.4490:
	s_mov_b32 s10, 0x7f800001
	s_xor_b64 s[4:5], exec, -1
; %bb.4491:
	s_or_b64 exec, exec, s[8:9]
	s_and_b64 s[4:5], s[4:5], exec
	s_or_saveexec_b64 s[6:7], s[6:7]
	v_mov_b32_e32 v21, s10
	s_xor_b64 exec, exec, s[6:7]
	s_cbranch_execnz .LBB1_4492
; %bb.12675:
	s_getpc_b64 s[14:15]
.Lpost_getpc2241:
	s_add_u32 s14, s14, (.LBB1_394-.Lpost_getpc2241)&4294967295
	s_addc_u32 s15, s15, (.LBB1_394-.Lpost_getpc2241)>>32
	s_setpc_b64 s[14:15]
.LBB1_4492:
	v_mov_b32_e32 v21, 0
	v_cmp_ne_u16_sdwa s[8:9], v22, v21 src0_sel:BYTE_0 src1_sel:DWORD
	s_andn2_b64 s[4:5], s[4:5], exec
	s_and_b64 s[8:9], s[8:9], exec
	s_or_b64 s[4:5], s[4:5], s[8:9]
	s_or_b64 exec, exec, s[6:7]
	s_and_saveexec_b64 s[6:7], s[4:5]
	s_cbranch_execz .LBB1_8389
; %bb.12677:
	s_getpc_b64 s[14:15]
.Lpost_getpc2242:
	s_add_u32 s14, s14, (.LBB1_395-.Lpost_getpc2242)&4294967295
	s_addc_u32 s15, s15, (.LBB1_395-.Lpost_getpc2242)>>32
	s_setpc_b64 s[14:15]
.LBB1_8389:
	s_getpc_b64 s[14:15]
.Lpost_getpc98:
	s_add_u32 s14, s14, (.LBB1_396-.Lpost_getpc98)&4294967295
	s_addc_u32 s15, s15, (.LBB1_396-.Lpost_getpc98)>>32
	s_setpc_b64 s[14:15]
.LBB1_4493:
	s_movk_i32 s4, 0x80
	v_cmp_eq_u16_sdwa s[12:13], v22, s4 src0_sel:BYTE_0 src1_sel:DWORD
	s_mov_b64 s[4:5], -1
                                        ; implicit-def: $sgpr10
	s_and_saveexec_b64 s[8:9], s[12:13]
; %bb.4494:
	s_mov_b32 s10, 0x7f800001
	s_xor_b64 s[4:5], exec, -1
; %bb.4495:
	s_or_b64 exec, exec, s[8:9]
	s_and_b64 s[4:5], s[4:5], exec
	s_or_saveexec_b64 s[6:7], s[6:7]
	v_mov_b32_e32 v23, s10
	s_xor_b64 exec, exec, s[6:7]
	s_cbranch_execnz .LBB1_4496
; %bb.12679:
	s_getpc_b64 s[14:15]
.Lpost_getpc2243:
	s_add_u32 s14, s14, (.LBB1_398-.Lpost_getpc2243)&4294967295
	s_addc_u32 s15, s15, (.LBB1_398-.Lpost_getpc2243)>>32
	s_setpc_b64 s[14:15]
.LBB1_4496:
	v_mov_b32_e32 v23, 0
	v_cmp_ne_u16_sdwa s[8:9], v22, v23 src0_sel:BYTE_0 src1_sel:DWORD
	s_andn2_b64 s[4:5], s[4:5], exec
	s_and_b64 s[8:9], s[8:9], exec
	s_or_b64 s[4:5], s[4:5], s[8:9]
	s_or_b64 exec, exec, s[6:7]
	s_and_saveexec_b64 s[6:7], s[4:5]
	s_cbranch_execz .LBB1_8391
; %bb.12681:
	s_getpc_b64 s[14:15]
.Lpost_getpc2244:
	s_add_u32 s14, s14, (.LBB1_399-.Lpost_getpc2244)&4294967295
	s_addc_u32 s15, s15, (.LBB1_399-.Lpost_getpc2244)>>32
	s_setpc_b64 s[14:15]
.LBB1_8391:
	s_getpc_b64 s[14:15]
.Lpost_getpc99:
	s_add_u32 s14, s14, (.LBB1_400-.Lpost_getpc99)&4294967295
	s_addc_u32 s15, s15, (.LBB1_400-.Lpost_getpc99)>>32
	s_setpc_b64 s[14:15]
.LBB1_4497:
	s_movk_i32 s4, 0x80
	v_cmp_eq_u16_e32 vcc, s4, v22
	s_mov_b64 s[4:5], -1
                                        ; implicit-def: $sgpr10
	s_and_saveexec_b64 s[8:9], vcc
; %bb.4498:
	s_mov_b32 s10, 0x7f800001
	s_xor_b64 s[4:5], exec, -1
; %bb.4499:
	s_or_b64 exec, exec, s[8:9]
	s_and_b64 s[4:5], s[4:5], exec
                                        ; implicit-def: $vgpr22
	s_or_saveexec_b64 s[6:7], s[6:7]
	v_mov_b32_e32 v21, s10
	s_xor_b64 exec, exec, s[6:7]
	s_cbranch_execnz .LBB1_4500
; %bb.12683:
	s_getpc_b64 s[14:15]
.Lpost_getpc2245:
	s_add_u32 s14, s14, (.LBB1_402-.Lpost_getpc2245)&4294967295
	s_addc_u32 s15, s15, (.LBB1_402-.Lpost_getpc2245)>>32
	s_setpc_b64 s[14:15]
.LBB1_4500:
	v_cmp_ne_u16_e32 vcc, 0, v22
	s_andn2_b64 s[4:5], s[4:5], exec
	s_and_b64 s[8:9], vcc, exec
	v_mov_b32_e32 v21, 0
	s_or_b64 s[4:5], s[4:5], s[8:9]
	s_or_b64 exec, exec, s[6:7]
	s_and_saveexec_b64 s[6:7], s[4:5]
	s_cbranch_execz .LBB1_8393
; %bb.12685:
	s_getpc_b64 s[14:15]
.Lpost_getpc2246:
	s_add_u32 s14, s14, (.LBB1_403-.Lpost_getpc2246)&4294967295
	s_addc_u32 s15, s15, (.LBB1_403-.Lpost_getpc2246)>>32
	s_setpc_b64 s[14:15]
.LBB1_8393:
	s_getpc_b64 s[14:15]
.Lpost_getpc100:
	s_add_u32 s14, s14, (.LBB1_404-.Lpost_getpc100)&4294967295
	s_addc_u32 s15, s15, (.LBB1_404-.Lpost_getpc100)>>32
	s_setpc_b64 s[14:15]
.LBB1_4501:
	s_movk_i32 s4, 0x80
	v_cmp_eq_u16_e32 vcc, s4, v22
	s_mov_b64 s[4:5], -1
                                        ; implicit-def: $sgpr10
	s_and_saveexec_b64 s[8:9], vcc
; %bb.4502:
	s_mov_b32 s10, 0x7f800001
	s_xor_b64 s[4:5], exec, -1
; %bb.4503:
	s_or_b64 exec, exec, s[8:9]
	s_and_b64 s[4:5], s[4:5], exec
                                        ; implicit-def: $vgpr22
	s_or_saveexec_b64 s[6:7], s[6:7]
	v_mov_b32_e32 v23, s10
	s_xor_b64 exec, exec, s[6:7]
	s_cbranch_execnz .LBB1_4504
; %bb.12687:
	s_getpc_b64 s[14:15]
.Lpost_getpc2247:
	s_add_u32 s14, s14, (.LBB1_406-.Lpost_getpc2247)&4294967295
	s_addc_u32 s15, s15, (.LBB1_406-.Lpost_getpc2247)>>32
	s_setpc_b64 s[14:15]
.LBB1_4504:
	v_cmp_ne_u16_e32 vcc, 0, v22
	s_andn2_b64 s[4:5], s[4:5], exec
	s_and_b64 s[8:9], vcc, exec
	v_mov_b32_e32 v23, 0
	s_or_b64 s[4:5], s[4:5], s[8:9]
	s_or_b64 exec, exec, s[6:7]
	s_and_saveexec_b64 s[6:7], s[4:5]
	s_cbranch_execz .LBB1_8395
; %bb.12689:
	s_getpc_b64 s[14:15]
.Lpost_getpc2248:
	s_add_u32 s14, s14, (.LBB1_407-.Lpost_getpc2248)&4294967295
	s_addc_u32 s15, s15, (.LBB1_407-.Lpost_getpc2248)>>32
	s_setpc_b64 s[14:15]
.LBB1_8395:
	s_getpc_b64 s[14:15]
.Lpost_getpc101:
	s_add_u32 s14, s14, (.LBB1_408-.Lpost_getpc101)&4294967295
	s_addc_u32 s15, s15, (.LBB1_408-.Lpost_getpc101)>>32
	s_setpc_b64 s[14:15]
.LBB1_4505:
	s_movk_i32 s4, 0x80
	v_cmp_eq_u16_sdwa s[12:13], v16, s4 src0_sel:BYTE_3 src1_sel:DWORD
	s_mov_b64 s[4:5], -1
                                        ; implicit-def: $sgpr10
	s_and_saveexec_b64 s[8:9], s[12:13]
; %bb.4506:
	s_mov_b32 s10, 0x7f800001
	s_xor_b64 s[4:5], exec, -1
; %bb.4507:
	s_or_b64 exec, exec, s[8:9]
	s_and_b64 s[4:5], s[4:5], exec
	s_or_saveexec_b64 s[6:7], s[6:7]
	v_mov_b32_e32 v21, s10
	s_xor_b64 exec, exec, s[6:7]
	s_cbranch_execnz .LBB1_4508
; %bb.12691:
	s_getpc_b64 s[14:15]
.Lpost_getpc2249:
	s_add_u32 s14, s14, (.LBB1_410-.Lpost_getpc2249)&4294967295
	s_addc_u32 s15, s15, (.LBB1_410-.Lpost_getpc2249)>>32
	s_setpc_b64 s[14:15]
.LBB1_4508:
	v_mov_b32_e32 v21, 0
	v_cmp_ne_u16_sdwa s[8:9], v16, v21 src0_sel:BYTE_3 src1_sel:DWORD
	s_andn2_b64 s[4:5], s[4:5], exec
	s_and_b64 s[8:9], s[8:9], exec
	s_or_b64 s[4:5], s[4:5], s[8:9]
	s_or_b64 exec, exec, s[6:7]
	s_and_saveexec_b64 s[6:7], s[4:5]
	s_cbranch_execz .LBB1_8397
; %bb.12693:
	s_getpc_b64 s[14:15]
.Lpost_getpc2250:
	s_add_u32 s14, s14, (.LBB1_411-.Lpost_getpc2250)&4294967295
	s_addc_u32 s15, s15, (.LBB1_411-.Lpost_getpc2250)>>32
	s_setpc_b64 s[14:15]
.LBB1_8397:
	s_getpc_b64 s[14:15]
.Lpost_getpc102:
	s_add_u32 s14, s14, (.LBB1_412-.Lpost_getpc102)&4294967295
	s_addc_u32 s15, s15, (.LBB1_412-.Lpost_getpc102)>>32
	s_setpc_b64 s[14:15]
.LBB1_4509:
	s_movk_i32 s4, 0x80
	v_cmp_eq_u16_sdwa s[12:13], v12, s4 src0_sel:BYTE_3 src1_sel:DWORD
	s_mov_b64 s[4:5], -1
                                        ; implicit-def: $sgpr10
	s_and_saveexec_b64 s[8:9], s[12:13]
; %bb.4510:
	s_mov_b32 s10, 0x7f800001
	s_xor_b64 s[4:5], exec, -1
; %bb.4511:
	s_or_b64 exec, exec, s[8:9]
	s_and_b64 s[4:5], s[4:5], exec
	s_or_saveexec_b64 s[6:7], s[6:7]
	v_mov_b32_e32 v16, s10
	s_xor_b64 exec, exec, s[6:7]
	s_cbranch_execnz .LBB1_4512
; %bb.12695:
	s_getpc_b64 s[14:15]
.Lpost_getpc2251:
	s_add_u32 s14, s14, (.LBB1_414-.Lpost_getpc2251)&4294967295
	s_addc_u32 s15, s15, (.LBB1_414-.Lpost_getpc2251)>>32
	s_setpc_b64 s[14:15]
.LBB1_4512:
	v_mov_b32_e32 v16, 0
	v_cmp_ne_u16_sdwa s[8:9], v12, v16 src0_sel:BYTE_3 src1_sel:DWORD
	s_andn2_b64 s[4:5], s[4:5], exec
	s_and_b64 s[8:9], s[8:9], exec
	s_or_b64 s[4:5], s[4:5], s[8:9]
	s_or_b64 exec, exec, s[6:7]
	s_and_saveexec_b64 s[6:7], s[4:5]
	s_cbranch_execz .LBB1_8399
; %bb.12697:
	s_getpc_b64 s[14:15]
.Lpost_getpc2252:
	s_add_u32 s14, s14, (.LBB1_415-.Lpost_getpc2252)&4294967295
	s_addc_u32 s15, s15, (.LBB1_415-.Lpost_getpc2252)>>32
	s_setpc_b64 s[14:15]
.LBB1_8399:
	s_getpc_b64 s[14:15]
.Lpost_getpc103:
	s_add_u32 s14, s14, (.LBB1_416-.Lpost_getpc103)&4294967295
	s_addc_u32 s15, s15, (.LBB1_416-.Lpost_getpc103)>>32
	s_setpc_b64 s[14:15]
.LBB1_4513:
	s_movk_i32 s4, 0x80
	v_cmp_eq_u16_sdwa s[12:13], v17, s4 src0_sel:BYTE_0 src1_sel:DWORD
	s_mov_b64 s[4:5], -1
                                        ; implicit-def: $sgpr10
	s_and_saveexec_b64 s[8:9], s[12:13]
; %bb.4514:
	s_mov_b32 s10, 0x7f800001
	s_xor_b64 s[4:5], exec, -1
; %bb.4515:
	s_or_b64 exec, exec, s[8:9]
	s_and_b64 s[4:5], s[4:5], exec
	s_or_saveexec_b64 s[6:7], s[6:7]
	v_mov_b32_e32 v12, s10
	s_xor_b64 exec, exec, s[6:7]
	s_cbranch_execnz .LBB1_4516
; %bb.12699:
	s_getpc_b64 s[14:15]
.Lpost_getpc2253:
	s_add_u32 s14, s14, (.LBB1_418-.Lpost_getpc2253)&4294967295
	s_addc_u32 s15, s15, (.LBB1_418-.Lpost_getpc2253)>>32
	s_setpc_b64 s[14:15]
.LBB1_4516:
	v_mov_b32_e32 v12, 0
	v_cmp_ne_u16_sdwa s[8:9], v17, v12 src0_sel:BYTE_0 src1_sel:DWORD
	s_andn2_b64 s[4:5], s[4:5], exec
	s_and_b64 s[8:9], s[8:9], exec
	s_or_b64 s[4:5], s[4:5], s[8:9]
	s_or_b64 exec, exec, s[6:7]
	s_and_saveexec_b64 s[6:7], s[4:5]
	s_cbranch_execz .LBB1_8401
; %bb.12701:
	s_getpc_b64 s[14:15]
.Lpost_getpc2254:
	s_add_u32 s14, s14, (.LBB1_419-.Lpost_getpc2254)&4294967295
	s_addc_u32 s15, s15, (.LBB1_419-.Lpost_getpc2254)>>32
	s_setpc_b64 s[14:15]
.LBB1_8401:
	s_getpc_b64 s[14:15]
.Lpost_getpc104:
	s_add_u32 s14, s14, (.LBB1_420-.Lpost_getpc104)&4294967295
	s_addc_u32 s15, s15, (.LBB1_420-.Lpost_getpc104)>>32
	s_setpc_b64 s[14:15]
.LBB1_4517:
	s_movk_i32 s4, 0x80
	v_cmp_eq_u16_sdwa s[12:13], v13, s4 src0_sel:BYTE_0 src1_sel:DWORD
	s_mov_b64 s[4:5], -1
                                        ; implicit-def: $sgpr10
	s_and_saveexec_b64 s[8:9], s[12:13]
; %bb.4518:
	s_mov_b32 s10, 0x7f800001
	s_xor_b64 s[4:5], exec, -1
; %bb.4519:
	s_or_b64 exec, exec, s[8:9]
	s_and_b64 s[4:5], s[4:5], exec
	s_or_saveexec_b64 s[6:7], s[6:7]
	v_mov_b32_e32 v16, s10
	s_xor_b64 exec, exec, s[6:7]
	s_cbranch_execnz .LBB1_4520
; %bb.12703:
	s_getpc_b64 s[14:15]
.Lpost_getpc2255:
	s_add_u32 s14, s14, (.LBB1_422-.Lpost_getpc2255)&4294967295
	s_addc_u32 s15, s15, (.LBB1_422-.Lpost_getpc2255)>>32
	s_setpc_b64 s[14:15]
.LBB1_4520:
	v_mov_b32_e32 v16, 0
	v_cmp_ne_u16_sdwa s[8:9], v13, v16 src0_sel:BYTE_0 src1_sel:DWORD
	s_andn2_b64 s[4:5], s[4:5], exec
	s_and_b64 s[8:9], s[8:9], exec
	s_or_b64 s[4:5], s[4:5], s[8:9]
	s_or_b64 exec, exec, s[6:7]
	s_and_saveexec_b64 s[6:7], s[4:5]
	s_cbranch_execz .LBB1_8403
; %bb.12705:
	s_getpc_b64 s[14:15]
.Lpost_getpc2256:
	s_add_u32 s14, s14, (.LBB1_423-.Lpost_getpc2256)&4294967295
	s_addc_u32 s15, s15, (.LBB1_423-.Lpost_getpc2256)>>32
	s_setpc_b64 s[14:15]
.LBB1_8403:
	s_getpc_b64 s[14:15]
.Lpost_getpc105:
	s_add_u32 s14, s14, (.LBB1_424-.Lpost_getpc105)&4294967295
	s_addc_u32 s15, s15, (.LBB1_424-.Lpost_getpc105)>>32
	s_setpc_b64 s[14:15]
.LBB1_4521:
	s_movk_i32 s4, 0x80
	v_cmp_eq_u16_sdwa s[12:13], v16, s4 src0_sel:BYTE_0 src1_sel:DWORD
	s_mov_b64 s[4:5], -1
                                        ; implicit-def: $sgpr10
	s_and_saveexec_b64 s[8:9], s[12:13]
; %bb.4522:
	s_mov_b32 s10, 0x7f800001
	s_xor_b64 s[4:5], exec, -1
; %bb.4523:
	s_or_b64 exec, exec, s[8:9]
	s_and_b64 s[4:5], s[4:5], exec
	s_or_saveexec_b64 s[6:7], s[6:7]
	v_mov_b32_e32 v12, s10
	s_xor_b64 exec, exec, s[6:7]
	s_cbranch_execnz .LBB1_4524
; %bb.12707:
	s_getpc_b64 s[14:15]
.Lpost_getpc2257:
	s_add_u32 s14, s14, (.LBB1_426-.Lpost_getpc2257)&4294967295
	s_addc_u32 s15, s15, (.LBB1_426-.Lpost_getpc2257)>>32
	s_setpc_b64 s[14:15]
.LBB1_4524:
	v_mov_b32_e32 v12, 0
	v_cmp_ne_u16_sdwa s[8:9], v16, v12 src0_sel:BYTE_0 src1_sel:DWORD
	s_andn2_b64 s[4:5], s[4:5], exec
	s_and_b64 s[8:9], s[8:9], exec
	s_or_b64 s[4:5], s[4:5], s[8:9]
	s_or_b64 exec, exec, s[6:7]
	s_and_saveexec_b64 s[6:7], s[4:5]
	s_cbranch_execz .LBB1_8405
; %bb.12709:
	s_getpc_b64 s[14:15]
.Lpost_getpc2258:
	s_add_u32 s14, s14, (.LBB1_427-.Lpost_getpc2258)&4294967295
	s_addc_u32 s15, s15, (.LBB1_427-.Lpost_getpc2258)>>32
	s_setpc_b64 s[14:15]
.LBB1_8405:
	s_getpc_b64 s[14:15]
.Lpost_getpc106:
	s_add_u32 s14, s14, (.LBB1_428-.Lpost_getpc106)&4294967295
	s_addc_u32 s15, s15, (.LBB1_428-.Lpost_getpc106)>>32
	s_setpc_b64 s[14:15]
.LBB1_4525:
	s_movk_i32 s4, 0x80
	v_cmp_eq_u16_sdwa s[12:13], v16, s4 src0_sel:BYTE_0 src1_sel:DWORD
	s_mov_b64 s[4:5], -1
                                        ; implicit-def: $sgpr10
	s_and_saveexec_b64 s[8:9], s[12:13]
; %bb.4526:
	s_mov_b32 s10, 0x7f800001
	s_xor_b64 s[4:5], exec, -1
; %bb.4527:
	s_or_b64 exec, exec, s[8:9]
	s_and_b64 s[4:5], s[4:5], exec
	s_or_saveexec_b64 s[6:7], s[6:7]
	v_mov_b32_e32 v21, s10
	s_xor_b64 exec, exec, s[6:7]
	s_cbranch_execnz .LBB1_4528
; %bb.12711:
	s_getpc_b64 s[14:15]
.Lpost_getpc2259:
	s_add_u32 s14, s14, (.LBB1_430-.Lpost_getpc2259)&4294967295
	s_addc_u32 s15, s15, (.LBB1_430-.Lpost_getpc2259)>>32
	s_setpc_b64 s[14:15]
.LBB1_4528:
	v_mov_b32_e32 v21, 0
	v_cmp_ne_u16_sdwa s[8:9], v16, v21 src0_sel:BYTE_0 src1_sel:DWORD
	s_andn2_b64 s[4:5], s[4:5], exec
	s_and_b64 s[8:9], s[8:9], exec
	s_or_b64 s[4:5], s[4:5], s[8:9]
	s_or_b64 exec, exec, s[6:7]
	s_and_saveexec_b64 s[6:7], s[4:5]
	s_cbranch_execz .LBB1_8407
; %bb.12713:
	s_getpc_b64 s[14:15]
.Lpost_getpc2260:
	s_add_u32 s14, s14, (.LBB1_431-.Lpost_getpc2260)&4294967295
	s_addc_u32 s15, s15, (.LBB1_431-.Lpost_getpc2260)>>32
	s_setpc_b64 s[14:15]
.LBB1_8407:
	s_getpc_b64 s[14:15]
.Lpost_getpc107:
	s_add_u32 s14, s14, (.LBB1_432-.Lpost_getpc107)&4294967295
	s_addc_u32 s15, s15, (.LBB1_432-.Lpost_getpc107)>>32
	s_setpc_b64 s[14:15]
.LBB1_4529:
	s_movk_i32 s4, 0x80
	v_cmp_eq_u16_e32 vcc, s4, v16
	s_mov_b64 s[4:5], -1
                                        ; implicit-def: $sgpr10
	s_and_saveexec_b64 s[8:9], vcc
; %bb.4530:
	s_mov_b32 s10, 0x7f800001
	s_xor_b64 s[4:5], exec, -1
; %bb.4531:
	s_or_b64 exec, exec, s[8:9]
	s_and_b64 s[4:5], s[4:5], exec
                                        ; implicit-def: $vgpr16
	s_or_saveexec_b64 s[6:7], s[6:7]
	v_mov_b32_e32 v12, s10
	s_xor_b64 exec, exec, s[6:7]
	s_cbranch_execnz .LBB1_4532
; %bb.12715:
	s_getpc_b64 s[14:15]
.Lpost_getpc2261:
	s_add_u32 s14, s14, (.LBB1_434-.Lpost_getpc2261)&4294967295
	s_addc_u32 s15, s15, (.LBB1_434-.Lpost_getpc2261)>>32
	s_setpc_b64 s[14:15]
.LBB1_4532:
	v_cmp_ne_u16_e32 vcc, 0, v16
	s_andn2_b64 s[4:5], s[4:5], exec
	s_and_b64 s[8:9], vcc, exec
	v_mov_b32_e32 v12, 0
	s_or_b64 s[4:5], s[4:5], s[8:9]
	s_or_b64 exec, exec, s[6:7]
	s_and_saveexec_b64 s[6:7], s[4:5]
	s_cbranch_execz .LBB1_8409
; %bb.12717:
	s_getpc_b64 s[14:15]
.Lpost_getpc2262:
	s_add_u32 s14, s14, (.LBB1_435-.Lpost_getpc2262)&4294967295
	s_addc_u32 s15, s15, (.LBB1_435-.Lpost_getpc2262)>>32
	s_setpc_b64 s[14:15]
.LBB1_8409:
	s_getpc_b64 s[14:15]
.Lpost_getpc108:
	s_add_u32 s14, s14, (.LBB1_436-.Lpost_getpc108)&4294967295
	s_addc_u32 s15, s15, (.LBB1_436-.Lpost_getpc108)>>32
	s_setpc_b64 s[14:15]
.LBB1_4533:
	s_movk_i32 s4, 0x80
	v_cmp_eq_u16_e32 vcc, s4, v16
	s_mov_b64 s[4:5], -1
                                        ; implicit-def: $sgpr10
	s_and_saveexec_b64 s[8:9], vcc
; %bb.4534:
	s_mov_b32 s10, 0x7f800001
	s_xor_b64 s[4:5], exec, -1
; %bb.4535:
	s_or_b64 exec, exec, s[8:9]
	s_and_b64 s[4:5], s[4:5], exec
                                        ; implicit-def: $vgpr16
	s_or_saveexec_b64 s[6:7], s[6:7]
	v_mov_b32_e32 v21, s10
	s_xor_b64 exec, exec, s[6:7]
	s_cbranch_execnz .LBB1_4536
; %bb.12719:
	s_getpc_b64 s[14:15]
.Lpost_getpc2263:
	s_add_u32 s14, s14, (.LBB1_438-.Lpost_getpc2263)&4294967295
	s_addc_u32 s15, s15, (.LBB1_438-.Lpost_getpc2263)>>32
	s_setpc_b64 s[14:15]
.LBB1_4536:
	v_cmp_ne_u16_e32 vcc, 0, v16
	s_andn2_b64 s[4:5], s[4:5], exec
	s_and_b64 s[8:9], vcc, exec
	v_mov_b32_e32 v21, 0
	s_or_b64 s[4:5], s[4:5], s[8:9]
	s_or_b64 exec, exec, s[6:7]
	s_and_saveexec_b64 s[6:7], s[4:5]
	s_cbranch_execz .LBB1_8411
; %bb.12721:
	s_getpc_b64 s[14:15]
.Lpost_getpc2264:
	s_add_u32 s14, s14, (.LBB1_439-.Lpost_getpc2264)&4294967295
	s_addc_u32 s15, s15, (.LBB1_439-.Lpost_getpc2264)>>32
	s_setpc_b64 s[14:15]
.LBB1_8411:
	s_getpc_b64 s[14:15]
.Lpost_getpc109:
	s_add_u32 s14, s14, (.LBB1_440-.Lpost_getpc109)&4294967295
	s_addc_u32 s15, s15, (.LBB1_440-.Lpost_getpc109)>>32
	s_setpc_b64 s[14:15]
.LBB1_4537:
	s_movk_i32 s4, 0x80
	v_cmp_eq_u16_sdwa s[12:13], v17, s4 src0_sel:BYTE_3 src1_sel:DWORD
	s_mov_b64 s[4:5], -1
                                        ; implicit-def: $sgpr10
	s_and_saveexec_b64 s[8:9], s[12:13]
; %bb.4538:
	s_mov_b32 s10, 0x7f800001
	s_xor_b64 s[4:5], exec, -1
; %bb.4539:
	s_or_b64 exec, exec, s[8:9]
	s_and_b64 s[4:5], s[4:5], exec
	s_or_saveexec_b64 s[6:7], s[6:7]
	v_mov_b32_e32 v12, s10
	s_xor_b64 exec, exec, s[6:7]
	s_cbranch_execnz .LBB1_4540
; %bb.12723:
	s_getpc_b64 s[14:15]
.Lpost_getpc2265:
	s_add_u32 s14, s14, (.LBB1_442-.Lpost_getpc2265)&4294967295
	s_addc_u32 s15, s15, (.LBB1_442-.Lpost_getpc2265)>>32
	s_setpc_b64 s[14:15]
.LBB1_4540:
	v_mov_b32_e32 v12, 0
	v_cmp_ne_u16_sdwa s[8:9], v17, v12 src0_sel:BYTE_3 src1_sel:DWORD
	s_andn2_b64 s[4:5], s[4:5], exec
	s_and_b64 s[8:9], s[8:9], exec
	s_or_b64 s[4:5], s[4:5], s[8:9]
	s_or_b64 exec, exec, s[6:7]
	s_and_saveexec_b64 s[6:7], s[4:5]
	s_cbranch_execz .LBB1_8413
; %bb.12725:
	s_getpc_b64 s[14:15]
.Lpost_getpc2266:
	s_add_u32 s14, s14, (.LBB1_443-.Lpost_getpc2266)&4294967295
	s_addc_u32 s15, s15, (.LBB1_443-.Lpost_getpc2266)>>32
	s_setpc_b64 s[14:15]
.LBB1_8413:
	s_getpc_b64 s[14:15]
.Lpost_getpc110:
	s_add_u32 s14, s14, (.LBB1_444-.Lpost_getpc110)&4294967295
	s_addc_u32 s15, s15, (.LBB1_444-.Lpost_getpc110)>>32
	s_setpc_b64 s[14:15]
.LBB1_4541:
	s_movk_i32 s4, 0x80
	v_cmp_eq_u16_sdwa s[12:13], v13, s4 src0_sel:BYTE_3 src1_sel:DWORD
	s_mov_b64 s[4:5], -1
                                        ; implicit-def: $sgpr10
	s_and_saveexec_b64 s[8:9], s[12:13]
; %bb.4542:
	s_mov_b32 s10, 0x7f800001
	s_xor_b64 s[4:5], exec, -1
; %bb.4543:
	s_or_b64 exec, exec, s[8:9]
	s_and_b64 s[4:5], s[4:5], exec
	s_or_saveexec_b64 s[6:7], s[6:7]
	v_mov_b32_e32 v16, s10
	s_xor_b64 exec, exec, s[6:7]
	s_cbranch_execnz .LBB1_4544
; %bb.12727:
	s_getpc_b64 s[14:15]
.Lpost_getpc2267:
	s_add_u32 s14, s14, (.LBB1_446-.Lpost_getpc2267)&4294967295
	s_addc_u32 s15, s15, (.LBB1_446-.Lpost_getpc2267)>>32
	s_setpc_b64 s[14:15]
.LBB1_4544:
	v_mov_b32_e32 v16, 0
	v_cmp_ne_u16_sdwa s[8:9], v13, v16 src0_sel:BYTE_3 src1_sel:DWORD
	s_andn2_b64 s[4:5], s[4:5], exec
	s_and_b64 s[8:9], s[8:9], exec
	s_or_b64 s[4:5], s[4:5], s[8:9]
	s_or_b64 exec, exec, s[6:7]
	s_and_saveexec_b64 s[6:7], s[4:5]
	s_cbranch_execz .LBB1_8415
; %bb.12729:
	s_getpc_b64 s[14:15]
.Lpost_getpc2268:
	s_add_u32 s14, s14, (.LBB1_447-.Lpost_getpc2268)&4294967295
	s_addc_u32 s15, s15, (.LBB1_447-.Lpost_getpc2268)>>32
	s_setpc_b64 s[14:15]
.LBB1_8415:
	s_getpc_b64 s[14:15]
.Lpost_getpc111:
	s_add_u32 s14, s14, (.LBB1_448-.Lpost_getpc111)&4294967295
	s_addc_u32 s15, s15, (.LBB1_448-.Lpost_getpc111)>>32
	s_setpc_b64 s[14:15]
.LBB1_4545:
	s_movk_i32 s4, 0x80
	v_cmp_eq_u16_sdwa s[12:13], v18, s4 src0_sel:BYTE_0 src1_sel:DWORD
	s_mov_b64 s[4:5], -1
                                        ; implicit-def: $sgpr10
	s_and_saveexec_b64 s[8:9], s[12:13]
; %bb.4546:
	s_mov_b32 s10, 0x7f800001
	s_xor_b64 s[4:5], exec, -1
; %bb.4547:
	s_or_b64 exec, exec, s[8:9]
	s_and_b64 s[4:5], s[4:5], exec
	s_or_saveexec_b64 s[6:7], s[6:7]
	v_mov_b32_e32 v13, s10
	s_xor_b64 exec, exec, s[6:7]
	s_cbranch_execnz .LBB1_4548
; %bb.12731:
	s_getpc_b64 s[14:15]
.Lpost_getpc2269:
	s_add_u32 s14, s14, (.LBB1_450-.Lpost_getpc2269)&4294967295
	s_addc_u32 s15, s15, (.LBB1_450-.Lpost_getpc2269)>>32
	s_setpc_b64 s[14:15]
.LBB1_4548:
	v_mov_b32_e32 v13, 0
	v_cmp_ne_u16_sdwa s[8:9], v18, v13 src0_sel:BYTE_0 src1_sel:DWORD
	s_andn2_b64 s[4:5], s[4:5], exec
	s_and_b64 s[8:9], s[8:9], exec
	s_or_b64 s[4:5], s[4:5], s[8:9]
	s_or_b64 exec, exec, s[6:7]
	s_and_saveexec_b64 s[6:7], s[4:5]
	s_cbranch_execz .LBB1_8417
; %bb.12733:
	s_getpc_b64 s[14:15]
.Lpost_getpc2270:
	s_add_u32 s14, s14, (.LBB1_451-.Lpost_getpc2270)&4294967295
	s_addc_u32 s15, s15, (.LBB1_451-.Lpost_getpc2270)>>32
	s_setpc_b64 s[14:15]
.LBB1_8417:
	s_getpc_b64 s[14:15]
.Lpost_getpc112:
	s_add_u32 s14, s14, (.LBB1_452-.Lpost_getpc112)&4294967295
	s_addc_u32 s15, s15, (.LBB1_452-.Lpost_getpc112)>>32
	s_setpc_b64 s[14:15]
.LBB1_4549:
	s_movk_i32 s4, 0x80
	v_cmp_eq_u16_sdwa s[12:13], v16, s4 src0_sel:BYTE_0 src1_sel:DWORD
	s_mov_b64 s[4:5], -1
                                        ; implicit-def: $sgpr10
	s_and_saveexec_b64 s[8:9], s[12:13]
; %bb.4550:
	s_mov_b32 s10, 0x7f800001
	s_xor_b64 s[4:5], exec, -1
; %bb.4551:
	s_or_b64 exec, exec, s[8:9]
	s_and_b64 s[4:5], s[4:5], exec
	s_or_saveexec_b64 s[6:7], s[6:7]
	v_mov_b32_e32 v14, s10
	s_xor_b64 exec, exec, s[6:7]
	s_cbranch_execnz .LBB1_4552
; %bb.12735:
	s_getpc_b64 s[14:15]
.Lpost_getpc2271:
	s_add_u32 s14, s14, (.LBB1_454-.Lpost_getpc2271)&4294967295
	s_addc_u32 s15, s15, (.LBB1_454-.Lpost_getpc2271)>>32
	s_setpc_b64 s[14:15]
.LBB1_4552:
	v_mov_b32_e32 v14, 0
	v_cmp_ne_u16_sdwa s[8:9], v16, v14 src0_sel:BYTE_0 src1_sel:DWORD
	s_andn2_b64 s[4:5], s[4:5], exec
	s_and_b64 s[8:9], s[8:9], exec
	s_or_b64 s[4:5], s[4:5], s[8:9]
	s_or_b64 exec, exec, s[6:7]
	v_or_b32_sdwa v12, v16, v12 dst_sel:DWORD dst_unused:UNUSED_PAD src0_sel:WORD_0 src1_sel:DWORD
	s_and_saveexec_b64 s[6:7], s[4:5]
	s_cbranch_execz .LBB1_8419
; %bb.12737:
	s_getpc_b64 s[14:15]
.Lpost_getpc2272:
	s_add_u32 s14, s14, (.LBB1_455-.Lpost_getpc2272)&4294967295
	s_addc_u32 s15, s15, (.LBB1_455-.Lpost_getpc2272)>>32
	s_setpc_b64 s[14:15]
.LBB1_8419:
	s_getpc_b64 s[14:15]
.Lpost_getpc113:
	s_add_u32 s14, s14, (.LBB1_456-.Lpost_getpc113)&4294967295
	s_addc_u32 s15, s15, (.LBB1_456-.Lpost_getpc113)>>32
	s_setpc_b64 s[14:15]
.LBB1_4553:
	s_movk_i32 s4, 0x80
	v_cmp_eq_u16_sdwa s[12:13], v14, s4 src0_sel:BYTE_0 src1_sel:DWORD
	s_mov_b64 s[4:5], -1
                                        ; implicit-def: $sgpr10
	s_and_saveexec_b64 s[8:9], s[12:13]
; %bb.4554:
	s_mov_b32 s10, 0x7f800001
	s_xor_b64 s[4:5], exec, -1
; %bb.4555:
	s_or_b64 exec, exec, s[8:9]
	s_and_b64 s[4:5], s[4:5], exec
	s_or_saveexec_b64 s[6:7], s[6:7]
	v_mov_b32_e32 v13, s10
	s_xor_b64 exec, exec, s[6:7]
	s_cbranch_execnz .LBB1_4556
; %bb.12739:
	s_getpc_b64 s[14:15]
.Lpost_getpc2273:
	s_add_u32 s14, s14, (.LBB1_458-.Lpost_getpc2273)&4294967295
	s_addc_u32 s15, s15, (.LBB1_458-.Lpost_getpc2273)>>32
	s_setpc_b64 s[14:15]
.LBB1_4556:
	v_mov_b32_e32 v13, 0
	v_cmp_ne_u16_sdwa s[8:9], v14, v13 src0_sel:BYTE_0 src1_sel:DWORD
	s_andn2_b64 s[4:5], s[4:5], exec
	s_and_b64 s[8:9], s[8:9], exec
	s_or_b64 s[4:5], s[4:5], s[8:9]
	s_or_b64 exec, exec, s[6:7]
	s_and_saveexec_b64 s[6:7], s[4:5]
	s_cbranch_execz .LBB1_8421
; %bb.12741:
	s_getpc_b64 s[14:15]
.Lpost_getpc2274:
	s_add_u32 s14, s14, (.LBB1_459-.Lpost_getpc2274)&4294967295
	s_addc_u32 s15, s15, (.LBB1_459-.Lpost_getpc2274)>>32
	s_setpc_b64 s[14:15]
.LBB1_8421:
	s_getpc_b64 s[14:15]
.Lpost_getpc114:
	s_add_u32 s14, s14, (.LBB1_460-.Lpost_getpc114)&4294967295
	s_addc_u32 s15, s15, (.LBB1_460-.Lpost_getpc114)>>32
	s_setpc_b64 s[14:15]
.LBB1_4557:
	s_movk_i32 s4, 0x80
	v_cmp_eq_u16_sdwa s[12:13], v14, s4 src0_sel:BYTE_0 src1_sel:DWORD
	s_mov_b64 s[4:5], -1
                                        ; implicit-def: $sgpr10
	s_and_saveexec_b64 s[8:9], s[12:13]
; %bb.4558:
	s_mov_b32 s10, 0x7f800001
	s_xor_b64 s[4:5], exec, -1
; %bb.4559:
	s_or_b64 exec, exec, s[8:9]
	s_and_b64 s[4:5], s[4:5], exec
	s_or_saveexec_b64 s[6:7], s[6:7]
	v_mov_b32_e32 v16, s10
	s_xor_b64 exec, exec, s[6:7]
	s_cbranch_execnz .LBB1_4560
; %bb.12743:
	s_getpc_b64 s[14:15]
.Lpost_getpc2275:
	s_add_u32 s14, s14, (.LBB1_462-.Lpost_getpc2275)&4294967295
	s_addc_u32 s15, s15, (.LBB1_462-.Lpost_getpc2275)>>32
	s_setpc_b64 s[14:15]
.LBB1_4560:
	v_mov_b32_e32 v16, 0
	v_cmp_ne_u16_sdwa s[8:9], v14, v16 src0_sel:BYTE_0 src1_sel:DWORD
	s_andn2_b64 s[4:5], s[4:5], exec
	s_and_b64 s[8:9], s[8:9], exec
	s_or_b64 s[4:5], s[4:5], s[8:9]
	s_or_b64 exec, exec, s[6:7]
	s_and_saveexec_b64 s[6:7], s[4:5]
	s_cbranch_execz .LBB1_8423
; %bb.12745:
	s_getpc_b64 s[14:15]
.Lpost_getpc2276:
	s_add_u32 s14, s14, (.LBB1_463-.Lpost_getpc2276)&4294967295
	s_addc_u32 s15, s15, (.LBB1_463-.Lpost_getpc2276)>>32
	s_setpc_b64 s[14:15]
.LBB1_8423:
	s_getpc_b64 s[14:15]
.Lpost_getpc115:
	s_add_u32 s14, s14, (.LBB1_464-.Lpost_getpc115)&4294967295
	s_addc_u32 s15, s15, (.LBB1_464-.Lpost_getpc115)>>32
	s_setpc_b64 s[14:15]
.LBB1_4561:
	s_movk_i32 s4, 0x80
	v_cmp_eq_u16_e32 vcc, s4, v14
	s_mov_b64 s[4:5], -1
                                        ; implicit-def: $sgpr10
	s_and_saveexec_b64 s[8:9], vcc
; %bb.4562:
	s_mov_b32 s10, 0x7f800001
	s_xor_b64 s[4:5], exec, -1
; %bb.4563:
	s_or_b64 exec, exec, s[8:9]
	s_and_b64 s[4:5], s[4:5], exec
                                        ; implicit-def: $vgpr14
	s_or_saveexec_b64 s[6:7], s[6:7]
	v_mov_b32_e32 v13, s10
	s_xor_b64 exec, exec, s[6:7]
	s_cbranch_execnz .LBB1_4564
; %bb.12747:
	s_getpc_b64 s[14:15]
.Lpost_getpc2277:
	s_add_u32 s14, s14, (.LBB1_466-.Lpost_getpc2277)&4294967295
	s_addc_u32 s15, s15, (.LBB1_466-.Lpost_getpc2277)>>32
	s_setpc_b64 s[14:15]
.LBB1_4564:
	v_cmp_ne_u16_e32 vcc, 0, v14
	s_andn2_b64 s[4:5], s[4:5], exec
	s_and_b64 s[8:9], vcc, exec
	v_mov_b32_e32 v13, 0
	s_or_b64 s[4:5], s[4:5], s[8:9]
	s_or_b64 exec, exec, s[6:7]
	s_and_saveexec_b64 s[6:7], s[4:5]
	s_cbranch_execz .LBB1_8425
; %bb.12749:
	s_getpc_b64 s[14:15]
.Lpost_getpc2278:
	s_add_u32 s14, s14, (.LBB1_467-.Lpost_getpc2278)&4294967295
	s_addc_u32 s15, s15, (.LBB1_467-.Lpost_getpc2278)>>32
	s_setpc_b64 s[14:15]
.LBB1_8425:
	s_getpc_b64 s[14:15]
.Lpost_getpc116:
	s_add_u32 s14, s14, (.LBB1_468-.Lpost_getpc116)&4294967295
	s_addc_u32 s15, s15, (.LBB1_468-.Lpost_getpc116)>>32
	s_setpc_b64 s[14:15]
.LBB1_4565:
	s_movk_i32 s4, 0x80
	v_cmp_eq_u16_e32 vcc, s4, v14
	s_mov_b64 s[4:5], -1
                                        ; implicit-def: $sgpr10
	s_and_saveexec_b64 s[8:9], vcc
; %bb.4566:
	s_mov_b32 s10, 0x7f800001
	s_xor_b64 s[4:5], exec, -1
; %bb.4567:
	s_or_b64 exec, exec, s[8:9]
	s_and_b64 s[4:5], s[4:5], exec
                                        ; implicit-def: $vgpr14
	s_or_saveexec_b64 s[6:7], s[6:7]
	v_mov_b32_e32 v16, s10
	s_xor_b64 exec, exec, s[6:7]
	s_cbranch_execnz .LBB1_4568
; %bb.12751:
	s_getpc_b64 s[14:15]
.Lpost_getpc2279:
	s_add_u32 s14, s14, (.LBB1_470-.Lpost_getpc2279)&4294967295
	s_addc_u32 s15, s15, (.LBB1_470-.Lpost_getpc2279)>>32
	s_setpc_b64 s[14:15]
.LBB1_4568:
	v_cmp_ne_u16_e32 vcc, 0, v14
	s_andn2_b64 s[4:5], s[4:5], exec
	s_and_b64 s[8:9], vcc, exec
	v_mov_b32_e32 v16, 0
	s_or_b64 s[4:5], s[4:5], s[8:9]
	s_or_b64 exec, exec, s[6:7]
	s_and_saveexec_b64 s[6:7], s[4:5]
	s_cbranch_execz .LBB1_8427
; %bb.12753:
	s_getpc_b64 s[14:15]
.Lpost_getpc2280:
	s_add_u32 s14, s14, (.LBB1_471-.Lpost_getpc2280)&4294967295
	s_addc_u32 s15, s15, (.LBB1_471-.Lpost_getpc2280)>>32
	s_setpc_b64 s[14:15]
.LBB1_8427:
	s_getpc_b64 s[14:15]
.Lpost_getpc117:
	s_add_u32 s14, s14, (.LBB1_472-.Lpost_getpc117)&4294967295
	s_addc_u32 s15, s15, (.LBB1_472-.Lpost_getpc117)>>32
	s_setpc_b64 s[14:15]
.LBB1_4569:
	s_movk_i32 s4, 0x80
	v_cmp_eq_u16_sdwa s[12:13], v18, s4 src0_sel:BYTE_3 src1_sel:DWORD
	s_mov_b64 s[4:5], -1
                                        ; implicit-def: $sgpr10
	s_and_saveexec_b64 s[8:9], s[12:13]
; %bb.4570:
	s_mov_b32 s10, 0x7f800001
	s_xor_b64 s[4:5], exec, -1
; %bb.4571:
	s_or_b64 exec, exec, s[8:9]
	s_and_b64 s[4:5], s[4:5], exec
	s_or_saveexec_b64 s[6:7], s[6:7]
	v_mov_b32_e32 v13, s10
	s_xor_b64 exec, exec, s[6:7]
	s_cbranch_execnz .LBB1_4572
; %bb.12755:
	s_getpc_b64 s[14:15]
.Lpost_getpc2281:
	s_add_u32 s14, s14, (.LBB1_474-.Lpost_getpc2281)&4294967295
	s_addc_u32 s15, s15, (.LBB1_474-.Lpost_getpc2281)>>32
	s_setpc_b64 s[14:15]
.LBB1_4572:
	v_mov_b32_e32 v13, 0
	v_cmp_ne_u16_sdwa s[8:9], v18, v13 src0_sel:BYTE_3 src1_sel:DWORD
	s_andn2_b64 s[4:5], s[4:5], exec
	s_and_b64 s[8:9], s[8:9], exec
	s_or_b64 s[4:5], s[4:5], s[8:9]
	s_or_b64 exec, exec, s[6:7]
	s_and_saveexec_b64 s[6:7], s[4:5]
	s_cbranch_execz .LBB1_8429
; %bb.12757:
	s_getpc_b64 s[14:15]
.Lpost_getpc2282:
	s_add_u32 s14, s14, (.LBB1_475-.Lpost_getpc2282)&4294967295
	s_addc_u32 s15, s15, (.LBB1_475-.Lpost_getpc2282)>>32
	s_setpc_b64 s[14:15]
.LBB1_8429:
	s_getpc_b64 s[14:15]
.Lpost_getpc118:
	s_add_u32 s14, s14, (.LBB1_476-.Lpost_getpc118)&4294967295
	s_addc_u32 s15, s15, (.LBB1_476-.Lpost_getpc118)>>32
	s_setpc_b64 s[14:15]
.LBB1_4573:
	s_movk_i32 s4, 0x80
	v_cmp_eq_u16_sdwa s[12:13], v12, s4 src0_sel:BYTE_3 src1_sel:DWORD
	s_mov_b64 s[4:5], -1
                                        ; implicit-def: $sgpr10
	s_and_saveexec_b64 s[8:9], s[12:13]
; %bb.4574:
	s_mov_b32 s10, 0x7f800001
	s_xor_b64 s[4:5], exec, -1
; %bb.4575:
	s_or_b64 exec, exec, s[8:9]
	s_and_b64 s[4:5], s[4:5], exec
	s_or_saveexec_b64 s[6:7], s[6:7]
	v_mov_b32_e32 v14, s10
	s_xor_b64 exec, exec, s[6:7]
	s_cbranch_execnz .LBB1_4576
; %bb.12759:
	s_getpc_b64 s[14:15]
.Lpost_getpc2283:
	s_add_u32 s14, s14, (.LBB1_478-.Lpost_getpc2283)&4294967295
	s_addc_u32 s15, s15, (.LBB1_478-.Lpost_getpc2283)>>32
	s_setpc_b64 s[14:15]
.LBB1_4576:
	v_mov_b32_e32 v14, 0
	v_cmp_ne_u16_sdwa s[8:9], v12, v14 src0_sel:BYTE_3 src1_sel:DWORD
	s_andn2_b64 s[4:5], s[4:5], exec
	s_and_b64 s[8:9], s[8:9], exec
	s_or_b64 s[4:5], s[4:5], s[8:9]
	s_or_b64 exec, exec, s[6:7]
	s_and_saveexec_b64 s[6:7], s[4:5]
	s_cbranch_execz .LBB1_8431
; %bb.12761:
	s_getpc_b64 s[14:15]
.Lpost_getpc2284:
	s_add_u32 s14, s14, (.LBB1_479-.Lpost_getpc2284)&4294967295
	s_addc_u32 s15, s15, (.LBB1_479-.Lpost_getpc2284)>>32
	s_setpc_b64 s[14:15]
.LBB1_8431:
	s_getpc_b64 s[14:15]
.Lpost_getpc119:
	s_add_u32 s14, s14, (.LBB1_480-.Lpost_getpc119)&4294967295
	s_addc_u32 s15, s15, (.LBB1_480-.Lpost_getpc119)>>32
	s_setpc_b64 s[14:15]
.LBB1_4577:
	s_movk_i32 s4, 0x80
	v_cmp_eq_u16_sdwa s[12:13], v19, s4 src0_sel:BYTE_0 src1_sel:DWORD
	s_mov_b64 s[4:5], -1
                                        ; implicit-def: $sgpr10
	s_and_saveexec_b64 s[8:9], s[12:13]
; %bb.4578:
	s_mov_b32 s10, 0x7f800001
	s_xor_b64 s[4:5], exec, -1
; %bb.4579:
	s_or_b64 exec, exec, s[8:9]
	s_and_b64 s[4:5], s[4:5], exec
	s_or_saveexec_b64 s[6:7], s[6:7]
	v_mov_b32_e32 v12, s10
	s_xor_b64 exec, exec, s[6:7]
	s_cbranch_execnz .LBB1_4580
; %bb.12763:
	s_getpc_b64 s[14:15]
.Lpost_getpc2285:
	s_add_u32 s14, s14, (.LBB1_482-.Lpost_getpc2285)&4294967295
	s_addc_u32 s15, s15, (.LBB1_482-.Lpost_getpc2285)>>32
	s_setpc_b64 s[14:15]
.LBB1_4580:
	v_mov_b32_e32 v12, 0
	v_cmp_ne_u16_sdwa s[8:9], v19, v12 src0_sel:BYTE_0 src1_sel:DWORD
	s_andn2_b64 s[4:5], s[4:5], exec
	s_and_b64 s[8:9], s[8:9], exec
	s_or_b64 s[4:5], s[4:5], s[8:9]
	s_or_b64 exec, exec, s[6:7]
	s_and_saveexec_b64 s[6:7], s[4:5]
	s_cbranch_execz .LBB1_8433
; %bb.12765:
	s_getpc_b64 s[14:15]
.Lpost_getpc2286:
	s_add_u32 s14, s14, (.LBB1_483-.Lpost_getpc2286)&4294967295
	s_addc_u32 s15, s15, (.LBB1_483-.Lpost_getpc2286)>>32
	s_setpc_b64 s[14:15]
.LBB1_8433:
	s_getpc_b64 s[14:15]
.Lpost_getpc120:
	s_add_u32 s14, s14, (.LBB1_484-.Lpost_getpc120)&4294967295
	s_addc_u32 s15, s15, (.LBB1_484-.Lpost_getpc120)>>32
	s_setpc_b64 s[14:15]
.LBB1_4581:
	s_movk_i32 s4, 0x80
	v_cmp_eq_u16_sdwa s[12:13], v15, s4 src0_sel:BYTE_0 src1_sel:DWORD
	s_mov_b64 s[4:5], -1
                                        ; implicit-def: $sgpr10
	s_and_saveexec_b64 s[8:9], s[12:13]
; %bb.4582:
	s_mov_b32 s10, 0x7f800001
	s_xor_b64 s[4:5], exec, -1
; %bb.4583:
	s_or_b64 exec, exec, s[8:9]
	s_and_b64 s[4:5], s[4:5], exec
	s_or_saveexec_b64 s[6:7], s[6:7]
	v_mov_b32_e32 v13, s10
	s_xor_b64 exec, exec, s[6:7]
	s_cbranch_execnz .LBB1_4584
; %bb.12767:
	s_getpc_b64 s[14:15]
.Lpost_getpc2287:
	s_add_u32 s14, s14, (.LBB1_486-.Lpost_getpc2287)&4294967295
	s_addc_u32 s15, s15, (.LBB1_486-.Lpost_getpc2287)>>32
	s_setpc_b64 s[14:15]
.LBB1_4584:
	v_mov_b32_e32 v13, 0
	v_cmp_ne_u16_sdwa s[8:9], v15, v13 src0_sel:BYTE_0 src1_sel:DWORD
	s_andn2_b64 s[4:5], s[4:5], exec
	s_and_b64 s[8:9], s[8:9], exec
	s_or_b64 s[4:5], s[4:5], s[8:9]
	s_or_b64 exec, exec, s[6:7]
	s_and_saveexec_b64 s[6:7], s[4:5]
	s_cbranch_execz .LBB1_8435
; %bb.12769:
	s_getpc_b64 s[14:15]
.Lpost_getpc2288:
	s_add_u32 s14, s14, (.LBB1_487-.Lpost_getpc2288)&4294967295
	s_addc_u32 s15, s15, (.LBB1_487-.Lpost_getpc2288)>>32
	s_setpc_b64 s[14:15]
.LBB1_8435:
	s_getpc_b64 s[14:15]
.Lpost_getpc121:
	s_add_u32 s14, s14, (.LBB1_488-.Lpost_getpc121)&4294967295
	s_addc_u32 s15, s15, (.LBB1_488-.Lpost_getpc121)>>32
	s_setpc_b64 s[14:15]
.LBB1_4585:
	s_movk_i32 s4, 0x80
	v_cmp_eq_u16_sdwa s[12:13], v13, s4 src0_sel:BYTE_0 src1_sel:DWORD
	s_mov_b64 s[4:5], -1
                                        ; implicit-def: $sgpr10
	s_and_saveexec_b64 s[8:9], s[12:13]
; %bb.4586:
	s_mov_b32 s10, 0x7f800001
	s_xor_b64 s[4:5], exec, -1
; %bb.4587:
	s_or_b64 exec, exec, s[8:9]
	s_and_b64 s[4:5], s[4:5], exec
	s_or_saveexec_b64 s[6:7], s[6:7]
	v_mov_b32_e32 v12, s10
	s_xor_b64 exec, exec, s[6:7]
	s_cbranch_execnz .LBB1_4588
; %bb.12771:
	s_getpc_b64 s[14:15]
.Lpost_getpc2289:
	s_add_u32 s14, s14, (.LBB1_490-.Lpost_getpc2289)&4294967295
	s_addc_u32 s15, s15, (.LBB1_490-.Lpost_getpc2289)>>32
	s_setpc_b64 s[14:15]
.LBB1_4588:
	v_mov_b32_e32 v12, 0
	v_cmp_ne_u16_sdwa s[8:9], v13, v12 src0_sel:BYTE_0 src1_sel:DWORD
	s_andn2_b64 s[4:5], s[4:5], exec
	s_and_b64 s[8:9], s[8:9], exec
	s_or_b64 s[4:5], s[4:5], s[8:9]
	s_or_b64 exec, exec, s[6:7]
	s_and_saveexec_b64 s[6:7], s[4:5]
	s_cbranch_execz .LBB1_8437
; %bb.12773:
	s_getpc_b64 s[14:15]
.Lpost_getpc2290:
	s_add_u32 s14, s14, (.LBB1_491-.Lpost_getpc2290)&4294967295
	s_addc_u32 s15, s15, (.LBB1_491-.Lpost_getpc2290)>>32
	s_setpc_b64 s[14:15]
.LBB1_8437:
	s_getpc_b64 s[14:15]
.Lpost_getpc122:
	s_add_u32 s14, s14, (.LBB1_492-.Lpost_getpc122)&4294967295
	s_addc_u32 s15, s15, (.LBB1_492-.Lpost_getpc122)>>32
	s_setpc_b64 s[14:15]
.LBB1_4589:
	s_movk_i32 s4, 0x80
	v_cmp_eq_u16_sdwa s[12:13], v13, s4 src0_sel:BYTE_0 src1_sel:DWORD
	s_mov_b64 s[4:5], -1
                                        ; implicit-def: $sgpr10
	s_and_saveexec_b64 s[8:9], s[12:13]
; %bb.4590:
	s_mov_b32 s10, 0x7f800001
	s_xor_b64 s[4:5], exec, -1
; %bb.4591:
	s_or_b64 exec, exec, s[8:9]
	s_and_b64 s[4:5], s[4:5], exec
	s_or_saveexec_b64 s[6:7], s[6:7]
	v_mov_b32_e32 v14, s10
	s_xor_b64 exec, exec, s[6:7]
	s_cbranch_execnz .LBB1_4592
; %bb.12775:
	s_getpc_b64 s[14:15]
.Lpost_getpc2291:
	s_add_u32 s14, s14, (.LBB1_494-.Lpost_getpc2291)&4294967295
	s_addc_u32 s15, s15, (.LBB1_494-.Lpost_getpc2291)>>32
	s_setpc_b64 s[14:15]
.LBB1_4592:
	v_mov_b32_e32 v14, 0
	v_cmp_ne_u16_sdwa s[8:9], v13, v14 src0_sel:BYTE_0 src1_sel:DWORD
	s_andn2_b64 s[4:5], s[4:5], exec
	s_and_b64 s[8:9], s[8:9], exec
	s_or_b64 s[4:5], s[4:5], s[8:9]
	s_or_b64 exec, exec, s[6:7]
	s_and_saveexec_b64 s[6:7], s[4:5]
	s_cbranch_execz .LBB1_8439
; %bb.12777:
	s_getpc_b64 s[14:15]
.Lpost_getpc2292:
	s_add_u32 s14, s14, (.LBB1_495-.Lpost_getpc2292)&4294967295
	s_addc_u32 s15, s15, (.LBB1_495-.Lpost_getpc2292)>>32
	s_setpc_b64 s[14:15]
.LBB1_8439:
	s_getpc_b64 s[14:15]
.Lpost_getpc123:
	s_add_u32 s14, s14, (.LBB1_496-.Lpost_getpc123)&4294967295
	s_addc_u32 s15, s15, (.LBB1_496-.Lpost_getpc123)>>32
	s_setpc_b64 s[14:15]
.LBB1_4593:
	s_movk_i32 s4, 0x80
	v_cmp_eq_u16_e32 vcc, s4, v13
	s_mov_b64 s[4:5], -1
                                        ; implicit-def: $sgpr10
	s_and_saveexec_b64 s[8:9], vcc
; %bb.4594:
	s_mov_b32 s10, 0x7f800001
	s_xor_b64 s[4:5], exec, -1
; %bb.4595:
	s_or_b64 exec, exec, s[8:9]
	s_and_b64 s[4:5], s[4:5], exec
                                        ; implicit-def: $vgpr13
	s_or_saveexec_b64 s[6:7], s[6:7]
	v_mov_b32_e32 v12, s10
	s_xor_b64 exec, exec, s[6:7]
	s_cbranch_execnz .LBB1_4596
; %bb.12779:
	s_getpc_b64 s[14:15]
.Lpost_getpc2293:
	s_add_u32 s14, s14, (.LBB1_498-.Lpost_getpc2293)&4294967295
	s_addc_u32 s15, s15, (.LBB1_498-.Lpost_getpc2293)>>32
	s_setpc_b64 s[14:15]
.LBB1_4596:
	v_cmp_ne_u16_e32 vcc, 0, v13
	s_andn2_b64 s[4:5], s[4:5], exec
	s_and_b64 s[8:9], vcc, exec
	v_mov_b32_e32 v12, 0
	s_or_b64 s[4:5], s[4:5], s[8:9]
	s_or_b64 exec, exec, s[6:7]
	s_and_saveexec_b64 s[6:7], s[4:5]
	s_cbranch_execz .LBB1_8441
; %bb.12781:
	s_getpc_b64 s[14:15]
.Lpost_getpc2294:
	s_add_u32 s14, s14, (.LBB1_499-.Lpost_getpc2294)&4294967295
	s_addc_u32 s15, s15, (.LBB1_499-.Lpost_getpc2294)>>32
	s_setpc_b64 s[14:15]
.LBB1_8441:
	s_getpc_b64 s[14:15]
.Lpost_getpc124:
	s_add_u32 s14, s14, (.LBB1_500-.Lpost_getpc124)&4294967295
	s_addc_u32 s15, s15, (.LBB1_500-.Lpost_getpc124)>>32
	s_setpc_b64 s[14:15]
.LBB1_4597:
	s_movk_i32 s4, 0x80
	v_cmp_eq_u16_e32 vcc, s4, v13
	s_mov_b64 s[4:5], -1
                                        ; implicit-def: $sgpr10
	s_and_saveexec_b64 s[8:9], vcc
; %bb.4598:
	s_mov_b32 s10, 0x7f800001
	s_xor_b64 s[4:5], exec, -1
; %bb.4599:
	s_or_b64 exec, exec, s[8:9]
	s_and_b64 s[4:5], s[4:5], exec
                                        ; implicit-def: $vgpr13
	s_or_saveexec_b64 s[6:7], s[6:7]
	v_mov_b32_e32 v14, s10
	s_xor_b64 exec, exec, s[6:7]
	s_cbranch_execnz .LBB1_4600
; %bb.12783:
	s_getpc_b64 s[14:15]
.Lpost_getpc2295:
	s_add_u32 s14, s14, (.LBB1_502-.Lpost_getpc2295)&4294967295
	s_addc_u32 s15, s15, (.LBB1_502-.Lpost_getpc2295)>>32
	s_setpc_b64 s[14:15]
.LBB1_4600:
	v_cmp_ne_u16_e32 vcc, 0, v13
	s_andn2_b64 s[4:5], s[4:5], exec
	s_and_b64 s[8:9], vcc, exec
	v_mov_b32_e32 v14, 0
	s_or_b64 s[4:5], s[4:5], s[8:9]
	s_or_b64 exec, exec, s[6:7]
	s_and_saveexec_b64 s[6:7], s[4:5]
	s_cbranch_execz .LBB1_8443
; %bb.12785:
	s_getpc_b64 s[14:15]
.Lpost_getpc2296:
	s_add_u32 s14, s14, (.LBB1_503-.Lpost_getpc2296)&4294967295
	s_addc_u32 s15, s15, (.LBB1_503-.Lpost_getpc2296)>>32
	s_setpc_b64 s[14:15]
.LBB1_8443:
	s_getpc_b64 s[14:15]
.Lpost_getpc125:
	s_add_u32 s14, s14, (.LBB1_504-.Lpost_getpc125)&4294967295
	s_addc_u32 s15, s15, (.LBB1_504-.Lpost_getpc125)>>32
	s_setpc_b64 s[14:15]
.LBB1_4601:
	s_movk_i32 s4, 0x80
	v_cmp_eq_u16_sdwa s[12:13], v19, s4 src0_sel:BYTE_3 src1_sel:DWORD
	s_mov_b64 s[4:5], -1
                                        ; implicit-def: $sgpr10
	s_and_saveexec_b64 s[8:9], s[12:13]
; %bb.4602:
	s_mov_b32 s10, 0x7f800001
	s_xor_b64 s[4:5], exec, -1
; %bb.4603:
	s_or_b64 exec, exec, s[8:9]
	s_and_b64 s[4:5], s[4:5], exec
	s_or_saveexec_b64 s[6:7], s[6:7]
	v_mov_b32_e32 v12, s10
	s_xor_b64 exec, exec, s[6:7]
	s_cbranch_execnz .LBB1_4604
; %bb.12787:
	s_getpc_b64 s[14:15]
.Lpost_getpc2297:
	s_add_u32 s14, s14, (.LBB1_506-.Lpost_getpc2297)&4294967295
	s_addc_u32 s15, s15, (.LBB1_506-.Lpost_getpc2297)>>32
	s_setpc_b64 s[14:15]
.LBB1_4604:
	v_mov_b32_e32 v12, 0
	v_cmp_ne_u16_sdwa s[8:9], v19, v12 src0_sel:BYTE_3 src1_sel:DWORD
	s_andn2_b64 s[4:5], s[4:5], exec
	s_and_b64 s[8:9], s[8:9], exec
	s_or_b64 s[4:5], s[4:5], s[8:9]
	s_or_b64 exec, exec, s[6:7]
	s_and_saveexec_b64 s[6:7], s[4:5]
	s_cbranch_execz .LBB1_8445
; %bb.12789:
	s_getpc_b64 s[14:15]
.Lpost_getpc2298:
	s_add_u32 s14, s14, (.LBB1_507-.Lpost_getpc2298)&4294967295
	s_addc_u32 s15, s15, (.LBB1_507-.Lpost_getpc2298)>>32
	s_setpc_b64 s[14:15]
.LBB1_8445:
	s_getpc_b64 s[14:15]
.Lpost_getpc126:
	s_add_u32 s14, s14, (.LBB1_508-.Lpost_getpc126)&4294967295
	s_addc_u32 s15, s15, (.LBB1_508-.Lpost_getpc126)>>32
	s_setpc_b64 s[14:15]
.LBB1_4605:
	s_movk_i32 s4, 0x80
	v_cmp_eq_u16_sdwa s[12:13], v15, s4 src0_sel:BYTE_3 src1_sel:DWORD
	s_mov_b64 s[4:5], -1
                                        ; implicit-def: $sgpr10
	s_and_saveexec_b64 s[8:9], s[12:13]
; %bb.4606:
	s_mov_b32 s10, 0x7f800001
	s_xor_b64 s[4:5], exec, -1
; %bb.4607:
	s_or_b64 exec, exec, s[8:9]
	s_and_b64 s[4:5], s[4:5], exec
	s_or_saveexec_b64 s[6:7], s[6:7]
	v_mov_b32_e32 v13, s10
	s_xor_b64 exec, exec, s[6:7]
	s_cbranch_execnz .LBB1_4608
; %bb.12791:
	s_getpc_b64 s[14:15]
.Lpost_getpc2299:
	s_add_u32 s14, s14, (.LBB1_510-.Lpost_getpc2299)&4294967295
	s_addc_u32 s15, s15, (.LBB1_510-.Lpost_getpc2299)>>32
	s_setpc_b64 s[14:15]
.LBB1_4608:
	v_mov_b32_e32 v13, 0
	v_cmp_ne_u16_sdwa s[8:9], v15, v13 src0_sel:BYTE_3 src1_sel:DWORD
	s_andn2_b64 s[4:5], s[4:5], exec
	s_and_b64 s[8:9], s[8:9], exec
	s_or_b64 s[4:5], s[4:5], s[8:9]
	s_or_b64 exec, exec, s[6:7]
	s_and_saveexec_b64 s[6:7], s[4:5]
	s_cbranch_execz .LBB1_8447
; %bb.12793:
	s_getpc_b64 s[14:15]
.Lpost_getpc2300:
	s_add_u32 s14, s14, (.LBB1_511-.Lpost_getpc2300)&4294967295
	s_addc_u32 s15, s15, (.LBB1_511-.Lpost_getpc2300)>>32
	s_setpc_b64 s[14:15]
.LBB1_8447:
	s_getpc_b64 s[14:15]
.Lpost_getpc127:
	s_add_u32 s14, s14, (.LBB1_512-.Lpost_getpc127)&4294967295
	s_addc_u32 s15, s15, (.LBB1_512-.Lpost_getpc127)>>32
	s_setpc_b64 s[14:15]
.LBB1_4609:
	s_movk_i32 s4, 0x80
	v_cmp_eq_u16_sdwa s[12:13], v16, s4 src0_sel:BYTE_0 src1_sel:DWORD
	s_mov_b64 s[4:5], -1
                                        ; implicit-def: $sgpr10
	s_and_saveexec_b64 s[8:9], s[12:13]
; %bb.4610:
	s_mov_b32 s10, 0x7f800001
	s_xor_b64 s[4:5], exec, -1
; %bb.4611:
	s_or_b64 exec, exec, s[8:9]
	s_and_b64 s[4:5], s[4:5], exec
	s_or_saveexec_b64 s[6:7], s[6:7]
	v_mov_b32_e32 v21, s10
	s_xor_b64 exec, exec, s[6:7]
	s_cbranch_execnz .LBB1_4612
; %bb.12795:
	s_getpc_b64 s[14:15]
.Lpost_getpc2301:
	s_add_u32 s14, s14, (.LBB1_514-.Lpost_getpc2301)&4294967295
	s_addc_u32 s15, s15, (.LBB1_514-.Lpost_getpc2301)>>32
	s_setpc_b64 s[14:15]
.LBB1_4612:
	v_mov_b32_e32 v21, 0
	v_cmp_ne_u16_sdwa s[8:9], v16, v21 src0_sel:BYTE_0 src1_sel:DWORD
	s_andn2_b64 s[4:5], s[4:5], exec
	s_and_b64 s[8:9], s[8:9], exec
	s_or_b64 s[4:5], s[4:5], s[8:9]
	s_or_b64 exec, exec, s[6:7]
	s_and_saveexec_b64 s[6:7], s[4:5]
	s_cbranch_execz .LBB1_8449
; %bb.12797:
	s_getpc_b64 s[14:15]
.Lpost_getpc2302:
	s_add_u32 s14, s14, (.LBB1_515-.Lpost_getpc2302)&4294967295
	s_addc_u32 s15, s15, (.LBB1_515-.Lpost_getpc2302)>>32
	s_setpc_b64 s[14:15]
.LBB1_8449:
	s_getpc_b64 s[14:15]
.Lpost_getpc128:
	s_add_u32 s14, s14, (.LBB1_516-.Lpost_getpc128)&4294967295
	s_addc_u32 s15, s15, (.LBB1_516-.Lpost_getpc128)>>32
	s_setpc_b64 s[14:15]
.LBB1_4613:
	s_movk_i32 s4, 0x80
	v_cmp_eq_u16_sdwa s[12:13], v12, s4 src0_sel:BYTE_0 src1_sel:DWORD
	s_mov_b64 s[4:5], -1
                                        ; implicit-def: $sgpr10
	s_and_saveexec_b64 s[8:9], s[12:13]
; %bb.4614:
	s_mov_b32 s10, 0x7f800001
	s_xor_b64 s[4:5], exec, -1
; %bb.4615:
	s_or_b64 exec, exec, s[8:9]
	s_and_b64 s[4:5], s[4:5], exec
	s_or_saveexec_b64 s[6:7], s[6:7]
	v_mov_b32_e32 v22, s10
	s_xor_b64 exec, exec, s[6:7]
	s_cbranch_execnz .LBB1_4616
; %bb.12799:
	s_getpc_b64 s[14:15]
.Lpost_getpc2303:
	s_add_u32 s14, s14, (.LBB1_518-.Lpost_getpc2303)&4294967295
	s_addc_u32 s15, s15, (.LBB1_518-.Lpost_getpc2303)>>32
	s_setpc_b64 s[14:15]
.LBB1_4616:
	v_mov_b32_e32 v22, 0
	v_cmp_ne_u16_sdwa s[8:9], v12, v22 src0_sel:BYTE_0 src1_sel:DWORD
	s_andn2_b64 s[4:5], s[4:5], exec
	s_and_b64 s[8:9], s[8:9], exec
	s_or_b64 s[4:5], s[4:5], s[8:9]
	s_or_b64 exec, exec, s[6:7]
	s_and_saveexec_b64 s[6:7], s[4:5]
	s_cbranch_execz .LBB1_8451
; %bb.12801:
	s_getpc_b64 s[14:15]
.Lpost_getpc2304:
	s_add_u32 s14, s14, (.LBB1_519-.Lpost_getpc2304)&4294967295
	s_addc_u32 s15, s15, (.LBB1_519-.Lpost_getpc2304)>>32
	s_setpc_b64 s[14:15]
.LBB1_8451:
	s_getpc_b64 s[14:15]
.Lpost_getpc129:
	s_add_u32 s14, s14, (.LBB1_520-.Lpost_getpc129)&4294967295
	s_addc_u32 s15, s15, (.LBB1_520-.Lpost_getpc129)>>32
	s_setpc_b64 s[14:15]
.LBB1_4617:
	s_movk_i32 s4, 0x80
	v_cmp_eq_u16_sdwa s[12:13], v22, s4 src0_sel:BYTE_0 src1_sel:DWORD
	s_mov_b64 s[4:5], -1
                                        ; implicit-def: $sgpr10
	s_and_saveexec_b64 s[8:9], s[12:13]
; %bb.4618:
	s_mov_b32 s10, 0x7f800001
	s_xor_b64 s[4:5], exec, -1
; %bb.4619:
	s_or_b64 exec, exec, s[8:9]
	s_and_b64 s[4:5], s[4:5], exec
	s_or_saveexec_b64 s[6:7], s[6:7]
	v_mov_b32_e32 v21, s10
	s_xor_b64 exec, exec, s[6:7]
	s_cbranch_execnz .LBB1_4620
; %bb.12803:
	s_getpc_b64 s[14:15]
.Lpost_getpc2305:
	s_add_u32 s14, s14, (.LBB1_522-.Lpost_getpc2305)&4294967295
	s_addc_u32 s15, s15, (.LBB1_522-.Lpost_getpc2305)>>32
	s_setpc_b64 s[14:15]
.LBB1_4620:
	v_mov_b32_e32 v21, 0
	v_cmp_ne_u16_sdwa s[8:9], v22, v21 src0_sel:BYTE_0 src1_sel:DWORD
	s_andn2_b64 s[4:5], s[4:5], exec
	s_and_b64 s[8:9], s[8:9], exec
	s_or_b64 s[4:5], s[4:5], s[8:9]
	s_or_b64 exec, exec, s[6:7]
	s_and_saveexec_b64 s[6:7], s[4:5]
	s_cbranch_execz .LBB1_8453
; %bb.12805:
	s_getpc_b64 s[14:15]
.Lpost_getpc2306:
	s_add_u32 s14, s14, (.LBB1_523-.Lpost_getpc2306)&4294967295
	s_addc_u32 s15, s15, (.LBB1_523-.Lpost_getpc2306)>>32
	s_setpc_b64 s[14:15]
.LBB1_8453:
	s_getpc_b64 s[14:15]
.Lpost_getpc130:
	s_add_u32 s14, s14, (.LBB1_524-.Lpost_getpc130)&4294967295
	s_addc_u32 s15, s15, (.LBB1_524-.Lpost_getpc130)>>32
	s_setpc_b64 s[14:15]
.LBB1_4621:
	s_movk_i32 s4, 0x80
	v_cmp_eq_u16_sdwa s[12:13], v22, s4 src0_sel:BYTE_0 src1_sel:DWORD
	s_mov_b64 s[4:5], -1
                                        ; implicit-def: $sgpr10
	s_and_saveexec_b64 s[8:9], s[12:13]
; %bb.4622:
	s_mov_b32 s10, 0x7f800001
	s_xor_b64 s[4:5], exec, -1
; %bb.4623:
	s_or_b64 exec, exec, s[8:9]
	s_and_b64 s[4:5], s[4:5], exec
	s_or_saveexec_b64 s[6:7], s[6:7]
	v_mov_b32_e32 v23, s10
	s_xor_b64 exec, exec, s[6:7]
	s_cbranch_execnz .LBB1_4624
; %bb.12807:
	s_getpc_b64 s[14:15]
.Lpost_getpc2307:
	s_add_u32 s14, s14, (.LBB1_526-.Lpost_getpc2307)&4294967295
	s_addc_u32 s15, s15, (.LBB1_526-.Lpost_getpc2307)>>32
	s_setpc_b64 s[14:15]
.LBB1_4624:
	v_mov_b32_e32 v23, 0
	v_cmp_ne_u16_sdwa s[8:9], v22, v23 src0_sel:BYTE_0 src1_sel:DWORD
	s_andn2_b64 s[4:5], s[4:5], exec
	s_and_b64 s[8:9], s[8:9], exec
	s_or_b64 s[4:5], s[4:5], s[8:9]
	s_or_b64 exec, exec, s[6:7]
	s_and_saveexec_b64 s[6:7], s[4:5]
	s_cbranch_execz .LBB1_8455
; %bb.12809:
	s_getpc_b64 s[14:15]
.Lpost_getpc2308:
	s_add_u32 s14, s14, (.LBB1_527-.Lpost_getpc2308)&4294967295
	s_addc_u32 s15, s15, (.LBB1_527-.Lpost_getpc2308)>>32
	s_setpc_b64 s[14:15]
.LBB1_8455:
	s_getpc_b64 s[14:15]
.Lpost_getpc131:
	s_add_u32 s14, s14, (.LBB1_528-.Lpost_getpc131)&4294967295
	s_addc_u32 s15, s15, (.LBB1_528-.Lpost_getpc131)>>32
	s_setpc_b64 s[14:15]
.LBB1_4625:
	s_movk_i32 s4, 0x80
	v_cmp_eq_u16_e32 vcc, s4, v22
	s_mov_b64 s[4:5], -1
                                        ; implicit-def: $sgpr10
	s_and_saveexec_b64 s[8:9], vcc
; %bb.4626:
	s_mov_b32 s10, 0x7f800001
	s_xor_b64 s[4:5], exec, -1
; %bb.4627:
	s_or_b64 exec, exec, s[8:9]
	s_and_b64 s[4:5], s[4:5], exec
                                        ; implicit-def: $vgpr22
	s_or_saveexec_b64 s[6:7], s[6:7]
	v_mov_b32_e32 v21, s10
	s_xor_b64 exec, exec, s[6:7]
	s_cbranch_execnz .LBB1_4628
; %bb.12811:
	s_getpc_b64 s[14:15]
.Lpost_getpc2309:
	s_add_u32 s14, s14, (.LBB1_530-.Lpost_getpc2309)&4294967295
	s_addc_u32 s15, s15, (.LBB1_530-.Lpost_getpc2309)>>32
	s_setpc_b64 s[14:15]
.LBB1_4628:
	v_cmp_ne_u16_e32 vcc, 0, v22
	s_andn2_b64 s[4:5], s[4:5], exec
	s_and_b64 s[8:9], vcc, exec
	v_mov_b32_e32 v21, 0
	s_or_b64 s[4:5], s[4:5], s[8:9]
	s_or_b64 exec, exec, s[6:7]
	s_and_saveexec_b64 s[6:7], s[4:5]
	s_cbranch_execz .LBB1_8457
; %bb.12813:
	s_getpc_b64 s[14:15]
.Lpost_getpc2310:
	s_add_u32 s14, s14, (.LBB1_531-.Lpost_getpc2310)&4294967295
	s_addc_u32 s15, s15, (.LBB1_531-.Lpost_getpc2310)>>32
	s_setpc_b64 s[14:15]
.LBB1_8457:
	s_getpc_b64 s[14:15]
.Lpost_getpc132:
	s_add_u32 s14, s14, (.LBB1_532-.Lpost_getpc132)&4294967295
	s_addc_u32 s15, s15, (.LBB1_532-.Lpost_getpc132)>>32
	s_setpc_b64 s[14:15]
.LBB1_4629:
	s_movk_i32 s4, 0x80
	v_cmp_eq_u16_e32 vcc, s4, v22
	s_mov_b64 s[4:5], -1
                                        ; implicit-def: $sgpr10
	s_and_saveexec_b64 s[8:9], vcc
; %bb.4630:
	s_mov_b32 s10, 0x7f800001
	s_xor_b64 s[4:5], exec, -1
; %bb.4631:
	s_or_b64 exec, exec, s[8:9]
	s_and_b64 s[4:5], s[4:5], exec
                                        ; implicit-def: $vgpr22
	s_or_saveexec_b64 s[6:7], s[6:7]
	v_mov_b32_e32 v23, s10
	s_xor_b64 exec, exec, s[6:7]
	s_cbranch_execnz .LBB1_4632
; %bb.12815:
	s_getpc_b64 s[14:15]
.Lpost_getpc2311:
	s_add_u32 s14, s14, (.LBB1_534-.Lpost_getpc2311)&4294967295
	s_addc_u32 s15, s15, (.LBB1_534-.Lpost_getpc2311)>>32
	s_setpc_b64 s[14:15]
.LBB1_4632:
	v_cmp_ne_u16_e32 vcc, 0, v22
	s_andn2_b64 s[4:5], s[4:5], exec
	s_and_b64 s[8:9], vcc, exec
	v_mov_b32_e32 v23, 0
	s_or_b64 s[4:5], s[4:5], s[8:9]
	s_or_b64 exec, exec, s[6:7]
	s_and_saveexec_b64 s[6:7], s[4:5]
	s_cbranch_execz .LBB1_8459
; %bb.12817:
	s_getpc_b64 s[14:15]
.Lpost_getpc2312:
	s_add_u32 s14, s14, (.LBB1_535-.Lpost_getpc2312)&4294967295
	s_addc_u32 s15, s15, (.LBB1_535-.Lpost_getpc2312)>>32
	s_setpc_b64 s[14:15]
.LBB1_8459:
	s_getpc_b64 s[14:15]
.Lpost_getpc133:
	s_add_u32 s14, s14, (.LBB1_536-.Lpost_getpc133)&4294967295
	s_addc_u32 s15, s15, (.LBB1_536-.Lpost_getpc133)>>32
	s_setpc_b64 s[14:15]
.LBB1_4633:
	s_movk_i32 s4, 0x80
	v_cmp_eq_u16_sdwa s[12:13], v16, s4 src0_sel:BYTE_3 src1_sel:DWORD
	s_mov_b64 s[4:5], -1
                                        ; implicit-def: $sgpr10
	s_and_saveexec_b64 s[8:9], s[12:13]
; %bb.4634:
	s_mov_b32 s10, 0x7f800001
	s_xor_b64 s[4:5], exec, -1
; %bb.4635:
	s_or_b64 exec, exec, s[8:9]
	s_and_b64 s[4:5], s[4:5], exec
	s_or_saveexec_b64 s[6:7], s[6:7]
	v_mov_b32_e32 v21, s10
	s_xor_b64 exec, exec, s[6:7]
	s_cbranch_execnz .LBB1_4636
; %bb.12819:
	s_getpc_b64 s[14:15]
.Lpost_getpc2313:
	s_add_u32 s14, s14, (.LBB1_538-.Lpost_getpc2313)&4294967295
	s_addc_u32 s15, s15, (.LBB1_538-.Lpost_getpc2313)>>32
	s_setpc_b64 s[14:15]
.LBB1_4636:
	v_mov_b32_e32 v21, 0
	v_cmp_ne_u16_sdwa s[8:9], v16, v21 src0_sel:BYTE_3 src1_sel:DWORD
	s_andn2_b64 s[4:5], s[4:5], exec
	s_and_b64 s[8:9], s[8:9], exec
	s_or_b64 s[4:5], s[4:5], s[8:9]
	s_or_b64 exec, exec, s[6:7]
	s_and_saveexec_b64 s[6:7], s[4:5]
	s_cbranch_execz .LBB1_8461
; %bb.12821:
	s_getpc_b64 s[14:15]
.Lpost_getpc2314:
	s_add_u32 s14, s14, (.LBB1_539-.Lpost_getpc2314)&4294967295
	s_addc_u32 s15, s15, (.LBB1_539-.Lpost_getpc2314)>>32
	s_setpc_b64 s[14:15]
.LBB1_8461:
	s_getpc_b64 s[14:15]
.Lpost_getpc134:
	s_add_u32 s14, s14, (.LBB1_540-.Lpost_getpc134)&4294967295
	s_addc_u32 s15, s15, (.LBB1_540-.Lpost_getpc134)>>32
	s_setpc_b64 s[14:15]
.LBB1_4637:
	s_movk_i32 s4, 0x80
	v_cmp_eq_u16_sdwa s[12:13], v12, s4 src0_sel:BYTE_3 src1_sel:DWORD
	s_mov_b64 s[4:5], -1
                                        ; implicit-def: $sgpr10
	s_and_saveexec_b64 s[8:9], s[12:13]
; %bb.4638:
	s_mov_b32 s10, 0x7f800001
	s_xor_b64 s[4:5], exec, -1
; %bb.4639:
	s_or_b64 exec, exec, s[8:9]
	s_and_b64 s[4:5], s[4:5], exec
	s_or_saveexec_b64 s[6:7], s[6:7]
	v_mov_b32_e32 v16, s10
	s_xor_b64 exec, exec, s[6:7]
	s_cbranch_execnz .LBB1_4640
; %bb.12823:
	s_getpc_b64 s[14:15]
.Lpost_getpc2315:
	s_add_u32 s14, s14, (.LBB1_542-.Lpost_getpc2315)&4294967295
	s_addc_u32 s15, s15, (.LBB1_542-.Lpost_getpc2315)>>32
	s_setpc_b64 s[14:15]
.LBB1_4640:
	v_mov_b32_e32 v16, 0
	v_cmp_ne_u16_sdwa s[8:9], v12, v16 src0_sel:BYTE_3 src1_sel:DWORD
	s_andn2_b64 s[4:5], s[4:5], exec
	s_and_b64 s[8:9], s[8:9], exec
	s_or_b64 s[4:5], s[4:5], s[8:9]
	s_or_b64 exec, exec, s[6:7]
	s_and_saveexec_b64 s[6:7], s[4:5]
	s_cbranch_execz .LBB1_8463
; %bb.12825:
	s_getpc_b64 s[14:15]
.Lpost_getpc2316:
	s_add_u32 s14, s14, (.LBB1_543-.Lpost_getpc2316)&4294967295
	s_addc_u32 s15, s15, (.LBB1_543-.Lpost_getpc2316)>>32
	s_setpc_b64 s[14:15]
.LBB1_8463:
	s_getpc_b64 s[14:15]
.Lpost_getpc135:
	s_add_u32 s14, s14, (.LBB1_544-.Lpost_getpc135)&4294967295
	s_addc_u32 s15, s15, (.LBB1_544-.Lpost_getpc135)>>32
	s_setpc_b64 s[14:15]
.LBB1_4641:
	s_movk_i32 s4, 0x80
	v_cmp_eq_u16_sdwa s[12:13], v17, s4 src0_sel:BYTE_0 src1_sel:DWORD
	s_mov_b64 s[4:5], -1
                                        ; implicit-def: $sgpr10
	s_and_saveexec_b64 s[8:9], s[12:13]
; %bb.4642:
	s_mov_b32 s10, 0x7f800001
	s_xor_b64 s[4:5], exec, -1
; %bb.4643:
	s_or_b64 exec, exec, s[8:9]
	s_and_b64 s[4:5], s[4:5], exec
	s_or_saveexec_b64 s[6:7], s[6:7]
	v_mov_b32_e32 v12, s10
	s_xor_b64 exec, exec, s[6:7]
	s_cbranch_execnz .LBB1_4644
; %bb.12827:
	s_getpc_b64 s[14:15]
.Lpost_getpc2317:
	s_add_u32 s14, s14, (.LBB1_546-.Lpost_getpc2317)&4294967295
	s_addc_u32 s15, s15, (.LBB1_546-.Lpost_getpc2317)>>32
	s_setpc_b64 s[14:15]
.LBB1_4644:
	v_mov_b32_e32 v12, 0
	v_cmp_ne_u16_sdwa s[8:9], v17, v12 src0_sel:BYTE_0 src1_sel:DWORD
	s_andn2_b64 s[4:5], s[4:5], exec
	s_and_b64 s[8:9], s[8:9], exec
	s_or_b64 s[4:5], s[4:5], s[8:9]
	s_or_b64 exec, exec, s[6:7]
	s_and_saveexec_b64 s[6:7], s[4:5]
	s_cbranch_execz .LBB1_8465
; %bb.12829:
	s_getpc_b64 s[14:15]
.Lpost_getpc2318:
	s_add_u32 s14, s14, (.LBB1_547-.Lpost_getpc2318)&4294967295
	s_addc_u32 s15, s15, (.LBB1_547-.Lpost_getpc2318)>>32
	s_setpc_b64 s[14:15]
.LBB1_8465:
	s_getpc_b64 s[14:15]
.Lpost_getpc136:
	s_add_u32 s14, s14, (.LBB1_548-.Lpost_getpc136)&4294967295
	s_addc_u32 s15, s15, (.LBB1_548-.Lpost_getpc136)>>32
	s_setpc_b64 s[14:15]
.LBB1_4645:
	s_movk_i32 s4, 0x80
	v_cmp_eq_u16_sdwa s[12:13], v13, s4 src0_sel:BYTE_0 src1_sel:DWORD
	s_mov_b64 s[4:5], -1
                                        ; implicit-def: $sgpr10
	s_and_saveexec_b64 s[8:9], s[12:13]
; %bb.4646:
	s_mov_b32 s10, 0x7f800001
	s_xor_b64 s[4:5], exec, -1
; %bb.4647:
	s_or_b64 exec, exec, s[8:9]
	s_and_b64 s[4:5], s[4:5], exec
	s_or_saveexec_b64 s[6:7], s[6:7]
	v_mov_b32_e32 v16, s10
	s_xor_b64 exec, exec, s[6:7]
	s_cbranch_execnz .LBB1_4648
; %bb.12831:
	s_getpc_b64 s[14:15]
.Lpost_getpc2319:
	s_add_u32 s14, s14, (.LBB1_550-.Lpost_getpc2319)&4294967295
	s_addc_u32 s15, s15, (.LBB1_550-.Lpost_getpc2319)>>32
	s_setpc_b64 s[14:15]
.LBB1_4648:
	v_mov_b32_e32 v16, 0
	v_cmp_ne_u16_sdwa s[8:9], v13, v16 src0_sel:BYTE_0 src1_sel:DWORD
	s_andn2_b64 s[4:5], s[4:5], exec
	s_and_b64 s[8:9], s[8:9], exec
	s_or_b64 s[4:5], s[4:5], s[8:9]
	s_or_b64 exec, exec, s[6:7]
	s_and_saveexec_b64 s[6:7], s[4:5]
	s_cbranch_execz .LBB1_8467
; %bb.12833:
	s_getpc_b64 s[14:15]
.Lpost_getpc2320:
	s_add_u32 s14, s14, (.LBB1_551-.Lpost_getpc2320)&4294967295
	s_addc_u32 s15, s15, (.LBB1_551-.Lpost_getpc2320)>>32
	s_setpc_b64 s[14:15]
.LBB1_8467:
	s_getpc_b64 s[14:15]
.Lpost_getpc137:
	s_add_u32 s14, s14, (.LBB1_552-.Lpost_getpc137)&4294967295
	s_addc_u32 s15, s15, (.LBB1_552-.Lpost_getpc137)>>32
	s_setpc_b64 s[14:15]
.LBB1_4649:
	s_movk_i32 s4, 0x80
	v_cmp_eq_u16_sdwa s[12:13], v16, s4 src0_sel:BYTE_0 src1_sel:DWORD
	s_mov_b64 s[4:5], -1
                                        ; implicit-def: $sgpr10
	s_and_saveexec_b64 s[8:9], s[12:13]
; %bb.4650:
	s_mov_b32 s10, 0x7f800001
	s_xor_b64 s[4:5], exec, -1
; %bb.4651:
	s_or_b64 exec, exec, s[8:9]
	s_and_b64 s[4:5], s[4:5], exec
	s_or_saveexec_b64 s[6:7], s[6:7]
	v_mov_b32_e32 v12, s10
	s_xor_b64 exec, exec, s[6:7]
	s_cbranch_execnz .LBB1_4652
; %bb.12835:
	s_getpc_b64 s[14:15]
.Lpost_getpc2321:
	s_add_u32 s14, s14, (.LBB1_554-.Lpost_getpc2321)&4294967295
	s_addc_u32 s15, s15, (.LBB1_554-.Lpost_getpc2321)>>32
	s_setpc_b64 s[14:15]
.LBB1_4652:
	v_mov_b32_e32 v12, 0
	v_cmp_ne_u16_sdwa s[8:9], v16, v12 src0_sel:BYTE_0 src1_sel:DWORD
	s_andn2_b64 s[4:5], s[4:5], exec
	s_and_b64 s[8:9], s[8:9], exec
	s_or_b64 s[4:5], s[4:5], s[8:9]
	s_or_b64 exec, exec, s[6:7]
	s_and_saveexec_b64 s[6:7], s[4:5]
	s_cbranch_execz .LBB1_8469
; %bb.12837:
	s_getpc_b64 s[14:15]
.Lpost_getpc2322:
	s_add_u32 s14, s14, (.LBB1_555-.Lpost_getpc2322)&4294967295
	s_addc_u32 s15, s15, (.LBB1_555-.Lpost_getpc2322)>>32
	s_setpc_b64 s[14:15]
.LBB1_8469:
	s_getpc_b64 s[14:15]
.Lpost_getpc138:
	s_add_u32 s14, s14, (.LBB1_556-.Lpost_getpc138)&4294967295
	s_addc_u32 s15, s15, (.LBB1_556-.Lpost_getpc138)>>32
	s_setpc_b64 s[14:15]
.LBB1_4653:
	s_movk_i32 s4, 0x80
	v_cmp_eq_u16_sdwa s[12:13], v16, s4 src0_sel:BYTE_0 src1_sel:DWORD
	s_mov_b64 s[4:5], -1
                                        ; implicit-def: $sgpr10
	s_and_saveexec_b64 s[8:9], s[12:13]
; %bb.4654:
	s_mov_b32 s10, 0x7f800001
	s_xor_b64 s[4:5], exec, -1
; %bb.4655:
	s_or_b64 exec, exec, s[8:9]
	s_and_b64 s[4:5], s[4:5], exec
	s_or_saveexec_b64 s[6:7], s[6:7]
	v_mov_b32_e32 v21, s10
	s_xor_b64 exec, exec, s[6:7]
	s_cbranch_execnz .LBB1_4656
; %bb.12839:
	s_getpc_b64 s[14:15]
.Lpost_getpc2323:
	s_add_u32 s14, s14, (.LBB1_558-.Lpost_getpc2323)&4294967295
	s_addc_u32 s15, s15, (.LBB1_558-.Lpost_getpc2323)>>32
	s_setpc_b64 s[14:15]
.LBB1_4656:
	v_mov_b32_e32 v21, 0
	v_cmp_ne_u16_sdwa s[8:9], v16, v21 src0_sel:BYTE_0 src1_sel:DWORD
	s_andn2_b64 s[4:5], s[4:5], exec
	s_and_b64 s[8:9], s[8:9], exec
	s_or_b64 s[4:5], s[4:5], s[8:9]
	s_or_b64 exec, exec, s[6:7]
	s_and_saveexec_b64 s[6:7], s[4:5]
	s_cbranch_execz .LBB1_8471
; %bb.12841:
	s_getpc_b64 s[14:15]
.Lpost_getpc2324:
	s_add_u32 s14, s14, (.LBB1_559-.Lpost_getpc2324)&4294967295
	s_addc_u32 s15, s15, (.LBB1_559-.Lpost_getpc2324)>>32
	s_setpc_b64 s[14:15]
.LBB1_8471:
	s_getpc_b64 s[14:15]
.Lpost_getpc139:
	s_add_u32 s14, s14, (.LBB1_560-.Lpost_getpc139)&4294967295
	s_addc_u32 s15, s15, (.LBB1_560-.Lpost_getpc139)>>32
	s_setpc_b64 s[14:15]
.LBB1_4657:
	s_movk_i32 s4, 0x80
	v_cmp_eq_u16_e32 vcc, s4, v16
	s_mov_b64 s[4:5], -1
                                        ; implicit-def: $sgpr10
	s_and_saveexec_b64 s[8:9], vcc
; %bb.4658:
	s_mov_b32 s10, 0x7f800001
	s_xor_b64 s[4:5], exec, -1
; %bb.4659:
	s_or_b64 exec, exec, s[8:9]
	s_and_b64 s[4:5], s[4:5], exec
                                        ; implicit-def: $vgpr16
	s_or_saveexec_b64 s[6:7], s[6:7]
	v_mov_b32_e32 v12, s10
	s_xor_b64 exec, exec, s[6:7]
	s_cbranch_execnz .LBB1_4660
; %bb.12843:
	s_getpc_b64 s[14:15]
.Lpost_getpc2325:
	s_add_u32 s14, s14, (.LBB1_562-.Lpost_getpc2325)&4294967295
	s_addc_u32 s15, s15, (.LBB1_562-.Lpost_getpc2325)>>32
	s_setpc_b64 s[14:15]
.LBB1_4660:
	v_cmp_ne_u16_e32 vcc, 0, v16
	s_andn2_b64 s[4:5], s[4:5], exec
	s_and_b64 s[8:9], vcc, exec
	v_mov_b32_e32 v12, 0
	s_or_b64 s[4:5], s[4:5], s[8:9]
	s_or_b64 exec, exec, s[6:7]
	s_and_saveexec_b64 s[6:7], s[4:5]
	s_cbranch_execz .LBB1_8473
; %bb.12845:
	s_getpc_b64 s[14:15]
.Lpost_getpc2326:
	s_add_u32 s14, s14, (.LBB1_563-.Lpost_getpc2326)&4294967295
	s_addc_u32 s15, s15, (.LBB1_563-.Lpost_getpc2326)>>32
	s_setpc_b64 s[14:15]
.LBB1_8473:
	s_getpc_b64 s[14:15]
.Lpost_getpc140:
	s_add_u32 s14, s14, (.LBB1_564-.Lpost_getpc140)&4294967295
	s_addc_u32 s15, s15, (.LBB1_564-.Lpost_getpc140)>>32
	s_setpc_b64 s[14:15]
.LBB1_4661:
	s_movk_i32 s4, 0x80
	v_cmp_eq_u16_e32 vcc, s4, v16
	s_mov_b64 s[4:5], -1
                                        ; implicit-def: $sgpr10
	s_and_saveexec_b64 s[8:9], vcc
; %bb.4662:
	s_mov_b32 s10, 0x7f800001
	s_xor_b64 s[4:5], exec, -1
; %bb.4663:
	s_or_b64 exec, exec, s[8:9]
	s_and_b64 s[4:5], s[4:5], exec
                                        ; implicit-def: $vgpr16
	s_or_saveexec_b64 s[6:7], s[6:7]
	v_mov_b32_e32 v21, s10
	s_xor_b64 exec, exec, s[6:7]
	s_cbranch_execnz .LBB1_4664
; %bb.12847:
	s_getpc_b64 s[14:15]
.Lpost_getpc2327:
	s_add_u32 s14, s14, (.LBB1_566-.Lpost_getpc2327)&4294967295
	s_addc_u32 s15, s15, (.LBB1_566-.Lpost_getpc2327)>>32
	s_setpc_b64 s[14:15]
.LBB1_4664:
	v_cmp_ne_u16_e32 vcc, 0, v16
	s_andn2_b64 s[4:5], s[4:5], exec
	s_and_b64 s[8:9], vcc, exec
	v_mov_b32_e32 v21, 0
	s_or_b64 s[4:5], s[4:5], s[8:9]
	s_or_b64 exec, exec, s[6:7]
	s_and_saveexec_b64 s[6:7], s[4:5]
	s_cbranch_execz .LBB1_8475
; %bb.12849:
	s_getpc_b64 s[14:15]
.Lpost_getpc2328:
	s_add_u32 s14, s14, (.LBB1_567-.Lpost_getpc2328)&4294967295
	s_addc_u32 s15, s15, (.LBB1_567-.Lpost_getpc2328)>>32
	s_setpc_b64 s[14:15]
.LBB1_8475:
	s_getpc_b64 s[14:15]
.Lpost_getpc141:
	s_add_u32 s14, s14, (.LBB1_568-.Lpost_getpc141)&4294967295
	s_addc_u32 s15, s15, (.LBB1_568-.Lpost_getpc141)>>32
	s_setpc_b64 s[14:15]
.LBB1_4665:
	s_movk_i32 s4, 0x80
	v_cmp_eq_u16_sdwa s[12:13], v17, s4 src0_sel:BYTE_3 src1_sel:DWORD
	s_mov_b64 s[4:5], -1
                                        ; implicit-def: $sgpr10
	s_and_saveexec_b64 s[8:9], s[12:13]
; %bb.4666:
	s_mov_b32 s10, 0x7f800001
	s_xor_b64 s[4:5], exec, -1
; %bb.4667:
	s_or_b64 exec, exec, s[8:9]
	s_and_b64 s[4:5], s[4:5], exec
	s_or_saveexec_b64 s[6:7], s[6:7]
	v_mov_b32_e32 v12, s10
	s_xor_b64 exec, exec, s[6:7]
	s_cbranch_execnz .LBB1_4668
; %bb.12851:
	s_getpc_b64 s[14:15]
.Lpost_getpc2329:
	s_add_u32 s14, s14, (.LBB1_570-.Lpost_getpc2329)&4294967295
	s_addc_u32 s15, s15, (.LBB1_570-.Lpost_getpc2329)>>32
	s_setpc_b64 s[14:15]
.LBB1_4668:
	v_mov_b32_e32 v12, 0
	v_cmp_ne_u16_sdwa s[8:9], v17, v12 src0_sel:BYTE_3 src1_sel:DWORD
	s_andn2_b64 s[4:5], s[4:5], exec
	s_and_b64 s[8:9], s[8:9], exec
	s_or_b64 s[4:5], s[4:5], s[8:9]
	s_or_b64 exec, exec, s[6:7]
	s_and_saveexec_b64 s[6:7], s[4:5]
	s_cbranch_execz .LBB1_8477
; %bb.12853:
	s_getpc_b64 s[14:15]
.Lpost_getpc2330:
	s_add_u32 s14, s14, (.LBB1_571-.Lpost_getpc2330)&4294967295
	s_addc_u32 s15, s15, (.LBB1_571-.Lpost_getpc2330)>>32
	s_setpc_b64 s[14:15]
.LBB1_8477:
	s_getpc_b64 s[14:15]
.Lpost_getpc142:
	s_add_u32 s14, s14, (.LBB1_572-.Lpost_getpc142)&4294967295
	s_addc_u32 s15, s15, (.LBB1_572-.Lpost_getpc142)>>32
	s_setpc_b64 s[14:15]
.LBB1_4669:
	s_movk_i32 s4, 0x80
	v_cmp_eq_u16_sdwa s[12:13], v13, s4 src0_sel:BYTE_3 src1_sel:DWORD
	s_mov_b64 s[4:5], -1
                                        ; implicit-def: $sgpr10
	s_and_saveexec_b64 s[8:9], s[12:13]
; %bb.4670:
	s_mov_b32 s10, 0x7f800001
	s_xor_b64 s[4:5], exec, -1
; %bb.4671:
	s_or_b64 exec, exec, s[8:9]
	s_and_b64 s[4:5], s[4:5], exec
	s_or_saveexec_b64 s[6:7], s[6:7]
	v_mov_b32_e32 v16, s10
	s_xor_b64 exec, exec, s[6:7]
	s_cbranch_execnz .LBB1_4672
; %bb.12855:
	s_getpc_b64 s[14:15]
.Lpost_getpc2331:
	s_add_u32 s14, s14, (.LBB1_574-.Lpost_getpc2331)&4294967295
	s_addc_u32 s15, s15, (.LBB1_574-.Lpost_getpc2331)>>32
	s_setpc_b64 s[14:15]
.LBB1_4672:
	v_mov_b32_e32 v16, 0
	v_cmp_ne_u16_sdwa s[8:9], v13, v16 src0_sel:BYTE_3 src1_sel:DWORD
	s_andn2_b64 s[4:5], s[4:5], exec
	s_and_b64 s[8:9], s[8:9], exec
	s_or_b64 s[4:5], s[4:5], s[8:9]
	s_or_b64 exec, exec, s[6:7]
	s_and_saveexec_b64 s[6:7], s[4:5]
	s_cbranch_execz .LBB1_8479
; %bb.12857:
	s_getpc_b64 s[14:15]
.Lpost_getpc2332:
	s_add_u32 s14, s14, (.LBB1_575-.Lpost_getpc2332)&4294967295
	s_addc_u32 s15, s15, (.LBB1_575-.Lpost_getpc2332)>>32
	s_setpc_b64 s[14:15]
.LBB1_8479:
	s_getpc_b64 s[14:15]
.Lpost_getpc143:
	s_add_u32 s14, s14, (.LBB1_576-.Lpost_getpc143)&4294967295
	s_addc_u32 s15, s15, (.LBB1_576-.Lpost_getpc143)>>32
	s_setpc_b64 s[14:15]
.LBB1_4673:
	s_movk_i32 s4, 0x80
	v_cmp_eq_u16_sdwa s[12:13], v18, s4 src0_sel:BYTE_0 src1_sel:DWORD
	s_mov_b64 s[4:5], -1
                                        ; implicit-def: $sgpr10
	s_and_saveexec_b64 s[8:9], s[12:13]
; %bb.4674:
	s_mov_b32 s10, 0x7f800001
	s_xor_b64 s[4:5], exec, -1
; %bb.4675:
	s_or_b64 exec, exec, s[8:9]
	s_and_b64 s[4:5], s[4:5], exec
	s_or_saveexec_b64 s[6:7], s[6:7]
	v_mov_b32_e32 v13, s10
	s_xor_b64 exec, exec, s[6:7]
	s_cbranch_execnz .LBB1_4676
; %bb.12859:
	s_getpc_b64 s[14:15]
.Lpost_getpc2333:
	s_add_u32 s14, s14, (.LBB1_578-.Lpost_getpc2333)&4294967295
	s_addc_u32 s15, s15, (.LBB1_578-.Lpost_getpc2333)>>32
	s_setpc_b64 s[14:15]
.LBB1_4676:
	v_mov_b32_e32 v13, 0
	v_cmp_ne_u16_sdwa s[8:9], v18, v13 src0_sel:BYTE_0 src1_sel:DWORD
	s_andn2_b64 s[4:5], s[4:5], exec
	s_and_b64 s[8:9], s[8:9], exec
	s_or_b64 s[4:5], s[4:5], s[8:9]
	s_or_b64 exec, exec, s[6:7]
	s_and_saveexec_b64 s[6:7], s[4:5]
	s_cbranch_execz .LBB1_8481
; %bb.12861:
	s_getpc_b64 s[14:15]
.Lpost_getpc2334:
	s_add_u32 s14, s14, (.LBB1_579-.Lpost_getpc2334)&4294967295
	s_addc_u32 s15, s15, (.LBB1_579-.Lpost_getpc2334)>>32
	s_setpc_b64 s[14:15]
.LBB1_8481:
	s_getpc_b64 s[14:15]
.Lpost_getpc144:
	s_add_u32 s14, s14, (.LBB1_580-.Lpost_getpc144)&4294967295
	s_addc_u32 s15, s15, (.LBB1_580-.Lpost_getpc144)>>32
	s_setpc_b64 s[14:15]
.LBB1_4677:
	s_movk_i32 s4, 0x80
	v_cmp_eq_u16_sdwa s[12:13], v16, s4 src0_sel:BYTE_0 src1_sel:DWORD
	s_mov_b64 s[4:5], -1
                                        ; implicit-def: $sgpr10
	s_and_saveexec_b64 s[8:9], s[12:13]
; %bb.4678:
	s_mov_b32 s10, 0x7f800001
	s_xor_b64 s[4:5], exec, -1
; %bb.4679:
	s_or_b64 exec, exec, s[8:9]
	s_and_b64 s[4:5], s[4:5], exec
	s_or_saveexec_b64 s[6:7], s[6:7]
	v_mov_b32_e32 v14, s10
	s_xor_b64 exec, exec, s[6:7]
	s_cbranch_execnz .LBB1_4680
; %bb.12863:
	s_getpc_b64 s[14:15]
.Lpost_getpc2335:
	s_add_u32 s14, s14, (.LBB1_582-.Lpost_getpc2335)&4294967295
	s_addc_u32 s15, s15, (.LBB1_582-.Lpost_getpc2335)>>32
	s_setpc_b64 s[14:15]
.LBB1_4680:
	v_mov_b32_e32 v14, 0
	v_cmp_ne_u16_sdwa s[8:9], v16, v14 src0_sel:BYTE_0 src1_sel:DWORD
	s_andn2_b64 s[4:5], s[4:5], exec
	s_and_b64 s[8:9], s[8:9], exec
	s_or_b64 s[4:5], s[4:5], s[8:9]
	s_or_b64 exec, exec, s[6:7]
	v_or_b32_sdwa v12, v16, v12 dst_sel:DWORD dst_unused:UNUSED_PAD src0_sel:WORD_0 src1_sel:DWORD
	s_and_saveexec_b64 s[6:7], s[4:5]
	s_cbranch_execz .LBB1_8483
; %bb.12865:
	s_getpc_b64 s[14:15]
.Lpost_getpc2336:
	s_add_u32 s14, s14, (.LBB1_583-.Lpost_getpc2336)&4294967295
	s_addc_u32 s15, s15, (.LBB1_583-.Lpost_getpc2336)>>32
	s_setpc_b64 s[14:15]
.LBB1_8483:
	s_getpc_b64 s[14:15]
.Lpost_getpc145:
	s_add_u32 s14, s14, (.LBB1_584-.Lpost_getpc145)&4294967295
	s_addc_u32 s15, s15, (.LBB1_584-.Lpost_getpc145)>>32
	s_setpc_b64 s[14:15]
.LBB1_4681:
	s_movk_i32 s4, 0x80
	v_cmp_eq_u16_sdwa s[12:13], v14, s4 src0_sel:BYTE_0 src1_sel:DWORD
	s_mov_b64 s[4:5], -1
                                        ; implicit-def: $sgpr10
	s_and_saveexec_b64 s[8:9], s[12:13]
; %bb.4682:
	s_mov_b32 s10, 0x7f800001
	s_xor_b64 s[4:5], exec, -1
; %bb.4683:
	s_or_b64 exec, exec, s[8:9]
	s_and_b64 s[4:5], s[4:5], exec
	s_or_saveexec_b64 s[6:7], s[6:7]
	v_mov_b32_e32 v13, s10
	s_xor_b64 exec, exec, s[6:7]
	s_cbranch_execnz .LBB1_4684
; %bb.12867:
	s_getpc_b64 s[14:15]
.Lpost_getpc2337:
	s_add_u32 s14, s14, (.LBB1_586-.Lpost_getpc2337)&4294967295
	s_addc_u32 s15, s15, (.LBB1_586-.Lpost_getpc2337)>>32
	s_setpc_b64 s[14:15]
.LBB1_4684:
	v_mov_b32_e32 v13, 0
	v_cmp_ne_u16_sdwa s[8:9], v14, v13 src0_sel:BYTE_0 src1_sel:DWORD
	s_andn2_b64 s[4:5], s[4:5], exec
	s_and_b64 s[8:9], s[8:9], exec
	s_or_b64 s[4:5], s[4:5], s[8:9]
	s_or_b64 exec, exec, s[6:7]
	s_and_saveexec_b64 s[6:7], s[4:5]
	s_cbranch_execz .LBB1_8485
; %bb.12869:
	s_getpc_b64 s[14:15]
.Lpost_getpc2338:
	s_add_u32 s14, s14, (.LBB1_587-.Lpost_getpc2338)&4294967295
	s_addc_u32 s15, s15, (.LBB1_587-.Lpost_getpc2338)>>32
	s_setpc_b64 s[14:15]
.LBB1_8485:
	s_getpc_b64 s[14:15]
.Lpost_getpc146:
	s_add_u32 s14, s14, (.LBB1_588-.Lpost_getpc146)&4294967295
	s_addc_u32 s15, s15, (.LBB1_588-.Lpost_getpc146)>>32
	s_setpc_b64 s[14:15]
.LBB1_4685:
	s_movk_i32 s4, 0x80
	v_cmp_eq_u16_sdwa s[12:13], v14, s4 src0_sel:BYTE_0 src1_sel:DWORD
	s_mov_b64 s[4:5], -1
                                        ; implicit-def: $sgpr10
	s_and_saveexec_b64 s[8:9], s[12:13]
; %bb.4686:
	s_mov_b32 s10, 0x7f800001
	s_xor_b64 s[4:5], exec, -1
; %bb.4687:
	s_or_b64 exec, exec, s[8:9]
	s_and_b64 s[4:5], s[4:5], exec
	s_or_saveexec_b64 s[6:7], s[6:7]
	v_mov_b32_e32 v16, s10
	s_xor_b64 exec, exec, s[6:7]
	s_cbranch_execnz .LBB1_4688
; %bb.12871:
	s_getpc_b64 s[14:15]
.Lpost_getpc2339:
	s_add_u32 s14, s14, (.LBB1_590-.Lpost_getpc2339)&4294967295
	s_addc_u32 s15, s15, (.LBB1_590-.Lpost_getpc2339)>>32
	s_setpc_b64 s[14:15]
.LBB1_4688:
	v_mov_b32_e32 v16, 0
	v_cmp_ne_u16_sdwa s[8:9], v14, v16 src0_sel:BYTE_0 src1_sel:DWORD
	s_andn2_b64 s[4:5], s[4:5], exec
	s_and_b64 s[8:9], s[8:9], exec
	s_or_b64 s[4:5], s[4:5], s[8:9]
	s_or_b64 exec, exec, s[6:7]
	s_and_saveexec_b64 s[6:7], s[4:5]
	s_cbranch_execz .LBB1_8487
; %bb.12873:
	s_getpc_b64 s[14:15]
.Lpost_getpc2340:
	s_add_u32 s14, s14, (.LBB1_591-.Lpost_getpc2340)&4294967295
	s_addc_u32 s15, s15, (.LBB1_591-.Lpost_getpc2340)>>32
	s_setpc_b64 s[14:15]
.LBB1_8487:
	s_getpc_b64 s[14:15]
.Lpost_getpc147:
	s_add_u32 s14, s14, (.LBB1_592-.Lpost_getpc147)&4294967295
	s_addc_u32 s15, s15, (.LBB1_592-.Lpost_getpc147)>>32
	s_setpc_b64 s[14:15]
.LBB1_4689:
	s_movk_i32 s4, 0x80
	v_cmp_eq_u16_e32 vcc, s4, v14
	s_mov_b64 s[4:5], -1
                                        ; implicit-def: $sgpr10
	s_and_saveexec_b64 s[8:9], vcc
; %bb.4690:
	s_mov_b32 s10, 0x7f800001
	s_xor_b64 s[4:5], exec, -1
; %bb.4691:
	s_or_b64 exec, exec, s[8:9]
	s_and_b64 s[4:5], s[4:5], exec
                                        ; implicit-def: $vgpr14
	s_or_saveexec_b64 s[6:7], s[6:7]
	v_mov_b32_e32 v13, s10
	s_xor_b64 exec, exec, s[6:7]
	s_cbranch_execnz .LBB1_4692
; %bb.12875:
	s_getpc_b64 s[14:15]
.Lpost_getpc2341:
	s_add_u32 s14, s14, (.LBB1_594-.Lpost_getpc2341)&4294967295
	s_addc_u32 s15, s15, (.LBB1_594-.Lpost_getpc2341)>>32
	s_setpc_b64 s[14:15]
.LBB1_4692:
	v_cmp_ne_u16_e32 vcc, 0, v14
	s_andn2_b64 s[4:5], s[4:5], exec
	s_and_b64 s[8:9], vcc, exec
	v_mov_b32_e32 v13, 0
	s_or_b64 s[4:5], s[4:5], s[8:9]
	s_or_b64 exec, exec, s[6:7]
	s_and_saveexec_b64 s[6:7], s[4:5]
	s_cbranch_execz .LBB1_8489
; %bb.12877:
	s_getpc_b64 s[14:15]
.Lpost_getpc2342:
	s_add_u32 s14, s14, (.LBB1_595-.Lpost_getpc2342)&4294967295
	s_addc_u32 s15, s15, (.LBB1_595-.Lpost_getpc2342)>>32
	s_setpc_b64 s[14:15]
.LBB1_8489:
	s_getpc_b64 s[14:15]
.Lpost_getpc148:
	s_add_u32 s14, s14, (.LBB1_596-.Lpost_getpc148)&4294967295
	s_addc_u32 s15, s15, (.LBB1_596-.Lpost_getpc148)>>32
	s_setpc_b64 s[14:15]
.LBB1_4693:
	s_movk_i32 s4, 0x80
	v_cmp_eq_u16_e32 vcc, s4, v14
	s_mov_b64 s[4:5], -1
                                        ; implicit-def: $sgpr10
	s_and_saveexec_b64 s[8:9], vcc
; %bb.4694:
	s_mov_b32 s10, 0x7f800001
	s_xor_b64 s[4:5], exec, -1
; %bb.4695:
	s_or_b64 exec, exec, s[8:9]
	s_and_b64 s[4:5], s[4:5], exec
                                        ; implicit-def: $vgpr14
	s_or_saveexec_b64 s[6:7], s[6:7]
	v_mov_b32_e32 v16, s10
	s_xor_b64 exec, exec, s[6:7]
	s_cbranch_execnz .LBB1_4696
; %bb.12879:
	s_getpc_b64 s[14:15]
.Lpost_getpc2343:
	s_add_u32 s14, s14, (.LBB1_598-.Lpost_getpc2343)&4294967295
	s_addc_u32 s15, s15, (.LBB1_598-.Lpost_getpc2343)>>32
	s_setpc_b64 s[14:15]
.LBB1_4696:
	v_cmp_ne_u16_e32 vcc, 0, v14
	s_andn2_b64 s[4:5], s[4:5], exec
	s_and_b64 s[8:9], vcc, exec
	v_mov_b32_e32 v16, 0
	s_or_b64 s[4:5], s[4:5], s[8:9]
	s_or_b64 exec, exec, s[6:7]
	s_and_saveexec_b64 s[6:7], s[4:5]
	s_cbranch_execz .LBB1_8491
; %bb.12881:
	s_getpc_b64 s[14:15]
.Lpost_getpc2344:
	s_add_u32 s14, s14, (.LBB1_599-.Lpost_getpc2344)&4294967295
	s_addc_u32 s15, s15, (.LBB1_599-.Lpost_getpc2344)>>32
	s_setpc_b64 s[14:15]
.LBB1_8491:
	s_getpc_b64 s[14:15]
.Lpost_getpc149:
	s_add_u32 s14, s14, (.LBB1_600-.Lpost_getpc149)&4294967295
	s_addc_u32 s15, s15, (.LBB1_600-.Lpost_getpc149)>>32
	s_setpc_b64 s[14:15]
.LBB1_4697:
	s_movk_i32 s4, 0x80
	v_cmp_eq_u16_sdwa s[12:13], v18, s4 src0_sel:BYTE_3 src1_sel:DWORD
	s_mov_b64 s[4:5], -1
                                        ; implicit-def: $sgpr10
	s_and_saveexec_b64 s[8:9], s[12:13]
; %bb.4698:
	s_mov_b32 s10, 0x7f800001
	s_xor_b64 s[4:5], exec, -1
; %bb.4699:
	s_or_b64 exec, exec, s[8:9]
	s_and_b64 s[4:5], s[4:5], exec
	s_or_saveexec_b64 s[6:7], s[6:7]
	v_mov_b32_e32 v13, s10
	s_xor_b64 exec, exec, s[6:7]
	s_cbranch_execnz .LBB1_4700
; %bb.12883:
	s_getpc_b64 s[14:15]
.Lpost_getpc2345:
	s_add_u32 s14, s14, (.LBB1_602-.Lpost_getpc2345)&4294967295
	s_addc_u32 s15, s15, (.LBB1_602-.Lpost_getpc2345)>>32
	s_setpc_b64 s[14:15]
.LBB1_4700:
	v_mov_b32_e32 v13, 0
	v_cmp_ne_u16_sdwa s[8:9], v18, v13 src0_sel:BYTE_3 src1_sel:DWORD
	s_andn2_b64 s[4:5], s[4:5], exec
	s_and_b64 s[8:9], s[8:9], exec
	s_or_b64 s[4:5], s[4:5], s[8:9]
	s_or_b64 exec, exec, s[6:7]
	s_and_saveexec_b64 s[6:7], s[4:5]
	s_cbranch_execz .LBB1_8493
; %bb.12885:
	s_getpc_b64 s[14:15]
.Lpost_getpc2346:
	s_add_u32 s14, s14, (.LBB1_603-.Lpost_getpc2346)&4294967295
	s_addc_u32 s15, s15, (.LBB1_603-.Lpost_getpc2346)>>32
	s_setpc_b64 s[14:15]
.LBB1_8493:
	s_getpc_b64 s[14:15]
.Lpost_getpc150:
	s_add_u32 s14, s14, (.LBB1_604-.Lpost_getpc150)&4294967295
	s_addc_u32 s15, s15, (.LBB1_604-.Lpost_getpc150)>>32
	s_setpc_b64 s[14:15]
.LBB1_4701:
	s_movk_i32 s4, 0x80
	v_cmp_eq_u16_sdwa s[12:13], v12, s4 src0_sel:BYTE_3 src1_sel:DWORD
	s_mov_b64 s[4:5], -1
                                        ; implicit-def: $sgpr10
	s_and_saveexec_b64 s[8:9], s[12:13]
; %bb.4702:
	s_mov_b32 s10, 0x7f800001
	s_xor_b64 s[4:5], exec, -1
; %bb.4703:
	s_or_b64 exec, exec, s[8:9]
	s_and_b64 s[4:5], s[4:5], exec
	s_or_saveexec_b64 s[6:7], s[6:7]
	v_mov_b32_e32 v14, s10
	s_xor_b64 exec, exec, s[6:7]
	s_cbranch_execnz .LBB1_4704
; %bb.12887:
	s_getpc_b64 s[14:15]
.Lpost_getpc2347:
	s_add_u32 s14, s14, (.LBB1_606-.Lpost_getpc2347)&4294967295
	s_addc_u32 s15, s15, (.LBB1_606-.Lpost_getpc2347)>>32
	s_setpc_b64 s[14:15]
.LBB1_4704:
	v_mov_b32_e32 v14, 0
	v_cmp_ne_u16_sdwa s[8:9], v12, v14 src0_sel:BYTE_3 src1_sel:DWORD
	s_andn2_b64 s[4:5], s[4:5], exec
	s_and_b64 s[8:9], s[8:9], exec
	s_or_b64 s[4:5], s[4:5], s[8:9]
	s_or_b64 exec, exec, s[6:7]
	s_and_saveexec_b64 s[6:7], s[4:5]
	s_cbranch_execz .LBB1_8495
; %bb.12889:
	s_getpc_b64 s[14:15]
.Lpost_getpc2348:
	s_add_u32 s14, s14, (.LBB1_607-.Lpost_getpc2348)&4294967295
	s_addc_u32 s15, s15, (.LBB1_607-.Lpost_getpc2348)>>32
	s_setpc_b64 s[14:15]
.LBB1_8495:
	s_getpc_b64 s[14:15]
.Lpost_getpc151:
	s_add_u32 s14, s14, (.LBB1_608-.Lpost_getpc151)&4294967295
	s_addc_u32 s15, s15, (.LBB1_608-.Lpost_getpc151)>>32
	s_setpc_b64 s[14:15]
.LBB1_4705:
	s_movk_i32 s4, 0x80
	v_cmp_eq_u16_sdwa s[12:13], v19, s4 src0_sel:BYTE_0 src1_sel:DWORD
	s_mov_b64 s[4:5], -1
                                        ; implicit-def: $sgpr10
	s_and_saveexec_b64 s[8:9], s[12:13]
; %bb.4706:
	s_mov_b32 s10, 0x7f800001
	s_xor_b64 s[4:5], exec, -1
; %bb.4707:
	s_or_b64 exec, exec, s[8:9]
	s_and_b64 s[4:5], s[4:5], exec
	s_or_saveexec_b64 s[6:7], s[6:7]
	v_mov_b32_e32 v12, s10
	s_xor_b64 exec, exec, s[6:7]
	s_cbranch_execnz .LBB1_4708
; %bb.12891:
	s_getpc_b64 s[14:15]
.Lpost_getpc2349:
	s_add_u32 s14, s14, (.LBB1_610-.Lpost_getpc2349)&4294967295
	s_addc_u32 s15, s15, (.LBB1_610-.Lpost_getpc2349)>>32
	s_setpc_b64 s[14:15]
.LBB1_4708:
	v_mov_b32_e32 v12, 0
	v_cmp_ne_u16_sdwa s[8:9], v19, v12 src0_sel:BYTE_0 src1_sel:DWORD
	s_andn2_b64 s[4:5], s[4:5], exec
	s_and_b64 s[8:9], s[8:9], exec
	s_or_b64 s[4:5], s[4:5], s[8:9]
	s_or_b64 exec, exec, s[6:7]
	s_and_saveexec_b64 s[6:7], s[4:5]
	s_cbranch_execz .LBB1_8497
; %bb.12893:
	s_getpc_b64 s[14:15]
.Lpost_getpc2350:
	s_add_u32 s14, s14, (.LBB1_611-.Lpost_getpc2350)&4294967295
	s_addc_u32 s15, s15, (.LBB1_611-.Lpost_getpc2350)>>32
	s_setpc_b64 s[14:15]
.LBB1_8497:
	s_getpc_b64 s[14:15]
.Lpost_getpc152:
	s_add_u32 s14, s14, (.LBB1_612-.Lpost_getpc152)&4294967295
	s_addc_u32 s15, s15, (.LBB1_612-.Lpost_getpc152)>>32
	s_setpc_b64 s[14:15]
.LBB1_4709:
	s_movk_i32 s4, 0x80
	v_cmp_eq_u16_sdwa s[12:13], v15, s4 src0_sel:BYTE_0 src1_sel:DWORD
	s_mov_b64 s[4:5], -1
                                        ; implicit-def: $sgpr10
	s_and_saveexec_b64 s[8:9], s[12:13]
; %bb.4710:
	s_mov_b32 s10, 0x7f800001
	s_xor_b64 s[4:5], exec, -1
; %bb.4711:
	s_or_b64 exec, exec, s[8:9]
	s_and_b64 s[4:5], s[4:5], exec
	s_or_saveexec_b64 s[6:7], s[6:7]
	v_mov_b32_e32 v13, s10
	s_xor_b64 exec, exec, s[6:7]
	s_cbranch_execnz .LBB1_4712
; %bb.12895:
	s_getpc_b64 s[14:15]
.Lpost_getpc2351:
	s_add_u32 s14, s14, (.LBB1_614-.Lpost_getpc2351)&4294967295
	s_addc_u32 s15, s15, (.LBB1_614-.Lpost_getpc2351)>>32
	s_setpc_b64 s[14:15]
.LBB1_4712:
	v_mov_b32_e32 v13, 0
	v_cmp_ne_u16_sdwa s[8:9], v15, v13 src0_sel:BYTE_0 src1_sel:DWORD
	s_andn2_b64 s[4:5], s[4:5], exec
	s_and_b64 s[8:9], s[8:9], exec
	s_or_b64 s[4:5], s[4:5], s[8:9]
	s_or_b64 exec, exec, s[6:7]
	s_and_saveexec_b64 s[6:7], s[4:5]
	s_cbranch_execz .LBB1_8499
; %bb.12897:
	s_getpc_b64 s[14:15]
.Lpost_getpc2352:
	s_add_u32 s14, s14, (.LBB1_615-.Lpost_getpc2352)&4294967295
	s_addc_u32 s15, s15, (.LBB1_615-.Lpost_getpc2352)>>32
	s_setpc_b64 s[14:15]
.LBB1_8499:
	s_getpc_b64 s[14:15]
.Lpost_getpc153:
	s_add_u32 s14, s14, (.LBB1_616-.Lpost_getpc153)&4294967295
	s_addc_u32 s15, s15, (.LBB1_616-.Lpost_getpc153)>>32
	s_setpc_b64 s[14:15]
.LBB1_4713:
	s_movk_i32 s4, 0x80
	v_cmp_eq_u16_sdwa s[12:13], v13, s4 src0_sel:BYTE_0 src1_sel:DWORD
	s_mov_b64 s[4:5], -1
                                        ; implicit-def: $sgpr10
	s_and_saveexec_b64 s[8:9], s[12:13]
; %bb.4714:
	s_mov_b32 s10, 0x7f800001
	s_xor_b64 s[4:5], exec, -1
; %bb.4715:
	s_or_b64 exec, exec, s[8:9]
	s_and_b64 s[4:5], s[4:5], exec
	s_or_saveexec_b64 s[6:7], s[6:7]
	v_mov_b32_e32 v12, s10
	s_xor_b64 exec, exec, s[6:7]
	s_cbranch_execnz .LBB1_4716
; %bb.12899:
	s_getpc_b64 s[14:15]
.Lpost_getpc2353:
	s_add_u32 s14, s14, (.LBB1_618-.Lpost_getpc2353)&4294967295
	s_addc_u32 s15, s15, (.LBB1_618-.Lpost_getpc2353)>>32
	s_setpc_b64 s[14:15]
.LBB1_4716:
	v_mov_b32_e32 v12, 0
	v_cmp_ne_u16_sdwa s[8:9], v13, v12 src0_sel:BYTE_0 src1_sel:DWORD
	s_andn2_b64 s[4:5], s[4:5], exec
	s_and_b64 s[8:9], s[8:9], exec
	s_or_b64 s[4:5], s[4:5], s[8:9]
	s_or_b64 exec, exec, s[6:7]
	s_and_saveexec_b64 s[6:7], s[4:5]
	s_cbranch_execz .LBB1_8501
; %bb.12901:
	s_getpc_b64 s[14:15]
.Lpost_getpc2354:
	s_add_u32 s14, s14, (.LBB1_619-.Lpost_getpc2354)&4294967295
	s_addc_u32 s15, s15, (.LBB1_619-.Lpost_getpc2354)>>32
	s_setpc_b64 s[14:15]
.LBB1_8501:
	s_getpc_b64 s[14:15]
.Lpost_getpc154:
	s_add_u32 s14, s14, (.LBB1_620-.Lpost_getpc154)&4294967295
	s_addc_u32 s15, s15, (.LBB1_620-.Lpost_getpc154)>>32
	s_setpc_b64 s[14:15]
.LBB1_4717:
	s_movk_i32 s4, 0x80
	v_cmp_eq_u16_sdwa s[12:13], v13, s4 src0_sel:BYTE_0 src1_sel:DWORD
	s_mov_b64 s[4:5], -1
                                        ; implicit-def: $sgpr10
	s_and_saveexec_b64 s[8:9], s[12:13]
; %bb.4718:
	s_mov_b32 s10, 0x7f800001
	s_xor_b64 s[4:5], exec, -1
; %bb.4719:
	s_or_b64 exec, exec, s[8:9]
	s_and_b64 s[4:5], s[4:5], exec
	s_or_saveexec_b64 s[6:7], s[6:7]
	v_mov_b32_e32 v14, s10
	s_xor_b64 exec, exec, s[6:7]
	s_cbranch_execnz .LBB1_4720
; %bb.12903:
	s_getpc_b64 s[14:15]
.Lpost_getpc2355:
	s_add_u32 s14, s14, (.LBB1_622-.Lpost_getpc2355)&4294967295
	s_addc_u32 s15, s15, (.LBB1_622-.Lpost_getpc2355)>>32
	s_setpc_b64 s[14:15]
.LBB1_4720:
	v_mov_b32_e32 v14, 0
	v_cmp_ne_u16_sdwa s[8:9], v13, v14 src0_sel:BYTE_0 src1_sel:DWORD
	s_andn2_b64 s[4:5], s[4:5], exec
	s_and_b64 s[8:9], s[8:9], exec
	s_or_b64 s[4:5], s[4:5], s[8:9]
	s_or_b64 exec, exec, s[6:7]
	s_and_saveexec_b64 s[6:7], s[4:5]
	s_cbranch_execz .LBB1_8503
; %bb.12905:
	s_getpc_b64 s[14:15]
.Lpost_getpc2356:
	s_add_u32 s14, s14, (.LBB1_623-.Lpost_getpc2356)&4294967295
	s_addc_u32 s15, s15, (.LBB1_623-.Lpost_getpc2356)>>32
	s_setpc_b64 s[14:15]
.LBB1_8503:
	s_getpc_b64 s[14:15]
.Lpost_getpc155:
	s_add_u32 s14, s14, (.LBB1_624-.Lpost_getpc155)&4294967295
	s_addc_u32 s15, s15, (.LBB1_624-.Lpost_getpc155)>>32
	s_setpc_b64 s[14:15]
.LBB1_4721:
	s_movk_i32 s4, 0x80
	v_cmp_eq_u16_e32 vcc, s4, v13
	s_mov_b64 s[4:5], -1
                                        ; implicit-def: $sgpr10
	s_and_saveexec_b64 s[8:9], vcc
; %bb.4722:
	s_mov_b32 s10, 0x7f800001
	s_xor_b64 s[4:5], exec, -1
; %bb.4723:
	s_or_b64 exec, exec, s[8:9]
	s_and_b64 s[4:5], s[4:5], exec
                                        ; implicit-def: $vgpr13
	s_or_saveexec_b64 s[6:7], s[6:7]
	v_mov_b32_e32 v12, s10
	s_xor_b64 exec, exec, s[6:7]
	s_cbranch_execnz .LBB1_4724
; %bb.12907:
	s_getpc_b64 s[14:15]
.Lpost_getpc2357:
	s_add_u32 s14, s14, (.LBB1_626-.Lpost_getpc2357)&4294967295
	s_addc_u32 s15, s15, (.LBB1_626-.Lpost_getpc2357)>>32
	s_setpc_b64 s[14:15]
.LBB1_4724:
	v_cmp_ne_u16_e32 vcc, 0, v13
	s_andn2_b64 s[4:5], s[4:5], exec
	s_and_b64 s[8:9], vcc, exec
	v_mov_b32_e32 v12, 0
	s_or_b64 s[4:5], s[4:5], s[8:9]
	s_or_b64 exec, exec, s[6:7]
	s_and_saveexec_b64 s[6:7], s[4:5]
	s_cbranch_execz .LBB1_8505
; %bb.12909:
	s_getpc_b64 s[14:15]
.Lpost_getpc2358:
	s_add_u32 s14, s14, (.LBB1_627-.Lpost_getpc2358)&4294967295
	s_addc_u32 s15, s15, (.LBB1_627-.Lpost_getpc2358)>>32
	s_setpc_b64 s[14:15]
.LBB1_8505:
	s_getpc_b64 s[14:15]
.Lpost_getpc156:
	s_add_u32 s14, s14, (.LBB1_628-.Lpost_getpc156)&4294967295
	s_addc_u32 s15, s15, (.LBB1_628-.Lpost_getpc156)>>32
	s_setpc_b64 s[14:15]
.LBB1_4725:
	s_movk_i32 s4, 0x80
	v_cmp_eq_u16_e32 vcc, s4, v13
	s_mov_b64 s[4:5], -1
                                        ; implicit-def: $sgpr10
	s_and_saveexec_b64 s[8:9], vcc
; %bb.4726:
	s_mov_b32 s10, 0x7f800001
	s_xor_b64 s[4:5], exec, -1
; %bb.4727:
	s_or_b64 exec, exec, s[8:9]
	s_and_b64 s[4:5], s[4:5], exec
                                        ; implicit-def: $vgpr13
	s_or_saveexec_b64 s[6:7], s[6:7]
	v_mov_b32_e32 v14, s10
	s_xor_b64 exec, exec, s[6:7]
	s_cbranch_execnz .LBB1_4728
; %bb.12911:
	s_getpc_b64 s[14:15]
.Lpost_getpc2359:
	s_add_u32 s14, s14, (.LBB1_630-.Lpost_getpc2359)&4294967295
	s_addc_u32 s15, s15, (.LBB1_630-.Lpost_getpc2359)>>32
	s_setpc_b64 s[14:15]
.LBB1_4728:
	v_cmp_ne_u16_e32 vcc, 0, v13
	s_andn2_b64 s[4:5], s[4:5], exec
	s_and_b64 s[8:9], vcc, exec
	v_mov_b32_e32 v14, 0
	s_or_b64 s[4:5], s[4:5], s[8:9]
	s_or_b64 exec, exec, s[6:7]
	s_and_saveexec_b64 s[6:7], s[4:5]
	s_cbranch_execz .LBB1_8507
; %bb.12913:
	s_getpc_b64 s[14:15]
.Lpost_getpc2360:
	s_add_u32 s14, s14, (.LBB1_631-.Lpost_getpc2360)&4294967295
	s_addc_u32 s15, s15, (.LBB1_631-.Lpost_getpc2360)>>32
	s_setpc_b64 s[14:15]
.LBB1_8507:
	s_getpc_b64 s[14:15]
.Lpost_getpc157:
	s_add_u32 s14, s14, (.LBB1_632-.Lpost_getpc157)&4294967295
	s_addc_u32 s15, s15, (.LBB1_632-.Lpost_getpc157)>>32
	s_setpc_b64 s[14:15]
.LBB1_4729:
	s_movk_i32 s4, 0x80
	v_cmp_eq_u16_sdwa s[12:13], v19, s4 src0_sel:BYTE_3 src1_sel:DWORD
	s_mov_b64 s[4:5], -1
                                        ; implicit-def: $sgpr10
	s_and_saveexec_b64 s[8:9], s[12:13]
; %bb.4730:
	s_mov_b32 s10, 0x7f800001
	s_xor_b64 s[4:5], exec, -1
; %bb.4731:
	s_or_b64 exec, exec, s[8:9]
	s_and_b64 s[4:5], s[4:5], exec
	s_or_saveexec_b64 s[6:7], s[6:7]
	v_mov_b32_e32 v12, s10
	s_xor_b64 exec, exec, s[6:7]
	s_cbranch_execnz .LBB1_4732
; %bb.12915:
	s_getpc_b64 s[14:15]
.Lpost_getpc2361:
	s_add_u32 s14, s14, (.LBB1_634-.Lpost_getpc2361)&4294967295
	s_addc_u32 s15, s15, (.LBB1_634-.Lpost_getpc2361)>>32
	s_setpc_b64 s[14:15]
.LBB1_4732:
	v_mov_b32_e32 v12, 0
	v_cmp_ne_u16_sdwa s[8:9], v19, v12 src0_sel:BYTE_3 src1_sel:DWORD
	s_andn2_b64 s[4:5], s[4:5], exec
	s_and_b64 s[8:9], s[8:9], exec
	s_or_b64 s[4:5], s[4:5], s[8:9]
	s_or_b64 exec, exec, s[6:7]
	s_and_saveexec_b64 s[6:7], s[4:5]
	s_cbranch_execz .LBB1_8509
; %bb.12917:
	s_getpc_b64 s[14:15]
.Lpost_getpc2362:
	s_add_u32 s14, s14, (.LBB1_635-.Lpost_getpc2362)&4294967295
	s_addc_u32 s15, s15, (.LBB1_635-.Lpost_getpc2362)>>32
	s_setpc_b64 s[14:15]
.LBB1_8509:
	s_getpc_b64 s[14:15]
.Lpost_getpc158:
	s_add_u32 s14, s14, (.LBB1_636-.Lpost_getpc158)&4294967295
	s_addc_u32 s15, s15, (.LBB1_636-.Lpost_getpc158)>>32
	s_setpc_b64 s[14:15]
.LBB1_4733:
	s_movk_i32 s4, 0x80
	v_cmp_eq_u16_sdwa s[12:13], v15, s4 src0_sel:BYTE_3 src1_sel:DWORD
	s_mov_b64 s[4:5], -1
                                        ; implicit-def: $sgpr10
	s_and_saveexec_b64 s[8:9], s[12:13]
; %bb.4734:
	s_mov_b32 s10, 0x7f800001
	s_xor_b64 s[4:5], exec, -1
; %bb.4735:
	s_or_b64 exec, exec, s[8:9]
	s_and_b64 s[4:5], s[4:5], exec
	s_or_saveexec_b64 s[6:7], s[6:7]
	v_mov_b32_e32 v13, s10
	s_xor_b64 exec, exec, s[6:7]
	s_cbranch_execnz .LBB1_4736
; %bb.12919:
	s_getpc_b64 s[14:15]
.Lpost_getpc2363:
	s_add_u32 s14, s14, (.LBB1_638-.Lpost_getpc2363)&4294967295
	s_addc_u32 s15, s15, (.LBB1_638-.Lpost_getpc2363)>>32
	s_setpc_b64 s[14:15]
.LBB1_4736:
	v_mov_b32_e32 v13, 0
	v_cmp_ne_u16_sdwa s[8:9], v15, v13 src0_sel:BYTE_3 src1_sel:DWORD
	s_andn2_b64 s[4:5], s[4:5], exec
	s_and_b64 s[8:9], s[8:9], exec
	s_or_b64 s[4:5], s[4:5], s[8:9]
	s_or_b64 exec, exec, s[6:7]
	s_and_saveexec_b64 s[6:7], s[4:5]
	s_cbranch_execz .LBB1_8511
; %bb.12921:
	s_getpc_b64 s[14:15]
.Lpost_getpc2364:
	s_add_u32 s14, s14, (.LBB1_639-.Lpost_getpc2364)&4294967295
	s_addc_u32 s15, s15, (.LBB1_639-.Lpost_getpc2364)>>32
	s_setpc_b64 s[14:15]
.LBB1_8511:
	s_getpc_b64 s[14:15]
.Lpost_getpc159:
	s_add_u32 s14, s14, (.LBB1_640-.Lpost_getpc159)&4294967295
	s_addc_u32 s15, s15, (.LBB1_640-.Lpost_getpc159)>>32
	s_setpc_b64 s[14:15]
.LBB1_4737:
	s_movk_i32 s4, 0x80
	v_cmp_eq_u16_sdwa s[12:13], v16, s4 src0_sel:BYTE_0 src1_sel:DWORD
	s_mov_b64 s[4:5], -1
                                        ; implicit-def: $sgpr10
	s_and_saveexec_b64 s[8:9], s[12:13]
; %bb.4738:
	s_mov_b32 s10, 0x7f800001
	s_xor_b64 s[4:5], exec, -1
; %bb.4739:
	s_or_b64 exec, exec, s[8:9]
	s_and_b64 s[4:5], s[4:5], exec
	s_or_saveexec_b64 s[6:7], s[6:7]
	v_mov_b32_e32 v21, s10
	s_xor_b64 exec, exec, s[6:7]
	s_cbranch_execnz .LBB1_4740
; %bb.12923:
	s_getpc_b64 s[14:15]
.Lpost_getpc2365:
	s_add_u32 s14, s14, (.LBB1_642-.Lpost_getpc2365)&4294967295
	s_addc_u32 s15, s15, (.LBB1_642-.Lpost_getpc2365)>>32
	s_setpc_b64 s[14:15]
.LBB1_4740:
	v_mov_b32_e32 v21, 0
	v_cmp_ne_u16_sdwa s[8:9], v16, v21 src0_sel:BYTE_0 src1_sel:DWORD
	s_andn2_b64 s[4:5], s[4:5], exec
	s_and_b64 s[8:9], s[8:9], exec
	s_or_b64 s[4:5], s[4:5], s[8:9]
	s_or_b64 exec, exec, s[6:7]
	s_and_saveexec_b64 s[6:7], s[4:5]
	s_cbranch_execz .LBB1_8513
; %bb.12925:
	s_getpc_b64 s[14:15]
.Lpost_getpc2366:
	s_add_u32 s14, s14, (.LBB1_643-.Lpost_getpc2366)&4294967295
	s_addc_u32 s15, s15, (.LBB1_643-.Lpost_getpc2366)>>32
	s_setpc_b64 s[14:15]
.LBB1_8513:
	s_getpc_b64 s[14:15]
.Lpost_getpc160:
	s_add_u32 s14, s14, (.LBB1_644-.Lpost_getpc160)&4294967295
	s_addc_u32 s15, s15, (.LBB1_644-.Lpost_getpc160)>>32
	s_setpc_b64 s[14:15]
.LBB1_4741:
	s_movk_i32 s4, 0x80
	v_cmp_eq_u16_sdwa s[12:13], v12, s4 src0_sel:BYTE_0 src1_sel:DWORD
	s_mov_b64 s[4:5], -1
                                        ; implicit-def: $sgpr10
	s_and_saveexec_b64 s[8:9], s[12:13]
; %bb.4742:
	s_mov_b32 s10, 0x7f800001
	s_xor_b64 s[4:5], exec, -1
; %bb.4743:
	s_or_b64 exec, exec, s[8:9]
	s_and_b64 s[4:5], s[4:5], exec
	s_or_saveexec_b64 s[6:7], s[6:7]
	v_mov_b32_e32 v22, s10
	s_xor_b64 exec, exec, s[6:7]
	s_cbranch_execnz .LBB1_4744
; %bb.12927:
	s_getpc_b64 s[14:15]
.Lpost_getpc2367:
	s_add_u32 s14, s14, (.LBB1_646-.Lpost_getpc2367)&4294967295
	s_addc_u32 s15, s15, (.LBB1_646-.Lpost_getpc2367)>>32
	s_setpc_b64 s[14:15]
.LBB1_4744:
	v_mov_b32_e32 v22, 0
	v_cmp_ne_u16_sdwa s[8:9], v12, v22 src0_sel:BYTE_0 src1_sel:DWORD
	s_andn2_b64 s[4:5], s[4:5], exec
	s_and_b64 s[8:9], s[8:9], exec
	s_or_b64 s[4:5], s[4:5], s[8:9]
	s_or_b64 exec, exec, s[6:7]
	s_and_saveexec_b64 s[6:7], s[4:5]
	s_cbranch_execz .LBB1_8515
; %bb.12929:
	s_getpc_b64 s[14:15]
.Lpost_getpc2368:
	s_add_u32 s14, s14, (.LBB1_647-.Lpost_getpc2368)&4294967295
	s_addc_u32 s15, s15, (.LBB1_647-.Lpost_getpc2368)>>32
	s_setpc_b64 s[14:15]
.LBB1_8515:
	s_getpc_b64 s[14:15]
.Lpost_getpc161:
	s_add_u32 s14, s14, (.LBB1_648-.Lpost_getpc161)&4294967295
	s_addc_u32 s15, s15, (.LBB1_648-.Lpost_getpc161)>>32
	s_setpc_b64 s[14:15]
.LBB1_4745:
	s_movk_i32 s4, 0x80
	v_cmp_eq_u16_sdwa s[12:13], v22, s4 src0_sel:BYTE_0 src1_sel:DWORD
	s_mov_b64 s[4:5], -1
                                        ; implicit-def: $sgpr10
	s_and_saveexec_b64 s[8:9], s[12:13]
; %bb.4746:
	s_mov_b32 s10, 0x7f800001
	s_xor_b64 s[4:5], exec, -1
; %bb.4747:
	s_or_b64 exec, exec, s[8:9]
	s_and_b64 s[4:5], s[4:5], exec
	s_or_saveexec_b64 s[6:7], s[6:7]
	v_mov_b32_e32 v21, s10
	s_xor_b64 exec, exec, s[6:7]
	s_cbranch_execnz .LBB1_4748
; %bb.12931:
	s_getpc_b64 s[14:15]
.Lpost_getpc2369:
	s_add_u32 s14, s14, (.LBB1_650-.Lpost_getpc2369)&4294967295
	s_addc_u32 s15, s15, (.LBB1_650-.Lpost_getpc2369)>>32
	s_setpc_b64 s[14:15]
.LBB1_4748:
	v_mov_b32_e32 v21, 0
	v_cmp_ne_u16_sdwa s[8:9], v22, v21 src0_sel:BYTE_0 src1_sel:DWORD
	s_andn2_b64 s[4:5], s[4:5], exec
	s_and_b64 s[8:9], s[8:9], exec
	s_or_b64 s[4:5], s[4:5], s[8:9]
	s_or_b64 exec, exec, s[6:7]
	s_and_saveexec_b64 s[6:7], s[4:5]
	s_cbranch_execz .LBB1_8517
; %bb.12933:
	s_getpc_b64 s[14:15]
.Lpost_getpc2370:
	s_add_u32 s14, s14, (.LBB1_651-.Lpost_getpc2370)&4294967295
	s_addc_u32 s15, s15, (.LBB1_651-.Lpost_getpc2370)>>32
	s_setpc_b64 s[14:15]
.LBB1_8517:
	s_getpc_b64 s[14:15]
.Lpost_getpc162:
	s_add_u32 s14, s14, (.LBB1_652-.Lpost_getpc162)&4294967295
	s_addc_u32 s15, s15, (.LBB1_652-.Lpost_getpc162)>>32
	s_setpc_b64 s[14:15]
.LBB1_4749:
	s_movk_i32 s4, 0x80
	v_cmp_eq_u16_sdwa s[12:13], v22, s4 src0_sel:BYTE_0 src1_sel:DWORD
	s_mov_b64 s[4:5], -1
                                        ; implicit-def: $sgpr10
	s_and_saveexec_b64 s[8:9], s[12:13]
; %bb.4750:
	s_mov_b32 s10, 0x7f800001
	s_xor_b64 s[4:5], exec, -1
; %bb.4751:
	s_or_b64 exec, exec, s[8:9]
	s_and_b64 s[4:5], s[4:5], exec
	s_or_saveexec_b64 s[6:7], s[6:7]
	v_mov_b32_e32 v23, s10
	s_xor_b64 exec, exec, s[6:7]
	s_cbranch_execnz .LBB1_4752
; %bb.12935:
	s_getpc_b64 s[14:15]
.Lpost_getpc2371:
	s_add_u32 s14, s14, (.LBB1_654-.Lpost_getpc2371)&4294967295
	s_addc_u32 s15, s15, (.LBB1_654-.Lpost_getpc2371)>>32
	s_setpc_b64 s[14:15]
.LBB1_4752:
	v_mov_b32_e32 v23, 0
	v_cmp_ne_u16_sdwa s[8:9], v22, v23 src0_sel:BYTE_0 src1_sel:DWORD
	s_andn2_b64 s[4:5], s[4:5], exec
	s_and_b64 s[8:9], s[8:9], exec
	s_or_b64 s[4:5], s[4:5], s[8:9]
	s_or_b64 exec, exec, s[6:7]
	s_and_saveexec_b64 s[6:7], s[4:5]
	s_cbranch_execz .LBB1_8519
; %bb.12937:
	s_getpc_b64 s[14:15]
.Lpost_getpc2372:
	s_add_u32 s14, s14, (.LBB1_655-.Lpost_getpc2372)&4294967295
	s_addc_u32 s15, s15, (.LBB1_655-.Lpost_getpc2372)>>32
	s_setpc_b64 s[14:15]
.LBB1_8519:
	s_getpc_b64 s[14:15]
.Lpost_getpc163:
	s_add_u32 s14, s14, (.LBB1_656-.Lpost_getpc163)&4294967295
	s_addc_u32 s15, s15, (.LBB1_656-.Lpost_getpc163)>>32
	s_setpc_b64 s[14:15]
.LBB1_4753:
	s_movk_i32 s4, 0x80
	v_cmp_eq_u16_e32 vcc, s4, v22
	s_mov_b64 s[4:5], -1
                                        ; implicit-def: $sgpr10
	s_and_saveexec_b64 s[8:9], vcc
; %bb.4754:
	s_mov_b32 s10, 0x7f800001
	s_xor_b64 s[4:5], exec, -1
; %bb.4755:
	s_or_b64 exec, exec, s[8:9]
	s_and_b64 s[4:5], s[4:5], exec
                                        ; implicit-def: $vgpr22
	s_or_saveexec_b64 s[6:7], s[6:7]
	v_mov_b32_e32 v21, s10
	s_xor_b64 exec, exec, s[6:7]
	s_cbranch_execnz .LBB1_4756
; %bb.12939:
	s_getpc_b64 s[14:15]
.Lpost_getpc2373:
	s_add_u32 s14, s14, (.LBB1_658-.Lpost_getpc2373)&4294967295
	s_addc_u32 s15, s15, (.LBB1_658-.Lpost_getpc2373)>>32
	s_setpc_b64 s[14:15]
.LBB1_4756:
	v_cmp_ne_u16_e32 vcc, 0, v22
	s_andn2_b64 s[4:5], s[4:5], exec
	s_and_b64 s[8:9], vcc, exec
	v_mov_b32_e32 v21, 0
	s_or_b64 s[4:5], s[4:5], s[8:9]
	s_or_b64 exec, exec, s[6:7]
	s_and_saveexec_b64 s[6:7], s[4:5]
	s_cbranch_execz .LBB1_8521
; %bb.12941:
	s_getpc_b64 s[14:15]
.Lpost_getpc2374:
	s_add_u32 s14, s14, (.LBB1_659-.Lpost_getpc2374)&4294967295
	s_addc_u32 s15, s15, (.LBB1_659-.Lpost_getpc2374)>>32
	s_setpc_b64 s[14:15]
.LBB1_8521:
	s_getpc_b64 s[14:15]
.Lpost_getpc164:
	s_add_u32 s14, s14, (.LBB1_660-.Lpost_getpc164)&4294967295
	s_addc_u32 s15, s15, (.LBB1_660-.Lpost_getpc164)>>32
	s_setpc_b64 s[14:15]
.LBB1_4757:
	s_movk_i32 s4, 0x80
	v_cmp_eq_u16_e32 vcc, s4, v22
	s_mov_b64 s[4:5], -1
                                        ; implicit-def: $sgpr10
	s_and_saveexec_b64 s[8:9], vcc
; %bb.4758:
	s_mov_b32 s10, 0x7f800001
	s_xor_b64 s[4:5], exec, -1
; %bb.4759:
	s_or_b64 exec, exec, s[8:9]
	s_and_b64 s[4:5], s[4:5], exec
                                        ; implicit-def: $vgpr22
	s_or_saveexec_b64 s[6:7], s[6:7]
	v_mov_b32_e32 v23, s10
	s_xor_b64 exec, exec, s[6:7]
	s_cbranch_execnz .LBB1_4760
; %bb.12943:
	s_getpc_b64 s[14:15]
.Lpost_getpc2375:
	s_add_u32 s14, s14, (.LBB1_662-.Lpost_getpc2375)&4294967295
	s_addc_u32 s15, s15, (.LBB1_662-.Lpost_getpc2375)>>32
	s_setpc_b64 s[14:15]
.LBB1_4760:
	v_cmp_ne_u16_e32 vcc, 0, v22
	s_andn2_b64 s[4:5], s[4:5], exec
	s_and_b64 s[8:9], vcc, exec
	v_mov_b32_e32 v23, 0
	s_or_b64 s[4:5], s[4:5], s[8:9]
	s_or_b64 exec, exec, s[6:7]
	s_and_saveexec_b64 s[6:7], s[4:5]
	s_cbranch_execz .LBB1_8523
; %bb.12945:
	s_getpc_b64 s[14:15]
.Lpost_getpc2376:
	s_add_u32 s14, s14, (.LBB1_663-.Lpost_getpc2376)&4294967295
	s_addc_u32 s15, s15, (.LBB1_663-.Lpost_getpc2376)>>32
	s_setpc_b64 s[14:15]
.LBB1_8523:
	s_getpc_b64 s[14:15]
.Lpost_getpc165:
	s_add_u32 s14, s14, (.LBB1_664-.Lpost_getpc165)&4294967295
	s_addc_u32 s15, s15, (.LBB1_664-.Lpost_getpc165)>>32
	s_setpc_b64 s[14:15]
.LBB1_4761:
	s_movk_i32 s4, 0x80
	v_cmp_eq_u16_sdwa s[12:13], v16, s4 src0_sel:BYTE_3 src1_sel:DWORD
	s_mov_b64 s[4:5], -1
                                        ; implicit-def: $sgpr10
	s_and_saveexec_b64 s[8:9], s[12:13]
; %bb.4762:
	s_mov_b32 s10, 0x7f800001
	s_xor_b64 s[4:5], exec, -1
; %bb.4763:
	s_or_b64 exec, exec, s[8:9]
	s_and_b64 s[4:5], s[4:5], exec
	s_or_saveexec_b64 s[6:7], s[6:7]
	v_mov_b32_e32 v21, s10
	s_xor_b64 exec, exec, s[6:7]
	s_cbranch_execnz .LBB1_4764
; %bb.12947:
	s_getpc_b64 s[14:15]
.Lpost_getpc2377:
	s_add_u32 s14, s14, (.LBB1_666-.Lpost_getpc2377)&4294967295
	s_addc_u32 s15, s15, (.LBB1_666-.Lpost_getpc2377)>>32
	s_setpc_b64 s[14:15]
.LBB1_4764:
	v_mov_b32_e32 v21, 0
	v_cmp_ne_u16_sdwa s[8:9], v16, v21 src0_sel:BYTE_3 src1_sel:DWORD
	s_andn2_b64 s[4:5], s[4:5], exec
	s_and_b64 s[8:9], s[8:9], exec
	s_or_b64 s[4:5], s[4:5], s[8:9]
	s_or_b64 exec, exec, s[6:7]
	s_and_saveexec_b64 s[6:7], s[4:5]
	s_cbranch_execz .LBB1_8525
; %bb.12949:
	s_getpc_b64 s[14:15]
.Lpost_getpc2378:
	s_add_u32 s14, s14, (.LBB1_667-.Lpost_getpc2378)&4294967295
	s_addc_u32 s15, s15, (.LBB1_667-.Lpost_getpc2378)>>32
	s_setpc_b64 s[14:15]
.LBB1_8525:
	s_getpc_b64 s[14:15]
.Lpost_getpc166:
	s_add_u32 s14, s14, (.LBB1_668-.Lpost_getpc166)&4294967295
	s_addc_u32 s15, s15, (.LBB1_668-.Lpost_getpc166)>>32
	s_setpc_b64 s[14:15]
.LBB1_4765:
	s_movk_i32 s4, 0x80
	v_cmp_eq_u16_sdwa s[12:13], v12, s4 src0_sel:BYTE_3 src1_sel:DWORD
	s_mov_b64 s[4:5], -1
                                        ; implicit-def: $sgpr10
	s_and_saveexec_b64 s[8:9], s[12:13]
; %bb.4766:
	s_mov_b32 s10, 0x7f800001
	s_xor_b64 s[4:5], exec, -1
; %bb.4767:
	s_or_b64 exec, exec, s[8:9]
	s_and_b64 s[4:5], s[4:5], exec
	s_or_saveexec_b64 s[6:7], s[6:7]
	v_mov_b32_e32 v16, s10
	s_xor_b64 exec, exec, s[6:7]
	s_cbranch_execnz .LBB1_4768
; %bb.12951:
	s_getpc_b64 s[14:15]
.Lpost_getpc2379:
	s_add_u32 s14, s14, (.LBB1_670-.Lpost_getpc2379)&4294967295
	s_addc_u32 s15, s15, (.LBB1_670-.Lpost_getpc2379)>>32
	s_setpc_b64 s[14:15]
.LBB1_4768:
	v_mov_b32_e32 v16, 0
	v_cmp_ne_u16_sdwa s[8:9], v12, v16 src0_sel:BYTE_3 src1_sel:DWORD
	s_andn2_b64 s[4:5], s[4:5], exec
	s_and_b64 s[8:9], s[8:9], exec
	s_or_b64 s[4:5], s[4:5], s[8:9]
	s_or_b64 exec, exec, s[6:7]
	s_and_saveexec_b64 s[6:7], s[4:5]
	s_cbranch_execz .LBB1_8527
; %bb.12953:
	s_getpc_b64 s[14:15]
.Lpost_getpc2380:
	s_add_u32 s14, s14, (.LBB1_671-.Lpost_getpc2380)&4294967295
	s_addc_u32 s15, s15, (.LBB1_671-.Lpost_getpc2380)>>32
	s_setpc_b64 s[14:15]
.LBB1_8527:
	s_getpc_b64 s[14:15]
.Lpost_getpc167:
	s_add_u32 s14, s14, (.LBB1_672-.Lpost_getpc167)&4294967295
	s_addc_u32 s15, s15, (.LBB1_672-.Lpost_getpc167)>>32
	s_setpc_b64 s[14:15]
.LBB1_4769:
	s_movk_i32 s4, 0x80
	v_cmp_eq_u16_sdwa s[12:13], v17, s4 src0_sel:BYTE_0 src1_sel:DWORD
	s_mov_b64 s[4:5], -1
                                        ; implicit-def: $sgpr10
	s_and_saveexec_b64 s[8:9], s[12:13]
; %bb.4770:
	s_mov_b32 s10, 0x7f800001
	s_xor_b64 s[4:5], exec, -1
; %bb.4771:
	s_or_b64 exec, exec, s[8:9]
	s_and_b64 s[4:5], s[4:5], exec
	s_or_saveexec_b64 s[6:7], s[6:7]
	v_mov_b32_e32 v12, s10
	s_xor_b64 exec, exec, s[6:7]
	s_cbranch_execnz .LBB1_4772
; %bb.12955:
	s_getpc_b64 s[14:15]
.Lpost_getpc2381:
	s_add_u32 s14, s14, (.LBB1_674-.Lpost_getpc2381)&4294967295
	s_addc_u32 s15, s15, (.LBB1_674-.Lpost_getpc2381)>>32
	s_setpc_b64 s[14:15]
.LBB1_4772:
	v_mov_b32_e32 v12, 0
	v_cmp_ne_u16_sdwa s[8:9], v17, v12 src0_sel:BYTE_0 src1_sel:DWORD
	s_andn2_b64 s[4:5], s[4:5], exec
	s_and_b64 s[8:9], s[8:9], exec
	s_or_b64 s[4:5], s[4:5], s[8:9]
	s_or_b64 exec, exec, s[6:7]
	s_and_saveexec_b64 s[6:7], s[4:5]
	s_cbranch_execz .LBB1_8529
; %bb.12957:
	s_getpc_b64 s[14:15]
.Lpost_getpc2382:
	s_add_u32 s14, s14, (.LBB1_675-.Lpost_getpc2382)&4294967295
	s_addc_u32 s15, s15, (.LBB1_675-.Lpost_getpc2382)>>32
	s_setpc_b64 s[14:15]
.LBB1_8529:
	s_getpc_b64 s[14:15]
.Lpost_getpc168:
	s_add_u32 s14, s14, (.LBB1_676-.Lpost_getpc168)&4294967295
	s_addc_u32 s15, s15, (.LBB1_676-.Lpost_getpc168)>>32
	s_setpc_b64 s[14:15]
.LBB1_4773:
	s_movk_i32 s4, 0x80
	v_cmp_eq_u16_sdwa s[12:13], v13, s4 src0_sel:BYTE_0 src1_sel:DWORD
	s_mov_b64 s[4:5], -1
                                        ; implicit-def: $sgpr10
	s_and_saveexec_b64 s[8:9], s[12:13]
; %bb.4774:
	s_mov_b32 s10, 0x7f800001
	s_xor_b64 s[4:5], exec, -1
; %bb.4775:
	s_or_b64 exec, exec, s[8:9]
	s_and_b64 s[4:5], s[4:5], exec
	s_or_saveexec_b64 s[6:7], s[6:7]
	v_mov_b32_e32 v16, s10
	s_xor_b64 exec, exec, s[6:7]
	s_cbranch_execnz .LBB1_4776
; %bb.12959:
	s_getpc_b64 s[14:15]
.Lpost_getpc2383:
	s_add_u32 s14, s14, (.LBB1_678-.Lpost_getpc2383)&4294967295
	s_addc_u32 s15, s15, (.LBB1_678-.Lpost_getpc2383)>>32
	s_setpc_b64 s[14:15]
.LBB1_4776:
	v_mov_b32_e32 v16, 0
	v_cmp_ne_u16_sdwa s[8:9], v13, v16 src0_sel:BYTE_0 src1_sel:DWORD
	s_andn2_b64 s[4:5], s[4:5], exec
	s_and_b64 s[8:9], s[8:9], exec
	s_or_b64 s[4:5], s[4:5], s[8:9]
	s_or_b64 exec, exec, s[6:7]
	s_and_saveexec_b64 s[6:7], s[4:5]
	s_cbranch_execz .LBB1_8531
; %bb.12961:
	s_getpc_b64 s[14:15]
.Lpost_getpc2384:
	s_add_u32 s14, s14, (.LBB1_679-.Lpost_getpc2384)&4294967295
	s_addc_u32 s15, s15, (.LBB1_679-.Lpost_getpc2384)>>32
	s_setpc_b64 s[14:15]
.LBB1_8531:
	s_getpc_b64 s[14:15]
.Lpost_getpc169:
	s_add_u32 s14, s14, (.LBB1_680-.Lpost_getpc169)&4294967295
	s_addc_u32 s15, s15, (.LBB1_680-.Lpost_getpc169)>>32
	s_setpc_b64 s[14:15]
.LBB1_4777:
	s_movk_i32 s4, 0x80
	v_cmp_eq_u16_sdwa s[12:13], v16, s4 src0_sel:BYTE_0 src1_sel:DWORD
	s_mov_b64 s[4:5], -1
                                        ; implicit-def: $sgpr10
	s_and_saveexec_b64 s[8:9], s[12:13]
; %bb.4778:
	s_mov_b32 s10, 0x7f800001
	s_xor_b64 s[4:5], exec, -1
; %bb.4779:
	s_or_b64 exec, exec, s[8:9]
	s_and_b64 s[4:5], s[4:5], exec
	s_or_saveexec_b64 s[6:7], s[6:7]
	v_mov_b32_e32 v12, s10
	s_xor_b64 exec, exec, s[6:7]
	s_cbranch_execnz .LBB1_4780
; %bb.12963:
	s_getpc_b64 s[14:15]
.Lpost_getpc2385:
	s_add_u32 s14, s14, (.LBB1_682-.Lpost_getpc2385)&4294967295
	s_addc_u32 s15, s15, (.LBB1_682-.Lpost_getpc2385)>>32
	s_setpc_b64 s[14:15]
.LBB1_4780:
	v_mov_b32_e32 v12, 0
	v_cmp_ne_u16_sdwa s[8:9], v16, v12 src0_sel:BYTE_0 src1_sel:DWORD
	s_andn2_b64 s[4:5], s[4:5], exec
	s_and_b64 s[8:9], s[8:9], exec
	s_or_b64 s[4:5], s[4:5], s[8:9]
	s_or_b64 exec, exec, s[6:7]
	s_and_saveexec_b64 s[6:7], s[4:5]
	s_cbranch_execz .LBB1_8533
; %bb.12965:
	s_getpc_b64 s[14:15]
.Lpost_getpc2386:
	s_add_u32 s14, s14, (.LBB1_683-.Lpost_getpc2386)&4294967295
	s_addc_u32 s15, s15, (.LBB1_683-.Lpost_getpc2386)>>32
	s_setpc_b64 s[14:15]
.LBB1_8533:
	s_getpc_b64 s[14:15]
.Lpost_getpc170:
	s_add_u32 s14, s14, (.LBB1_684-.Lpost_getpc170)&4294967295
	s_addc_u32 s15, s15, (.LBB1_684-.Lpost_getpc170)>>32
	s_setpc_b64 s[14:15]
.LBB1_4781:
	s_movk_i32 s4, 0x80
	v_cmp_eq_u16_sdwa s[12:13], v16, s4 src0_sel:BYTE_0 src1_sel:DWORD
	s_mov_b64 s[4:5], -1
                                        ; implicit-def: $sgpr10
	s_and_saveexec_b64 s[8:9], s[12:13]
; %bb.4782:
	s_mov_b32 s10, 0x7f800001
	s_xor_b64 s[4:5], exec, -1
; %bb.4783:
	s_or_b64 exec, exec, s[8:9]
	s_and_b64 s[4:5], s[4:5], exec
	s_or_saveexec_b64 s[6:7], s[6:7]
	v_mov_b32_e32 v21, s10
	s_xor_b64 exec, exec, s[6:7]
	s_cbranch_execnz .LBB1_4784
; %bb.12967:
	s_getpc_b64 s[14:15]
.Lpost_getpc2387:
	s_add_u32 s14, s14, (.LBB1_686-.Lpost_getpc2387)&4294967295
	s_addc_u32 s15, s15, (.LBB1_686-.Lpost_getpc2387)>>32
	s_setpc_b64 s[14:15]
.LBB1_4784:
	v_mov_b32_e32 v21, 0
	v_cmp_ne_u16_sdwa s[8:9], v16, v21 src0_sel:BYTE_0 src1_sel:DWORD
	s_andn2_b64 s[4:5], s[4:5], exec
	s_and_b64 s[8:9], s[8:9], exec
	s_or_b64 s[4:5], s[4:5], s[8:9]
	s_or_b64 exec, exec, s[6:7]
	s_and_saveexec_b64 s[6:7], s[4:5]
	s_cbranch_execz .LBB1_8535
; %bb.12969:
	s_getpc_b64 s[14:15]
.Lpost_getpc2388:
	s_add_u32 s14, s14, (.LBB1_687-.Lpost_getpc2388)&4294967295
	s_addc_u32 s15, s15, (.LBB1_687-.Lpost_getpc2388)>>32
	s_setpc_b64 s[14:15]
.LBB1_8535:
	s_getpc_b64 s[14:15]
.Lpost_getpc171:
	s_add_u32 s14, s14, (.LBB1_688-.Lpost_getpc171)&4294967295
	s_addc_u32 s15, s15, (.LBB1_688-.Lpost_getpc171)>>32
	s_setpc_b64 s[14:15]
.LBB1_4785:
	s_movk_i32 s4, 0x80
	v_cmp_eq_u16_e32 vcc, s4, v16
	s_mov_b64 s[4:5], -1
                                        ; implicit-def: $sgpr10
	s_and_saveexec_b64 s[8:9], vcc
; %bb.4786:
	s_mov_b32 s10, 0x7f800001
	s_xor_b64 s[4:5], exec, -1
; %bb.4787:
	s_or_b64 exec, exec, s[8:9]
	s_and_b64 s[4:5], s[4:5], exec
                                        ; implicit-def: $vgpr16
	s_or_saveexec_b64 s[6:7], s[6:7]
	v_mov_b32_e32 v12, s10
	s_xor_b64 exec, exec, s[6:7]
	s_cbranch_execnz .LBB1_4788
; %bb.12971:
	s_getpc_b64 s[14:15]
.Lpost_getpc2389:
	s_add_u32 s14, s14, (.LBB1_690-.Lpost_getpc2389)&4294967295
	s_addc_u32 s15, s15, (.LBB1_690-.Lpost_getpc2389)>>32
	s_setpc_b64 s[14:15]
.LBB1_4788:
	v_cmp_ne_u16_e32 vcc, 0, v16
	s_andn2_b64 s[4:5], s[4:5], exec
	s_and_b64 s[8:9], vcc, exec
	v_mov_b32_e32 v12, 0
	s_or_b64 s[4:5], s[4:5], s[8:9]
	s_or_b64 exec, exec, s[6:7]
	s_and_saveexec_b64 s[6:7], s[4:5]
	s_cbranch_execz .LBB1_8537
; %bb.12973:
	s_getpc_b64 s[14:15]
.Lpost_getpc2390:
	s_add_u32 s14, s14, (.LBB1_691-.Lpost_getpc2390)&4294967295
	s_addc_u32 s15, s15, (.LBB1_691-.Lpost_getpc2390)>>32
	s_setpc_b64 s[14:15]
.LBB1_8537:
	s_getpc_b64 s[14:15]
.Lpost_getpc172:
	s_add_u32 s14, s14, (.LBB1_692-.Lpost_getpc172)&4294967295
	s_addc_u32 s15, s15, (.LBB1_692-.Lpost_getpc172)>>32
	s_setpc_b64 s[14:15]
.LBB1_4789:
	s_movk_i32 s4, 0x80
	v_cmp_eq_u16_e32 vcc, s4, v16
	s_mov_b64 s[4:5], -1
                                        ; implicit-def: $sgpr10
	s_and_saveexec_b64 s[8:9], vcc
; %bb.4790:
	s_mov_b32 s10, 0x7f800001
	s_xor_b64 s[4:5], exec, -1
; %bb.4791:
	s_or_b64 exec, exec, s[8:9]
	s_and_b64 s[4:5], s[4:5], exec
                                        ; implicit-def: $vgpr16
	s_or_saveexec_b64 s[6:7], s[6:7]
	v_mov_b32_e32 v21, s10
	s_xor_b64 exec, exec, s[6:7]
	s_cbranch_execnz .LBB1_4792
; %bb.12975:
	s_getpc_b64 s[14:15]
.Lpost_getpc2391:
	s_add_u32 s14, s14, (.LBB1_694-.Lpost_getpc2391)&4294967295
	s_addc_u32 s15, s15, (.LBB1_694-.Lpost_getpc2391)>>32
	s_setpc_b64 s[14:15]
.LBB1_4792:
	v_cmp_ne_u16_e32 vcc, 0, v16
	s_andn2_b64 s[4:5], s[4:5], exec
	s_and_b64 s[8:9], vcc, exec
	v_mov_b32_e32 v21, 0
	s_or_b64 s[4:5], s[4:5], s[8:9]
	s_or_b64 exec, exec, s[6:7]
	s_and_saveexec_b64 s[6:7], s[4:5]
	s_cbranch_execz .LBB1_8539
; %bb.12977:
	s_getpc_b64 s[14:15]
.Lpost_getpc2392:
	s_add_u32 s14, s14, (.LBB1_695-.Lpost_getpc2392)&4294967295
	s_addc_u32 s15, s15, (.LBB1_695-.Lpost_getpc2392)>>32
	s_setpc_b64 s[14:15]
.LBB1_8539:
	s_getpc_b64 s[14:15]
.Lpost_getpc173:
	s_add_u32 s14, s14, (.LBB1_696-.Lpost_getpc173)&4294967295
	s_addc_u32 s15, s15, (.LBB1_696-.Lpost_getpc173)>>32
	s_setpc_b64 s[14:15]
.LBB1_4793:
	s_movk_i32 s4, 0x80
	v_cmp_eq_u16_sdwa s[12:13], v17, s4 src0_sel:BYTE_3 src1_sel:DWORD
	s_mov_b64 s[4:5], -1
                                        ; implicit-def: $sgpr10
	s_and_saveexec_b64 s[8:9], s[12:13]
; %bb.4794:
	s_mov_b32 s10, 0x7f800001
	s_xor_b64 s[4:5], exec, -1
; %bb.4795:
	s_or_b64 exec, exec, s[8:9]
	s_and_b64 s[4:5], s[4:5], exec
	s_or_saveexec_b64 s[6:7], s[6:7]
	v_mov_b32_e32 v12, s10
	s_xor_b64 exec, exec, s[6:7]
	s_cbranch_execnz .LBB1_4796
; %bb.12979:
	s_getpc_b64 s[14:15]
.Lpost_getpc2393:
	s_add_u32 s14, s14, (.LBB1_698-.Lpost_getpc2393)&4294967295
	s_addc_u32 s15, s15, (.LBB1_698-.Lpost_getpc2393)>>32
	s_setpc_b64 s[14:15]
.LBB1_4796:
	v_mov_b32_e32 v12, 0
	v_cmp_ne_u16_sdwa s[8:9], v17, v12 src0_sel:BYTE_3 src1_sel:DWORD
	s_andn2_b64 s[4:5], s[4:5], exec
	s_and_b64 s[8:9], s[8:9], exec
	s_or_b64 s[4:5], s[4:5], s[8:9]
	s_or_b64 exec, exec, s[6:7]
	s_and_saveexec_b64 s[6:7], s[4:5]
	s_cbranch_execz .LBB1_8541
; %bb.12981:
	s_getpc_b64 s[14:15]
.Lpost_getpc2394:
	s_add_u32 s14, s14, (.LBB1_699-.Lpost_getpc2394)&4294967295
	s_addc_u32 s15, s15, (.LBB1_699-.Lpost_getpc2394)>>32
	s_setpc_b64 s[14:15]
.LBB1_8541:
	s_getpc_b64 s[14:15]
.Lpost_getpc174:
	s_add_u32 s14, s14, (.LBB1_700-.Lpost_getpc174)&4294967295
	s_addc_u32 s15, s15, (.LBB1_700-.Lpost_getpc174)>>32
	s_setpc_b64 s[14:15]
.LBB1_4797:
	s_movk_i32 s4, 0x80
	v_cmp_eq_u16_sdwa s[12:13], v13, s4 src0_sel:BYTE_3 src1_sel:DWORD
	s_mov_b64 s[4:5], -1
                                        ; implicit-def: $sgpr10
	s_and_saveexec_b64 s[8:9], s[12:13]
; %bb.4798:
	s_mov_b32 s10, 0x7f800001
	s_xor_b64 s[4:5], exec, -1
; %bb.4799:
	s_or_b64 exec, exec, s[8:9]
	s_and_b64 s[4:5], s[4:5], exec
	s_or_saveexec_b64 s[6:7], s[6:7]
	v_mov_b32_e32 v16, s10
	s_xor_b64 exec, exec, s[6:7]
	s_cbranch_execnz .LBB1_4800
; %bb.12983:
	s_getpc_b64 s[14:15]
.Lpost_getpc2395:
	s_add_u32 s14, s14, (.LBB1_702-.Lpost_getpc2395)&4294967295
	s_addc_u32 s15, s15, (.LBB1_702-.Lpost_getpc2395)>>32
	s_setpc_b64 s[14:15]
.LBB1_4800:
	v_mov_b32_e32 v16, 0
	v_cmp_ne_u16_sdwa s[8:9], v13, v16 src0_sel:BYTE_3 src1_sel:DWORD
	s_andn2_b64 s[4:5], s[4:5], exec
	s_and_b64 s[8:9], s[8:9], exec
	s_or_b64 s[4:5], s[4:5], s[8:9]
	s_or_b64 exec, exec, s[6:7]
	s_and_saveexec_b64 s[6:7], s[4:5]
	s_cbranch_execz .LBB1_8543
; %bb.12985:
	s_getpc_b64 s[14:15]
.Lpost_getpc2396:
	s_add_u32 s14, s14, (.LBB1_703-.Lpost_getpc2396)&4294967295
	s_addc_u32 s15, s15, (.LBB1_703-.Lpost_getpc2396)>>32
	s_setpc_b64 s[14:15]
.LBB1_8543:
	s_getpc_b64 s[14:15]
.Lpost_getpc175:
	s_add_u32 s14, s14, (.LBB1_704-.Lpost_getpc175)&4294967295
	s_addc_u32 s15, s15, (.LBB1_704-.Lpost_getpc175)>>32
	s_setpc_b64 s[14:15]
.LBB1_4801:
	s_movk_i32 s4, 0x80
	v_cmp_eq_u16_sdwa s[12:13], v18, s4 src0_sel:BYTE_0 src1_sel:DWORD
	s_mov_b64 s[4:5], -1
                                        ; implicit-def: $sgpr10
	s_and_saveexec_b64 s[8:9], s[12:13]
; %bb.4802:
	s_mov_b32 s10, 0x7f800001
	s_xor_b64 s[4:5], exec, -1
; %bb.4803:
	s_or_b64 exec, exec, s[8:9]
	s_and_b64 s[4:5], s[4:5], exec
	s_or_saveexec_b64 s[6:7], s[6:7]
	v_mov_b32_e32 v13, s10
	s_xor_b64 exec, exec, s[6:7]
	s_cbranch_execnz .LBB1_4804
; %bb.12987:
	s_getpc_b64 s[14:15]
.Lpost_getpc2397:
	s_add_u32 s14, s14, (.LBB1_706-.Lpost_getpc2397)&4294967295
	s_addc_u32 s15, s15, (.LBB1_706-.Lpost_getpc2397)>>32
	s_setpc_b64 s[14:15]
.LBB1_4804:
	v_mov_b32_e32 v13, 0
	v_cmp_ne_u16_sdwa s[8:9], v18, v13 src0_sel:BYTE_0 src1_sel:DWORD
	s_andn2_b64 s[4:5], s[4:5], exec
	s_and_b64 s[8:9], s[8:9], exec
	s_or_b64 s[4:5], s[4:5], s[8:9]
	s_or_b64 exec, exec, s[6:7]
	s_and_saveexec_b64 s[6:7], s[4:5]
	s_cbranch_execz .LBB1_8545
; %bb.12989:
	s_getpc_b64 s[14:15]
.Lpost_getpc2398:
	s_add_u32 s14, s14, (.LBB1_707-.Lpost_getpc2398)&4294967295
	s_addc_u32 s15, s15, (.LBB1_707-.Lpost_getpc2398)>>32
	s_setpc_b64 s[14:15]
.LBB1_8545:
	s_getpc_b64 s[14:15]
.Lpost_getpc176:
	s_add_u32 s14, s14, (.LBB1_708-.Lpost_getpc176)&4294967295
	s_addc_u32 s15, s15, (.LBB1_708-.Lpost_getpc176)>>32
	s_setpc_b64 s[14:15]
.LBB1_4805:
	s_movk_i32 s4, 0x80
	v_cmp_eq_u16_sdwa s[12:13], v16, s4 src0_sel:BYTE_0 src1_sel:DWORD
	s_mov_b64 s[4:5], -1
                                        ; implicit-def: $sgpr10
	s_and_saveexec_b64 s[8:9], s[12:13]
; %bb.4806:
	s_mov_b32 s10, 0x7f800001
	s_xor_b64 s[4:5], exec, -1
; %bb.4807:
	s_or_b64 exec, exec, s[8:9]
	s_and_b64 s[4:5], s[4:5], exec
	s_or_saveexec_b64 s[6:7], s[6:7]
	v_mov_b32_e32 v14, s10
	s_xor_b64 exec, exec, s[6:7]
	s_cbranch_execnz .LBB1_4808
; %bb.12991:
	s_getpc_b64 s[14:15]
.Lpost_getpc2399:
	s_add_u32 s14, s14, (.LBB1_710-.Lpost_getpc2399)&4294967295
	s_addc_u32 s15, s15, (.LBB1_710-.Lpost_getpc2399)>>32
	s_setpc_b64 s[14:15]
.LBB1_4808:
	v_mov_b32_e32 v14, 0
	v_cmp_ne_u16_sdwa s[8:9], v16, v14 src0_sel:BYTE_0 src1_sel:DWORD
	s_andn2_b64 s[4:5], s[4:5], exec
	s_and_b64 s[8:9], s[8:9], exec
	s_or_b64 s[4:5], s[4:5], s[8:9]
	s_or_b64 exec, exec, s[6:7]
	v_or_b32_sdwa v12, v16, v12 dst_sel:DWORD dst_unused:UNUSED_PAD src0_sel:WORD_0 src1_sel:DWORD
	s_and_saveexec_b64 s[6:7], s[4:5]
	s_cbranch_execz .LBB1_8547
; %bb.12993:
	s_getpc_b64 s[14:15]
.Lpost_getpc2400:
	s_add_u32 s14, s14, (.LBB1_711-.Lpost_getpc2400)&4294967295
	s_addc_u32 s15, s15, (.LBB1_711-.Lpost_getpc2400)>>32
	s_setpc_b64 s[14:15]
.LBB1_8547:
	s_getpc_b64 s[14:15]
.Lpost_getpc177:
	s_add_u32 s14, s14, (.LBB1_712-.Lpost_getpc177)&4294967295
	s_addc_u32 s15, s15, (.LBB1_712-.Lpost_getpc177)>>32
	s_setpc_b64 s[14:15]
.LBB1_4809:
	s_movk_i32 s4, 0x80
	v_cmp_eq_u16_sdwa s[12:13], v14, s4 src0_sel:BYTE_0 src1_sel:DWORD
	s_mov_b64 s[4:5], -1
                                        ; implicit-def: $sgpr10
	s_and_saveexec_b64 s[8:9], s[12:13]
; %bb.4810:
	s_mov_b32 s10, 0x7f800001
	s_xor_b64 s[4:5], exec, -1
; %bb.4811:
	s_or_b64 exec, exec, s[8:9]
	s_and_b64 s[4:5], s[4:5], exec
	s_or_saveexec_b64 s[6:7], s[6:7]
	v_mov_b32_e32 v13, s10
	s_xor_b64 exec, exec, s[6:7]
	s_cbranch_execnz .LBB1_4812
; %bb.12995:
	s_getpc_b64 s[14:15]
.Lpost_getpc2401:
	s_add_u32 s14, s14, (.LBB1_714-.Lpost_getpc2401)&4294967295
	s_addc_u32 s15, s15, (.LBB1_714-.Lpost_getpc2401)>>32
	s_setpc_b64 s[14:15]
.LBB1_4812:
	v_mov_b32_e32 v13, 0
	v_cmp_ne_u16_sdwa s[8:9], v14, v13 src0_sel:BYTE_0 src1_sel:DWORD
	s_andn2_b64 s[4:5], s[4:5], exec
	s_and_b64 s[8:9], s[8:9], exec
	s_or_b64 s[4:5], s[4:5], s[8:9]
	s_or_b64 exec, exec, s[6:7]
	s_and_saveexec_b64 s[6:7], s[4:5]
	s_cbranch_execz .LBB1_8549
; %bb.12997:
	s_getpc_b64 s[14:15]
.Lpost_getpc2402:
	s_add_u32 s14, s14, (.LBB1_715-.Lpost_getpc2402)&4294967295
	s_addc_u32 s15, s15, (.LBB1_715-.Lpost_getpc2402)>>32
	s_setpc_b64 s[14:15]
.LBB1_8549:
	s_getpc_b64 s[14:15]
.Lpost_getpc178:
	s_add_u32 s14, s14, (.LBB1_716-.Lpost_getpc178)&4294967295
	s_addc_u32 s15, s15, (.LBB1_716-.Lpost_getpc178)>>32
	s_setpc_b64 s[14:15]
.LBB1_4813:
	s_movk_i32 s4, 0x80
	v_cmp_eq_u16_sdwa s[12:13], v14, s4 src0_sel:BYTE_0 src1_sel:DWORD
	s_mov_b64 s[4:5], -1
                                        ; implicit-def: $sgpr10
	s_and_saveexec_b64 s[8:9], s[12:13]
; %bb.4814:
	s_mov_b32 s10, 0x7f800001
	s_xor_b64 s[4:5], exec, -1
; %bb.4815:
	s_or_b64 exec, exec, s[8:9]
	s_and_b64 s[4:5], s[4:5], exec
	s_or_saveexec_b64 s[6:7], s[6:7]
	v_mov_b32_e32 v16, s10
	s_xor_b64 exec, exec, s[6:7]
	s_cbranch_execnz .LBB1_4816
; %bb.12999:
	s_getpc_b64 s[14:15]
.Lpost_getpc2403:
	s_add_u32 s14, s14, (.LBB1_718-.Lpost_getpc2403)&4294967295
	s_addc_u32 s15, s15, (.LBB1_718-.Lpost_getpc2403)>>32
	s_setpc_b64 s[14:15]
.LBB1_4816:
	v_mov_b32_e32 v16, 0
	v_cmp_ne_u16_sdwa s[8:9], v14, v16 src0_sel:BYTE_0 src1_sel:DWORD
	s_andn2_b64 s[4:5], s[4:5], exec
	s_and_b64 s[8:9], s[8:9], exec
	s_or_b64 s[4:5], s[4:5], s[8:9]
	s_or_b64 exec, exec, s[6:7]
	s_and_saveexec_b64 s[6:7], s[4:5]
	s_cbranch_execz .LBB1_8551
; %bb.13001:
	s_getpc_b64 s[14:15]
.Lpost_getpc2404:
	s_add_u32 s14, s14, (.LBB1_719-.Lpost_getpc2404)&4294967295
	s_addc_u32 s15, s15, (.LBB1_719-.Lpost_getpc2404)>>32
	s_setpc_b64 s[14:15]
.LBB1_8551:
	s_getpc_b64 s[14:15]
.Lpost_getpc179:
	s_add_u32 s14, s14, (.LBB1_720-.Lpost_getpc179)&4294967295
	s_addc_u32 s15, s15, (.LBB1_720-.Lpost_getpc179)>>32
	s_setpc_b64 s[14:15]
.LBB1_4817:
	s_movk_i32 s4, 0x80
	v_cmp_eq_u16_e32 vcc, s4, v14
	s_mov_b64 s[4:5], -1
                                        ; implicit-def: $sgpr10
	s_and_saveexec_b64 s[8:9], vcc
; %bb.4818:
	s_mov_b32 s10, 0x7f800001
	s_xor_b64 s[4:5], exec, -1
; %bb.4819:
	s_or_b64 exec, exec, s[8:9]
	s_and_b64 s[4:5], s[4:5], exec
                                        ; implicit-def: $vgpr14
	s_or_saveexec_b64 s[6:7], s[6:7]
	v_mov_b32_e32 v13, s10
	s_xor_b64 exec, exec, s[6:7]
	s_cbranch_execnz .LBB1_4820
; %bb.13003:
	s_getpc_b64 s[14:15]
.Lpost_getpc2405:
	s_add_u32 s14, s14, (.LBB1_722-.Lpost_getpc2405)&4294967295
	s_addc_u32 s15, s15, (.LBB1_722-.Lpost_getpc2405)>>32
	s_setpc_b64 s[14:15]
.LBB1_4820:
	v_cmp_ne_u16_e32 vcc, 0, v14
	s_andn2_b64 s[4:5], s[4:5], exec
	s_and_b64 s[8:9], vcc, exec
	v_mov_b32_e32 v13, 0
	s_or_b64 s[4:5], s[4:5], s[8:9]
	s_or_b64 exec, exec, s[6:7]
	s_and_saveexec_b64 s[6:7], s[4:5]
	s_cbranch_execz .LBB1_8553
; %bb.13005:
	s_getpc_b64 s[14:15]
.Lpost_getpc2406:
	s_add_u32 s14, s14, (.LBB1_723-.Lpost_getpc2406)&4294967295
	s_addc_u32 s15, s15, (.LBB1_723-.Lpost_getpc2406)>>32
	s_setpc_b64 s[14:15]
.LBB1_8553:
	s_getpc_b64 s[14:15]
.Lpost_getpc180:
	s_add_u32 s14, s14, (.LBB1_724-.Lpost_getpc180)&4294967295
	s_addc_u32 s15, s15, (.LBB1_724-.Lpost_getpc180)>>32
	s_setpc_b64 s[14:15]
.LBB1_4821:
	s_movk_i32 s4, 0x80
	v_cmp_eq_u16_e32 vcc, s4, v14
	s_mov_b64 s[4:5], -1
                                        ; implicit-def: $sgpr10
	s_and_saveexec_b64 s[8:9], vcc
; %bb.4822:
	s_mov_b32 s10, 0x7f800001
	s_xor_b64 s[4:5], exec, -1
; %bb.4823:
	s_or_b64 exec, exec, s[8:9]
	s_and_b64 s[4:5], s[4:5], exec
                                        ; implicit-def: $vgpr14
	s_or_saveexec_b64 s[6:7], s[6:7]
	v_mov_b32_e32 v16, s10
	s_xor_b64 exec, exec, s[6:7]
	s_cbranch_execnz .LBB1_4824
; %bb.13007:
	s_getpc_b64 s[14:15]
.Lpost_getpc2407:
	s_add_u32 s14, s14, (.LBB1_726-.Lpost_getpc2407)&4294967295
	s_addc_u32 s15, s15, (.LBB1_726-.Lpost_getpc2407)>>32
	s_setpc_b64 s[14:15]
.LBB1_4824:
	v_cmp_ne_u16_e32 vcc, 0, v14
	s_andn2_b64 s[4:5], s[4:5], exec
	s_and_b64 s[8:9], vcc, exec
	v_mov_b32_e32 v16, 0
	s_or_b64 s[4:5], s[4:5], s[8:9]
	s_or_b64 exec, exec, s[6:7]
	s_and_saveexec_b64 s[6:7], s[4:5]
	s_cbranch_execz .LBB1_8555
; %bb.13009:
	s_getpc_b64 s[14:15]
.Lpost_getpc2408:
	s_add_u32 s14, s14, (.LBB1_727-.Lpost_getpc2408)&4294967295
	s_addc_u32 s15, s15, (.LBB1_727-.Lpost_getpc2408)>>32
	s_setpc_b64 s[14:15]
.LBB1_8555:
	s_getpc_b64 s[14:15]
.Lpost_getpc181:
	s_add_u32 s14, s14, (.LBB1_728-.Lpost_getpc181)&4294967295
	s_addc_u32 s15, s15, (.LBB1_728-.Lpost_getpc181)>>32
	s_setpc_b64 s[14:15]
.LBB1_4825:
	s_movk_i32 s4, 0x80
	v_cmp_eq_u16_sdwa s[12:13], v18, s4 src0_sel:BYTE_3 src1_sel:DWORD
	s_mov_b64 s[4:5], -1
                                        ; implicit-def: $sgpr10
	s_and_saveexec_b64 s[8:9], s[12:13]
; %bb.4826:
	s_mov_b32 s10, 0x7f800001
	s_xor_b64 s[4:5], exec, -1
; %bb.4827:
	s_or_b64 exec, exec, s[8:9]
	s_and_b64 s[4:5], s[4:5], exec
	s_or_saveexec_b64 s[6:7], s[6:7]
	v_mov_b32_e32 v13, s10
	s_xor_b64 exec, exec, s[6:7]
	s_cbranch_execnz .LBB1_4828
; %bb.13011:
	s_getpc_b64 s[14:15]
.Lpost_getpc2409:
	s_add_u32 s14, s14, (.LBB1_730-.Lpost_getpc2409)&4294967295
	s_addc_u32 s15, s15, (.LBB1_730-.Lpost_getpc2409)>>32
	s_setpc_b64 s[14:15]
.LBB1_4828:
	v_mov_b32_e32 v13, 0
	v_cmp_ne_u16_sdwa s[8:9], v18, v13 src0_sel:BYTE_3 src1_sel:DWORD
	s_andn2_b64 s[4:5], s[4:5], exec
	s_and_b64 s[8:9], s[8:9], exec
	s_or_b64 s[4:5], s[4:5], s[8:9]
	s_or_b64 exec, exec, s[6:7]
	s_and_saveexec_b64 s[6:7], s[4:5]
	s_cbranch_execz .LBB1_8557
; %bb.13013:
	s_getpc_b64 s[14:15]
.Lpost_getpc2410:
	s_add_u32 s14, s14, (.LBB1_731-.Lpost_getpc2410)&4294967295
	s_addc_u32 s15, s15, (.LBB1_731-.Lpost_getpc2410)>>32
	s_setpc_b64 s[14:15]
.LBB1_8557:
	s_getpc_b64 s[14:15]
.Lpost_getpc182:
	s_add_u32 s14, s14, (.LBB1_732-.Lpost_getpc182)&4294967295
	s_addc_u32 s15, s15, (.LBB1_732-.Lpost_getpc182)>>32
	s_setpc_b64 s[14:15]
.LBB1_4829:
	s_movk_i32 s4, 0x80
	v_cmp_eq_u16_sdwa s[12:13], v12, s4 src0_sel:BYTE_3 src1_sel:DWORD
	s_mov_b64 s[4:5], -1
                                        ; implicit-def: $sgpr10
	s_and_saveexec_b64 s[8:9], s[12:13]
; %bb.4830:
	s_mov_b32 s10, 0x7f800001
	s_xor_b64 s[4:5], exec, -1
; %bb.4831:
	s_or_b64 exec, exec, s[8:9]
	s_and_b64 s[4:5], s[4:5], exec
	s_or_saveexec_b64 s[6:7], s[6:7]
	v_mov_b32_e32 v14, s10
	s_xor_b64 exec, exec, s[6:7]
	s_cbranch_execnz .LBB1_4832
; %bb.13015:
	s_getpc_b64 s[14:15]
.Lpost_getpc2411:
	s_add_u32 s14, s14, (.LBB1_734-.Lpost_getpc2411)&4294967295
	s_addc_u32 s15, s15, (.LBB1_734-.Lpost_getpc2411)>>32
	s_setpc_b64 s[14:15]
.LBB1_4832:
	v_mov_b32_e32 v14, 0
	v_cmp_ne_u16_sdwa s[8:9], v12, v14 src0_sel:BYTE_3 src1_sel:DWORD
	s_andn2_b64 s[4:5], s[4:5], exec
	s_and_b64 s[8:9], s[8:9], exec
	s_or_b64 s[4:5], s[4:5], s[8:9]
	s_or_b64 exec, exec, s[6:7]
	s_and_saveexec_b64 s[6:7], s[4:5]
	s_cbranch_execz .LBB1_8559
; %bb.13017:
	s_getpc_b64 s[14:15]
.Lpost_getpc2412:
	s_add_u32 s14, s14, (.LBB1_735-.Lpost_getpc2412)&4294967295
	s_addc_u32 s15, s15, (.LBB1_735-.Lpost_getpc2412)>>32
	s_setpc_b64 s[14:15]
.LBB1_8559:
	s_getpc_b64 s[14:15]
.Lpost_getpc183:
	s_add_u32 s14, s14, (.LBB1_736-.Lpost_getpc183)&4294967295
	s_addc_u32 s15, s15, (.LBB1_736-.Lpost_getpc183)>>32
	s_setpc_b64 s[14:15]
.LBB1_4833:
	s_movk_i32 s4, 0x80
	v_cmp_eq_u16_sdwa s[12:13], v19, s4 src0_sel:BYTE_0 src1_sel:DWORD
	s_mov_b64 s[4:5], -1
                                        ; implicit-def: $sgpr10
	s_and_saveexec_b64 s[8:9], s[12:13]
; %bb.4834:
	s_mov_b32 s10, 0x7f800001
	s_xor_b64 s[4:5], exec, -1
; %bb.4835:
	s_or_b64 exec, exec, s[8:9]
	s_and_b64 s[4:5], s[4:5], exec
	s_or_saveexec_b64 s[6:7], s[6:7]
	v_mov_b32_e32 v12, s10
	s_xor_b64 exec, exec, s[6:7]
	s_cbranch_execnz .LBB1_4836
; %bb.13019:
	s_getpc_b64 s[14:15]
.Lpost_getpc2413:
	s_add_u32 s14, s14, (.LBB1_738-.Lpost_getpc2413)&4294967295
	s_addc_u32 s15, s15, (.LBB1_738-.Lpost_getpc2413)>>32
	s_setpc_b64 s[14:15]
.LBB1_4836:
	v_mov_b32_e32 v12, 0
	v_cmp_ne_u16_sdwa s[8:9], v19, v12 src0_sel:BYTE_0 src1_sel:DWORD
	s_andn2_b64 s[4:5], s[4:5], exec
	s_and_b64 s[8:9], s[8:9], exec
	s_or_b64 s[4:5], s[4:5], s[8:9]
	s_or_b64 exec, exec, s[6:7]
	s_and_saveexec_b64 s[6:7], s[4:5]
	s_cbranch_execz .LBB1_8561
; %bb.13021:
	s_getpc_b64 s[14:15]
.Lpost_getpc2414:
	s_add_u32 s14, s14, (.LBB1_739-.Lpost_getpc2414)&4294967295
	s_addc_u32 s15, s15, (.LBB1_739-.Lpost_getpc2414)>>32
	s_setpc_b64 s[14:15]
.LBB1_8561:
	s_getpc_b64 s[14:15]
.Lpost_getpc184:
	s_add_u32 s14, s14, (.LBB1_740-.Lpost_getpc184)&4294967295
	s_addc_u32 s15, s15, (.LBB1_740-.Lpost_getpc184)>>32
	s_setpc_b64 s[14:15]
.LBB1_4837:
	s_movk_i32 s4, 0x80
	v_cmp_eq_u16_sdwa s[12:13], v15, s4 src0_sel:BYTE_0 src1_sel:DWORD
	s_mov_b64 s[4:5], -1
                                        ; implicit-def: $sgpr10
	s_and_saveexec_b64 s[8:9], s[12:13]
; %bb.4838:
	s_mov_b32 s10, 0x7f800001
	s_xor_b64 s[4:5], exec, -1
; %bb.4839:
	s_or_b64 exec, exec, s[8:9]
	s_and_b64 s[4:5], s[4:5], exec
	s_or_saveexec_b64 s[6:7], s[6:7]
	v_mov_b32_e32 v13, s10
	s_xor_b64 exec, exec, s[6:7]
	s_cbranch_execnz .LBB1_4840
; %bb.13023:
	s_getpc_b64 s[14:15]
.Lpost_getpc2415:
	s_add_u32 s14, s14, (.LBB1_742-.Lpost_getpc2415)&4294967295
	s_addc_u32 s15, s15, (.LBB1_742-.Lpost_getpc2415)>>32
	s_setpc_b64 s[14:15]
.LBB1_4840:
	v_mov_b32_e32 v13, 0
	v_cmp_ne_u16_sdwa s[8:9], v15, v13 src0_sel:BYTE_0 src1_sel:DWORD
	s_andn2_b64 s[4:5], s[4:5], exec
	s_and_b64 s[8:9], s[8:9], exec
	s_or_b64 s[4:5], s[4:5], s[8:9]
	s_or_b64 exec, exec, s[6:7]
	s_and_saveexec_b64 s[6:7], s[4:5]
	s_cbranch_execz .LBB1_8563
; %bb.13025:
	s_getpc_b64 s[14:15]
.Lpost_getpc2416:
	s_add_u32 s14, s14, (.LBB1_743-.Lpost_getpc2416)&4294967295
	s_addc_u32 s15, s15, (.LBB1_743-.Lpost_getpc2416)>>32
	s_setpc_b64 s[14:15]
.LBB1_8563:
	s_getpc_b64 s[14:15]
.Lpost_getpc185:
	s_add_u32 s14, s14, (.LBB1_744-.Lpost_getpc185)&4294967295
	s_addc_u32 s15, s15, (.LBB1_744-.Lpost_getpc185)>>32
	s_setpc_b64 s[14:15]
.LBB1_4841:
	s_movk_i32 s4, 0x80
	v_cmp_eq_u16_sdwa s[12:13], v13, s4 src0_sel:BYTE_0 src1_sel:DWORD
	s_mov_b64 s[4:5], -1
                                        ; implicit-def: $sgpr10
	s_and_saveexec_b64 s[8:9], s[12:13]
; %bb.4842:
	s_mov_b32 s10, 0x7f800001
	s_xor_b64 s[4:5], exec, -1
; %bb.4843:
	s_or_b64 exec, exec, s[8:9]
	s_and_b64 s[4:5], s[4:5], exec
	s_or_saveexec_b64 s[6:7], s[6:7]
	v_mov_b32_e32 v12, s10
	s_xor_b64 exec, exec, s[6:7]
	s_cbranch_execnz .LBB1_4844
; %bb.13027:
	s_getpc_b64 s[14:15]
.Lpost_getpc2417:
	s_add_u32 s14, s14, (.LBB1_746-.Lpost_getpc2417)&4294967295
	s_addc_u32 s15, s15, (.LBB1_746-.Lpost_getpc2417)>>32
	s_setpc_b64 s[14:15]
.LBB1_4844:
	v_mov_b32_e32 v12, 0
	v_cmp_ne_u16_sdwa s[8:9], v13, v12 src0_sel:BYTE_0 src1_sel:DWORD
	s_andn2_b64 s[4:5], s[4:5], exec
	s_and_b64 s[8:9], s[8:9], exec
	s_or_b64 s[4:5], s[4:5], s[8:9]
	s_or_b64 exec, exec, s[6:7]
	s_and_saveexec_b64 s[6:7], s[4:5]
	s_cbranch_execz .LBB1_8565
; %bb.13029:
	s_getpc_b64 s[14:15]
.Lpost_getpc2418:
	s_add_u32 s14, s14, (.LBB1_747-.Lpost_getpc2418)&4294967295
	s_addc_u32 s15, s15, (.LBB1_747-.Lpost_getpc2418)>>32
	s_setpc_b64 s[14:15]
.LBB1_8565:
	s_getpc_b64 s[14:15]
.Lpost_getpc186:
	s_add_u32 s14, s14, (.LBB1_748-.Lpost_getpc186)&4294967295
	s_addc_u32 s15, s15, (.LBB1_748-.Lpost_getpc186)>>32
	s_setpc_b64 s[14:15]
.LBB1_4845:
	s_movk_i32 s4, 0x80
	v_cmp_eq_u16_sdwa s[12:13], v13, s4 src0_sel:BYTE_0 src1_sel:DWORD
	s_mov_b64 s[4:5], -1
                                        ; implicit-def: $sgpr10
	s_and_saveexec_b64 s[8:9], s[12:13]
; %bb.4846:
	s_mov_b32 s10, 0x7f800001
	s_xor_b64 s[4:5], exec, -1
; %bb.4847:
	s_or_b64 exec, exec, s[8:9]
	s_and_b64 s[4:5], s[4:5], exec
	s_or_saveexec_b64 s[6:7], s[6:7]
	v_mov_b32_e32 v14, s10
	s_xor_b64 exec, exec, s[6:7]
	s_cbranch_execnz .LBB1_4848
; %bb.13031:
	s_getpc_b64 s[14:15]
.Lpost_getpc2419:
	s_add_u32 s14, s14, (.LBB1_750-.Lpost_getpc2419)&4294967295
	s_addc_u32 s15, s15, (.LBB1_750-.Lpost_getpc2419)>>32
	s_setpc_b64 s[14:15]
.LBB1_4848:
	v_mov_b32_e32 v14, 0
	v_cmp_ne_u16_sdwa s[8:9], v13, v14 src0_sel:BYTE_0 src1_sel:DWORD
	s_andn2_b64 s[4:5], s[4:5], exec
	s_and_b64 s[8:9], s[8:9], exec
	s_or_b64 s[4:5], s[4:5], s[8:9]
	s_or_b64 exec, exec, s[6:7]
	s_and_saveexec_b64 s[6:7], s[4:5]
	s_cbranch_execz .LBB1_8567
; %bb.13033:
	s_getpc_b64 s[14:15]
.Lpost_getpc2420:
	s_add_u32 s14, s14, (.LBB1_751-.Lpost_getpc2420)&4294967295
	s_addc_u32 s15, s15, (.LBB1_751-.Lpost_getpc2420)>>32
	s_setpc_b64 s[14:15]
.LBB1_8567:
	s_getpc_b64 s[14:15]
.Lpost_getpc187:
	s_add_u32 s14, s14, (.LBB1_752-.Lpost_getpc187)&4294967295
	s_addc_u32 s15, s15, (.LBB1_752-.Lpost_getpc187)>>32
	s_setpc_b64 s[14:15]
.LBB1_4849:
	s_movk_i32 s4, 0x80
	v_cmp_eq_u16_e32 vcc, s4, v13
	s_mov_b64 s[4:5], -1
                                        ; implicit-def: $sgpr10
	s_and_saveexec_b64 s[8:9], vcc
; %bb.4850:
	s_mov_b32 s10, 0x7f800001
	s_xor_b64 s[4:5], exec, -1
; %bb.4851:
	s_or_b64 exec, exec, s[8:9]
	s_and_b64 s[4:5], s[4:5], exec
                                        ; implicit-def: $vgpr13
	s_or_saveexec_b64 s[6:7], s[6:7]
	v_mov_b32_e32 v12, s10
	s_xor_b64 exec, exec, s[6:7]
	s_cbranch_execnz .LBB1_4852
; %bb.13035:
	s_getpc_b64 s[14:15]
.Lpost_getpc2421:
	s_add_u32 s14, s14, (.LBB1_754-.Lpost_getpc2421)&4294967295
	s_addc_u32 s15, s15, (.LBB1_754-.Lpost_getpc2421)>>32
	s_setpc_b64 s[14:15]
.LBB1_4852:
	v_cmp_ne_u16_e32 vcc, 0, v13
	s_andn2_b64 s[4:5], s[4:5], exec
	s_and_b64 s[8:9], vcc, exec
	v_mov_b32_e32 v12, 0
	s_or_b64 s[4:5], s[4:5], s[8:9]
	s_or_b64 exec, exec, s[6:7]
	s_and_saveexec_b64 s[6:7], s[4:5]
	s_cbranch_execz .LBB1_8569
; %bb.13037:
	s_getpc_b64 s[14:15]
.Lpost_getpc2422:
	s_add_u32 s14, s14, (.LBB1_755-.Lpost_getpc2422)&4294967295
	s_addc_u32 s15, s15, (.LBB1_755-.Lpost_getpc2422)>>32
	s_setpc_b64 s[14:15]
.LBB1_8569:
	s_getpc_b64 s[14:15]
.Lpost_getpc188:
	s_add_u32 s14, s14, (.LBB1_756-.Lpost_getpc188)&4294967295
	s_addc_u32 s15, s15, (.LBB1_756-.Lpost_getpc188)>>32
	s_setpc_b64 s[14:15]
.LBB1_4853:
	s_movk_i32 s4, 0x80
	v_cmp_eq_u16_e32 vcc, s4, v13
	s_mov_b64 s[4:5], -1
                                        ; implicit-def: $sgpr10
	s_and_saveexec_b64 s[8:9], vcc
; %bb.4854:
	s_mov_b32 s10, 0x7f800001
	s_xor_b64 s[4:5], exec, -1
; %bb.4855:
	s_or_b64 exec, exec, s[8:9]
	s_and_b64 s[4:5], s[4:5], exec
                                        ; implicit-def: $vgpr13
	s_or_saveexec_b64 s[6:7], s[6:7]
	v_mov_b32_e32 v14, s10
	s_xor_b64 exec, exec, s[6:7]
	s_cbranch_execnz .LBB1_4856
; %bb.13039:
	s_getpc_b64 s[14:15]
.Lpost_getpc2423:
	s_add_u32 s14, s14, (.LBB1_758-.Lpost_getpc2423)&4294967295
	s_addc_u32 s15, s15, (.LBB1_758-.Lpost_getpc2423)>>32
	s_setpc_b64 s[14:15]
.LBB1_4856:
	v_cmp_ne_u16_e32 vcc, 0, v13
	s_andn2_b64 s[4:5], s[4:5], exec
	s_and_b64 s[8:9], vcc, exec
	v_mov_b32_e32 v14, 0
	s_or_b64 s[4:5], s[4:5], s[8:9]
	s_or_b64 exec, exec, s[6:7]
	s_and_saveexec_b64 s[6:7], s[4:5]
	s_cbranch_execz .LBB1_8571
; %bb.13041:
	s_getpc_b64 s[14:15]
.Lpost_getpc2424:
	s_add_u32 s14, s14, (.LBB1_759-.Lpost_getpc2424)&4294967295
	s_addc_u32 s15, s15, (.LBB1_759-.Lpost_getpc2424)>>32
	s_setpc_b64 s[14:15]
.LBB1_8571:
	s_getpc_b64 s[14:15]
.Lpost_getpc189:
	s_add_u32 s14, s14, (.LBB1_760-.Lpost_getpc189)&4294967295
	s_addc_u32 s15, s15, (.LBB1_760-.Lpost_getpc189)>>32
	s_setpc_b64 s[14:15]
.LBB1_4857:
	s_movk_i32 s4, 0x80
	v_cmp_eq_u16_sdwa s[12:13], v19, s4 src0_sel:BYTE_3 src1_sel:DWORD
	s_mov_b64 s[4:5], -1
                                        ; implicit-def: $sgpr10
	s_and_saveexec_b64 s[8:9], s[12:13]
; %bb.4858:
	s_mov_b32 s10, 0x7f800001
	s_xor_b64 s[4:5], exec, -1
; %bb.4859:
	s_or_b64 exec, exec, s[8:9]
	s_and_b64 s[4:5], s[4:5], exec
	s_or_saveexec_b64 s[6:7], s[6:7]
	v_mov_b32_e32 v12, s10
	s_xor_b64 exec, exec, s[6:7]
	s_cbranch_execnz .LBB1_4860
; %bb.13043:
	s_getpc_b64 s[14:15]
.Lpost_getpc2425:
	s_add_u32 s14, s14, (.LBB1_762-.Lpost_getpc2425)&4294967295
	s_addc_u32 s15, s15, (.LBB1_762-.Lpost_getpc2425)>>32
	s_setpc_b64 s[14:15]
.LBB1_4860:
	v_mov_b32_e32 v12, 0
	v_cmp_ne_u16_sdwa s[8:9], v19, v12 src0_sel:BYTE_3 src1_sel:DWORD
	s_andn2_b64 s[4:5], s[4:5], exec
	s_and_b64 s[8:9], s[8:9], exec
	s_or_b64 s[4:5], s[4:5], s[8:9]
	s_or_b64 exec, exec, s[6:7]
	s_and_saveexec_b64 s[6:7], s[4:5]
	s_cbranch_execz .LBB1_8573
; %bb.13045:
	s_getpc_b64 s[14:15]
.Lpost_getpc2426:
	s_add_u32 s14, s14, (.LBB1_763-.Lpost_getpc2426)&4294967295
	s_addc_u32 s15, s15, (.LBB1_763-.Lpost_getpc2426)>>32
	s_setpc_b64 s[14:15]
.LBB1_8573:
	s_getpc_b64 s[14:15]
.Lpost_getpc190:
	s_add_u32 s14, s14, (.LBB1_764-.Lpost_getpc190)&4294967295
	s_addc_u32 s15, s15, (.LBB1_764-.Lpost_getpc190)>>32
	s_setpc_b64 s[14:15]
.LBB1_4861:
	s_movk_i32 s4, 0x80
	v_cmp_eq_u16_sdwa s[12:13], v15, s4 src0_sel:BYTE_3 src1_sel:DWORD
	s_mov_b64 s[4:5], -1
                                        ; implicit-def: $sgpr10
	s_and_saveexec_b64 s[8:9], s[12:13]
; %bb.4862:
	s_mov_b32 s10, 0x7f800001
	s_xor_b64 s[4:5], exec, -1
; %bb.4863:
	s_or_b64 exec, exec, s[8:9]
	s_and_b64 s[4:5], s[4:5], exec
	s_or_saveexec_b64 s[6:7], s[6:7]
	v_mov_b32_e32 v13, s10
	s_xor_b64 exec, exec, s[6:7]
	s_cbranch_execnz .LBB1_4864
; %bb.13047:
	s_getpc_b64 s[14:15]
.Lpost_getpc2427:
	s_add_u32 s14, s14, (.LBB1_766-.Lpost_getpc2427)&4294967295
	s_addc_u32 s15, s15, (.LBB1_766-.Lpost_getpc2427)>>32
	s_setpc_b64 s[14:15]
.LBB1_4864:
	v_mov_b32_e32 v13, 0
	v_cmp_ne_u16_sdwa s[8:9], v15, v13 src0_sel:BYTE_3 src1_sel:DWORD
	s_andn2_b64 s[4:5], s[4:5], exec
	s_and_b64 s[8:9], s[8:9], exec
	s_or_b64 s[4:5], s[4:5], s[8:9]
	s_or_b64 exec, exec, s[6:7]
	s_and_saveexec_b64 s[6:7], s[4:5]
	s_cbranch_execz .LBB1_8575
; %bb.13049:
	s_getpc_b64 s[14:15]
.Lpost_getpc2428:
	s_add_u32 s14, s14, (.LBB1_767-.Lpost_getpc2428)&4294967295
	s_addc_u32 s15, s15, (.LBB1_767-.Lpost_getpc2428)>>32
	s_setpc_b64 s[14:15]
.LBB1_8575:
	s_getpc_b64 s[14:15]
.Lpost_getpc191:
	s_add_u32 s14, s14, (.LBB1_768-.Lpost_getpc191)&4294967295
	s_addc_u32 s15, s15, (.LBB1_768-.Lpost_getpc191)>>32
	s_setpc_b64 s[14:15]
.LBB1_4865:
	s_movk_i32 s4, 0x80
	v_cmp_eq_u16_sdwa s[12:13], v16, s4 src0_sel:BYTE_0 src1_sel:DWORD
	s_mov_b64 s[4:5], -1
                                        ; implicit-def: $sgpr10
	s_and_saveexec_b64 s[8:9], s[12:13]
; %bb.4866:
	s_mov_b32 s10, 0x7f800001
	s_xor_b64 s[4:5], exec, -1
; %bb.4867:
	s_or_b64 exec, exec, s[8:9]
	s_and_b64 s[4:5], s[4:5], exec
	s_or_saveexec_b64 s[6:7], s[6:7]
	v_mov_b32_e32 v21, s10
	s_xor_b64 exec, exec, s[6:7]
	s_cbranch_execnz .LBB1_4868
; %bb.13051:
	s_getpc_b64 s[14:15]
.Lpost_getpc2429:
	s_add_u32 s14, s14, (.LBB1_770-.Lpost_getpc2429)&4294967295
	s_addc_u32 s15, s15, (.LBB1_770-.Lpost_getpc2429)>>32
	s_setpc_b64 s[14:15]
.LBB1_4868:
	v_mov_b32_e32 v21, 0
	v_cmp_ne_u16_sdwa s[8:9], v16, v21 src0_sel:BYTE_0 src1_sel:DWORD
	s_andn2_b64 s[4:5], s[4:5], exec
	s_and_b64 s[8:9], s[8:9], exec
	s_or_b64 s[4:5], s[4:5], s[8:9]
	s_or_b64 exec, exec, s[6:7]
	s_and_saveexec_b64 s[6:7], s[4:5]
	s_cbranch_execz .LBB1_8577
; %bb.13053:
	s_getpc_b64 s[14:15]
.Lpost_getpc2430:
	s_add_u32 s14, s14, (.LBB1_771-.Lpost_getpc2430)&4294967295
	s_addc_u32 s15, s15, (.LBB1_771-.Lpost_getpc2430)>>32
	s_setpc_b64 s[14:15]
.LBB1_8577:
	s_getpc_b64 s[14:15]
.Lpost_getpc192:
	s_add_u32 s14, s14, (.LBB1_772-.Lpost_getpc192)&4294967295
	s_addc_u32 s15, s15, (.LBB1_772-.Lpost_getpc192)>>32
	s_setpc_b64 s[14:15]
.LBB1_4869:
	s_movk_i32 s4, 0x80
	v_cmp_eq_u16_sdwa s[12:13], v12, s4 src0_sel:BYTE_0 src1_sel:DWORD
	s_mov_b64 s[4:5], -1
                                        ; implicit-def: $sgpr10
	s_and_saveexec_b64 s[8:9], s[12:13]
; %bb.4870:
	s_mov_b32 s10, 0x7f800001
	s_xor_b64 s[4:5], exec, -1
; %bb.4871:
	s_or_b64 exec, exec, s[8:9]
	s_and_b64 s[4:5], s[4:5], exec
	s_or_saveexec_b64 s[6:7], s[6:7]
	v_mov_b32_e32 v22, s10
	s_xor_b64 exec, exec, s[6:7]
	s_cbranch_execnz .LBB1_4872
; %bb.13055:
	s_getpc_b64 s[14:15]
.Lpost_getpc2431:
	s_add_u32 s14, s14, (.LBB1_774-.Lpost_getpc2431)&4294967295
	s_addc_u32 s15, s15, (.LBB1_774-.Lpost_getpc2431)>>32
	s_setpc_b64 s[14:15]
.LBB1_4872:
	v_mov_b32_e32 v22, 0
	v_cmp_ne_u16_sdwa s[8:9], v12, v22 src0_sel:BYTE_0 src1_sel:DWORD
	s_andn2_b64 s[4:5], s[4:5], exec
	s_and_b64 s[8:9], s[8:9], exec
	s_or_b64 s[4:5], s[4:5], s[8:9]
	s_or_b64 exec, exec, s[6:7]
	s_and_saveexec_b64 s[6:7], s[4:5]
	s_cbranch_execz .LBB1_8579
; %bb.13057:
	s_getpc_b64 s[14:15]
.Lpost_getpc2432:
	s_add_u32 s14, s14, (.LBB1_775-.Lpost_getpc2432)&4294967295
	s_addc_u32 s15, s15, (.LBB1_775-.Lpost_getpc2432)>>32
	s_setpc_b64 s[14:15]
.LBB1_8579:
	s_getpc_b64 s[14:15]
.Lpost_getpc193:
	s_add_u32 s14, s14, (.LBB1_776-.Lpost_getpc193)&4294967295
	s_addc_u32 s15, s15, (.LBB1_776-.Lpost_getpc193)>>32
	s_setpc_b64 s[14:15]
.LBB1_4873:
	s_movk_i32 s4, 0x80
	v_cmp_eq_u16_sdwa s[12:13], v22, s4 src0_sel:BYTE_0 src1_sel:DWORD
	s_mov_b64 s[4:5], -1
                                        ; implicit-def: $sgpr10
	s_and_saveexec_b64 s[8:9], s[12:13]
; %bb.4874:
	s_mov_b32 s10, 0x7f800001
	s_xor_b64 s[4:5], exec, -1
; %bb.4875:
	s_or_b64 exec, exec, s[8:9]
	s_and_b64 s[4:5], s[4:5], exec
	s_or_saveexec_b64 s[6:7], s[6:7]
	v_mov_b32_e32 v21, s10
	s_xor_b64 exec, exec, s[6:7]
	s_cbranch_execnz .LBB1_4876
; %bb.13059:
	s_getpc_b64 s[14:15]
.Lpost_getpc2433:
	s_add_u32 s14, s14, (.LBB1_778-.Lpost_getpc2433)&4294967295
	s_addc_u32 s15, s15, (.LBB1_778-.Lpost_getpc2433)>>32
	s_setpc_b64 s[14:15]
.LBB1_4876:
	v_mov_b32_e32 v21, 0
	v_cmp_ne_u16_sdwa s[8:9], v22, v21 src0_sel:BYTE_0 src1_sel:DWORD
	s_andn2_b64 s[4:5], s[4:5], exec
	s_and_b64 s[8:9], s[8:9], exec
	s_or_b64 s[4:5], s[4:5], s[8:9]
	s_or_b64 exec, exec, s[6:7]
	s_and_saveexec_b64 s[6:7], s[4:5]
	s_cbranch_execz .LBB1_8581
; %bb.13061:
	s_getpc_b64 s[14:15]
.Lpost_getpc2434:
	s_add_u32 s14, s14, (.LBB1_779-.Lpost_getpc2434)&4294967295
	s_addc_u32 s15, s15, (.LBB1_779-.Lpost_getpc2434)>>32
	s_setpc_b64 s[14:15]
.LBB1_8581:
	s_getpc_b64 s[14:15]
.Lpost_getpc194:
	s_add_u32 s14, s14, (.LBB1_780-.Lpost_getpc194)&4294967295
	s_addc_u32 s15, s15, (.LBB1_780-.Lpost_getpc194)>>32
	s_setpc_b64 s[14:15]
.LBB1_4877:
	s_movk_i32 s4, 0x80
	v_cmp_eq_u16_sdwa s[12:13], v22, s4 src0_sel:BYTE_0 src1_sel:DWORD
	s_mov_b64 s[4:5], -1
                                        ; implicit-def: $sgpr10
	s_and_saveexec_b64 s[8:9], s[12:13]
; %bb.4878:
	s_mov_b32 s10, 0x7f800001
	s_xor_b64 s[4:5], exec, -1
; %bb.4879:
	s_or_b64 exec, exec, s[8:9]
	s_and_b64 s[4:5], s[4:5], exec
	s_or_saveexec_b64 s[6:7], s[6:7]
	v_mov_b32_e32 v23, s10
	s_xor_b64 exec, exec, s[6:7]
	s_cbranch_execnz .LBB1_4880
; %bb.13063:
	s_getpc_b64 s[14:15]
.Lpost_getpc2435:
	s_add_u32 s14, s14, (.LBB1_782-.Lpost_getpc2435)&4294967295
	s_addc_u32 s15, s15, (.LBB1_782-.Lpost_getpc2435)>>32
	s_setpc_b64 s[14:15]
.LBB1_4880:
	v_mov_b32_e32 v23, 0
	v_cmp_ne_u16_sdwa s[8:9], v22, v23 src0_sel:BYTE_0 src1_sel:DWORD
	s_andn2_b64 s[4:5], s[4:5], exec
	s_and_b64 s[8:9], s[8:9], exec
	s_or_b64 s[4:5], s[4:5], s[8:9]
	s_or_b64 exec, exec, s[6:7]
	s_and_saveexec_b64 s[6:7], s[4:5]
	s_cbranch_execz .LBB1_8583
; %bb.13065:
	s_getpc_b64 s[14:15]
.Lpost_getpc2436:
	s_add_u32 s14, s14, (.LBB1_783-.Lpost_getpc2436)&4294967295
	s_addc_u32 s15, s15, (.LBB1_783-.Lpost_getpc2436)>>32
	s_setpc_b64 s[14:15]
.LBB1_8583:
	s_getpc_b64 s[14:15]
.Lpost_getpc195:
	s_add_u32 s14, s14, (.LBB1_784-.Lpost_getpc195)&4294967295
	s_addc_u32 s15, s15, (.LBB1_784-.Lpost_getpc195)>>32
	s_setpc_b64 s[14:15]
.LBB1_4881:
	s_movk_i32 s4, 0x80
	v_cmp_eq_u16_e32 vcc, s4, v22
	s_mov_b64 s[4:5], -1
                                        ; implicit-def: $sgpr10
	s_and_saveexec_b64 s[8:9], vcc
; %bb.4882:
	s_mov_b32 s10, 0x7f800001
	s_xor_b64 s[4:5], exec, -1
; %bb.4883:
	s_or_b64 exec, exec, s[8:9]
	s_and_b64 s[4:5], s[4:5], exec
                                        ; implicit-def: $vgpr22
	s_or_saveexec_b64 s[6:7], s[6:7]
	v_mov_b32_e32 v21, s10
	s_xor_b64 exec, exec, s[6:7]
	s_cbranch_execnz .LBB1_4884
; %bb.13067:
	s_getpc_b64 s[14:15]
.Lpost_getpc2437:
	s_add_u32 s14, s14, (.LBB1_786-.Lpost_getpc2437)&4294967295
	s_addc_u32 s15, s15, (.LBB1_786-.Lpost_getpc2437)>>32
	s_setpc_b64 s[14:15]
.LBB1_4884:
	v_cmp_ne_u16_e32 vcc, 0, v22
	s_andn2_b64 s[4:5], s[4:5], exec
	s_and_b64 s[8:9], vcc, exec
	v_mov_b32_e32 v21, 0
	s_or_b64 s[4:5], s[4:5], s[8:9]
	s_or_b64 exec, exec, s[6:7]
	s_and_saveexec_b64 s[6:7], s[4:5]
	s_cbranch_execz .LBB1_8585
; %bb.13069:
	s_getpc_b64 s[14:15]
.Lpost_getpc2438:
	s_add_u32 s14, s14, (.LBB1_787-.Lpost_getpc2438)&4294967295
	s_addc_u32 s15, s15, (.LBB1_787-.Lpost_getpc2438)>>32
	s_setpc_b64 s[14:15]
.LBB1_8585:
	s_getpc_b64 s[14:15]
.Lpost_getpc196:
	s_add_u32 s14, s14, (.LBB1_788-.Lpost_getpc196)&4294967295
	s_addc_u32 s15, s15, (.LBB1_788-.Lpost_getpc196)>>32
	s_setpc_b64 s[14:15]
.LBB1_4885:
	s_movk_i32 s4, 0x80
	v_cmp_eq_u16_e32 vcc, s4, v22
	s_mov_b64 s[4:5], -1
                                        ; implicit-def: $sgpr10
	s_and_saveexec_b64 s[8:9], vcc
; %bb.4886:
	s_mov_b32 s10, 0x7f800001
	s_xor_b64 s[4:5], exec, -1
; %bb.4887:
	s_or_b64 exec, exec, s[8:9]
	s_and_b64 s[4:5], s[4:5], exec
                                        ; implicit-def: $vgpr22
	s_or_saveexec_b64 s[6:7], s[6:7]
	v_mov_b32_e32 v23, s10
	s_xor_b64 exec, exec, s[6:7]
	s_cbranch_execnz .LBB1_4888
; %bb.13071:
	s_getpc_b64 s[14:15]
.Lpost_getpc2439:
	s_add_u32 s14, s14, (.LBB1_790-.Lpost_getpc2439)&4294967295
	s_addc_u32 s15, s15, (.LBB1_790-.Lpost_getpc2439)>>32
	s_setpc_b64 s[14:15]
.LBB1_4888:
	v_cmp_ne_u16_e32 vcc, 0, v22
	s_andn2_b64 s[4:5], s[4:5], exec
	s_and_b64 s[8:9], vcc, exec
	v_mov_b32_e32 v23, 0
	s_or_b64 s[4:5], s[4:5], s[8:9]
	s_or_b64 exec, exec, s[6:7]
	s_and_saveexec_b64 s[6:7], s[4:5]
	s_cbranch_execz .LBB1_8587
; %bb.13073:
	s_getpc_b64 s[14:15]
.Lpost_getpc2440:
	s_add_u32 s14, s14, (.LBB1_791-.Lpost_getpc2440)&4294967295
	s_addc_u32 s15, s15, (.LBB1_791-.Lpost_getpc2440)>>32
	s_setpc_b64 s[14:15]
.LBB1_8587:
	s_getpc_b64 s[14:15]
.Lpost_getpc197:
	s_add_u32 s14, s14, (.LBB1_792-.Lpost_getpc197)&4294967295
	s_addc_u32 s15, s15, (.LBB1_792-.Lpost_getpc197)>>32
	s_setpc_b64 s[14:15]
.LBB1_4889:
	s_movk_i32 s4, 0x80
	v_cmp_eq_u16_sdwa s[12:13], v16, s4 src0_sel:BYTE_3 src1_sel:DWORD
	s_mov_b64 s[4:5], -1
                                        ; implicit-def: $sgpr10
	s_and_saveexec_b64 s[8:9], s[12:13]
; %bb.4890:
	s_mov_b32 s10, 0x7f800001
	s_xor_b64 s[4:5], exec, -1
; %bb.4891:
	s_or_b64 exec, exec, s[8:9]
	s_and_b64 s[4:5], s[4:5], exec
	s_or_saveexec_b64 s[6:7], s[6:7]
	v_mov_b32_e32 v21, s10
	s_xor_b64 exec, exec, s[6:7]
	s_cbranch_execnz .LBB1_4892
; %bb.13075:
	s_getpc_b64 s[14:15]
.Lpost_getpc2441:
	s_add_u32 s14, s14, (.LBB1_794-.Lpost_getpc2441)&4294967295
	s_addc_u32 s15, s15, (.LBB1_794-.Lpost_getpc2441)>>32
	s_setpc_b64 s[14:15]
.LBB1_4892:
	v_mov_b32_e32 v21, 0
	v_cmp_ne_u16_sdwa s[8:9], v16, v21 src0_sel:BYTE_3 src1_sel:DWORD
	s_andn2_b64 s[4:5], s[4:5], exec
	s_and_b64 s[8:9], s[8:9], exec
	s_or_b64 s[4:5], s[4:5], s[8:9]
	s_or_b64 exec, exec, s[6:7]
	s_and_saveexec_b64 s[6:7], s[4:5]
	s_cbranch_execz .LBB1_8589
; %bb.13077:
	s_getpc_b64 s[14:15]
.Lpost_getpc2442:
	s_add_u32 s14, s14, (.LBB1_795-.Lpost_getpc2442)&4294967295
	s_addc_u32 s15, s15, (.LBB1_795-.Lpost_getpc2442)>>32
	s_setpc_b64 s[14:15]
.LBB1_8589:
	s_getpc_b64 s[14:15]
.Lpost_getpc198:
	s_add_u32 s14, s14, (.LBB1_796-.Lpost_getpc198)&4294967295
	s_addc_u32 s15, s15, (.LBB1_796-.Lpost_getpc198)>>32
	s_setpc_b64 s[14:15]
.LBB1_4893:
	s_movk_i32 s4, 0x80
	v_cmp_eq_u16_sdwa s[12:13], v12, s4 src0_sel:BYTE_3 src1_sel:DWORD
	s_mov_b64 s[4:5], -1
                                        ; implicit-def: $sgpr10
	s_and_saveexec_b64 s[8:9], s[12:13]
; %bb.4894:
	s_mov_b32 s10, 0x7f800001
	s_xor_b64 s[4:5], exec, -1
; %bb.4895:
	s_or_b64 exec, exec, s[8:9]
	s_and_b64 s[4:5], s[4:5], exec
	s_or_saveexec_b64 s[6:7], s[6:7]
	v_mov_b32_e32 v16, s10
	s_xor_b64 exec, exec, s[6:7]
	s_cbranch_execnz .LBB1_4896
; %bb.13079:
	s_getpc_b64 s[14:15]
.Lpost_getpc2443:
	s_add_u32 s14, s14, (.LBB1_798-.Lpost_getpc2443)&4294967295
	s_addc_u32 s15, s15, (.LBB1_798-.Lpost_getpc2443)>>32
	s_setpc_b64 s[14:15]
.LBB1_4896:
	v_mov_b32_e32 v16, 0
	v_cmp_ne_u16_sdwa s[8:9], v12, v16 src0_sel:BYTE_3 src1_sel:DWORD
	s_andn2_b64 s[4:5], s[4:5], exec
	s_and_b64 s[8:9], s[8:9], exec
	s_or_b64 s[4:5], s[4:5], s[8:9]
	s_or_b64 exec, exec, s[6:7]
	s_and_saveexec_b64 s[6:7], s[4:5]
	s_cbranch_execz .LBB1_8591
; %bb.13081:
	s_getpc_b64 s[14:15]
.Lpost_getpc2444:
	s_add_u32 s14, s14, (.LBB1_799-.Lpost_getpc2444)&4294967295
	s_addc_u32 s15, s15, (.LBB1_799-.Lpost_getpc2444)>>32
	s_setpc_b64 s[14:15]
.LBB1_8591:
	s_getpc_b64 s[14:15]
.Lpost_getpc199:
	s_add_u32 s14, s14, (.LBB1_800-.Lpost_getpc199)&4294967295
	s_addc_u32 s15, s15, (.LBB1_800-.Lpost_getpc199)>>32
	s_setpc_b64 s[14:15]
.LBB1_4897:
	s_movk_i32 s4, 0x80
	v_cmp_eq_u16_sdwa s[12:13], v17, s4 src0_sel:BYTE_0 src1_sel:DWORD
	s_mov_b64 s[4:5], -1
                                        ; implicit-def: $sgpr10
	s_and_saveexec_b64 s[8:9], s[12:13]
; %bb.4898:
	s_mov_b32 s10, 0x7f800001
	s_xor_b64 s[4:5], exec, -1
; %bb.4899:
	s_or_b64 exec, exec, s[8:9]
	s_and_b64 s[4:5], s[4:5], exec
	s_or_saveexec_b64 s[6:7], s[6:7]
	v_mov_b32_e32 v12, s10
	s_xor_b64 exec, exec, s[6:7]
	s_cbranch_execnz .LBB1_4900
; %bb.13083:
	s_getpc_b64 s[14:15]
.Lpost_getpc2445:
	s_add_u32 s14, s14, (.LBB1_802-.Lpost_getpc2445)&4294967295
	s_addc_u32 s15, s15, (.LBB1_802-.Lpost_getpc2445)>>32
	s_setpc_b64 s[14:15]
.LBB1_4900:
	v_mov_b32_e32 v12, 0
	v_cmp_ne_u16_sdwa s[8:9], v17, v12 src0_sel:BYTE_0 src1_sel:DWORD
	s_andn2_b64 s[4:5], s[4:5], exec
	s_and_b64 s[8:9], s[8:9], exec
	s_or_b64 s[4:5], s[4:5], s[8:9]
	s_or_b64 exec, exec, s[6:7]
	s_and_saveexec_b64 s[6:7], s[4:5]
	s_cbranch_execz .LBB1_8593
; %bb.13085:
	s_getpc_b64 s[14:15]
.Lpost_getpc2446:
	s_add_u32 s14, s14, (.LBB1_803-.Lpost_getpc2446)&4294967295
	s_addc_u32 s15, s15, (.LBB1_803-.Lpost_getpc2446)>>32
	s_setpc_b64 s[14:15]
.LBB1_8593:
	s_getpc_b64 s[14:15]
.Lpost_getpc200:
	s_add_u32 s14, s14, (.LBB1_804-.Lpost_getpc200)&4294967295
	s_addc_u32 s15, s15, (.LBB1_804-.Lpost_getpc200)>>32
	s_setpc_b64 s[14:15]
.LBB1_4901:
	s_movk_i32 s4, 0x80
	v_cmp_eq_u16_sdwa s[12:13], v13, s4 src0_sel:BYTE_0 src1_sel:DWORD
	s_mov_b64 s[4:5], -1
                                        ; implicit-def: $sgpr10
	s_and_saveexec_b64 s[8:9], s[12:13]
; %bb.4902:
	s_mov_b32 s10, 0x7f800001
	s_xor_b64 s[4:5], exec, -1
; %bb.4903:
	s_or_b64 exec, exec, s[8:9]
	s_and_b64 s[4:5], s[4:5], exec
	s_or_saveexec_b64 s[6:7], s[6:7]
	v_mov_b32_e32 v16, s10
	s_xor_b64 exec, exec, s[6:7]
	s_cbranch_execnz .LBB1_4904
; %bb.13087:
	s_getpc_b64 s[14:15]
.Lpost_getpc2447:
	s_add_u32 s14, s14, (.LBB1_806-.Lpost_getpc2447)&4294967295
	s_addc_u32 s15, s15, (.LBB1_806-.Lpost_getpc2447)>>32
	s_setpc_b64 s[14:15]
.LBB1_4904:
	v_mov_b32_e32 v16, 0
	v_cmp_ne_u16_sdwa s[8:9], v13, v16 src0_sel:BYTE_0 src1_sel:DWORD
	s_andn2_b64 s[4:5], s[4:5], exec
	s_and_b64 s[8:9], s[8:9], exec
	s_or_b64 s[4:5], s[4:5], s[8:9]
	s_or_b64 exec, exec, s[6:7]
	s_and_saveexec_b64 s[6:7], s[4:5]
	s_cbranch_execz .LBB1_8595
; %bb.13089:
	s_getpc_b64 s[14:15]
.Lpost_getpc2448:
	s_add_u32 s14, s14, (.LBB1_807-.Lpost_getpc2448)&4294967295
	s_addc_u32 s15, s15, (.LBB1_807-.Lpost_getpc2448)>>32
	s_setpc_b64 s[14:15]
.LBB1_8595:
	s_getpc_b64 s[14:15]
.Lpost_getpc201:
	s_add_u32 s14, s14, (.LBB1_808-.Lpost_getpc201)&4294967295
	s_addc_u32 s15, s15, (.LBB1_808-.Lpost_getpc201)>>32
	s_setpc_b64 s[14:15]
.LBB1_4905:
	s_movk_i32 s4, 0x80
	v_cmp_eq_u16_sdwa s[12:13], v16, s4 src0_sel:BYTE_0 src1_sel:DWORD
	s_mov_b64 s[4:5], -1
                                        ; implicit-def: $sgpr10
	s_and_saveexec_b64 s[8:9], s[12:13]
; %bb.4906:
	s_mov_b32 s10, 0x7f800001
	s_xor_b64 s[4:5], exec, -1
; %bb.4907:
	s_or_b64 exec, exec, s[8:9]
	s_and_b64 s[4:5], s[4:5], exec
	s_or_saveexec_b64 s[6:7], s[6:7]
	v_mov_b32_e32 v12, s10
	s_xor_b64 exec, exec, s[6:7]
	s_cbranch_execnz .LBB1_4908
; %bb.13091:
	s_getpc_b64 s[14:15]
.Lpost_getpc2449:
	s_add_u32 s14, s14, (.LBB1_810-.Lpost_getpc2449)&4294967295
	s_addc_u32 s15, s15, (.LBB1_810-.Lpost_getpc2449)>>32
	s_setpc_b64 s[14:15]
.LBB1_4908:
	v_mov_b32_e32 v12, 0
	v_cmp_ne_u16_sdwa s[8:9], v16, v12 src0_sel:BYTE_0 src1_sel:DWORD
	s_andn2_b64 s[4:5], s[4:5], exec
	s_and_b64 s[8:9], s[8:9], exec
	s_or_b64 s[4:5], s[4:5], s[8:9]
	s_or_b64 exec, exec, s[6:7]
	s_and_saveexec_b64 s[6:7], s[4:5]
	s_cbranch_execz .LBB1_8597
; %bb.13093:
	s_getpc_b64 s[14:15]
.Lpost_getpc2450:
	s_add_u32 s14, s14, (.LBB1_811-.Lpost_getpc2450)&4294967295
	s_addc_u32 s15, s15, (.LBB1_811-.Lpost_getpc2450)>>32
	s_setpc_b64 s[14:15]
.LBB1_8597:
	s_getpc_b64 s[14:15]
.Lpost_getpc202:
	s_add_u32 s14, s14, (.LBB1_812-.Lpost_getpc202)&4294967295
	s_addc_u32 s15, s15, (.LBB1_812-.Lpost_getpc202)>>32
	s_setpc_b64 s[14:15]
.LBB1_4909:
	s_movk_i32 s4, 0x80
	v_cmp_eq_u16_sdwa s[12:13], v16, s4 src0_sel:BYTE_0 src1_sel:DWORD
	s_mov_b64 s[4:5], -1
                                        ; implicit-def: $sgpr10
	s_and_saveexec_b64 s[8:9], s[12:13]
; %bb.4910:
	s_mov_b32 s10, 0x7f800001
	s_xor_b64 s[4:5], exec, -1
; %bb.4911:
	s_or_b64 exec, exec, s[8:9]
	s_and_b64 s[4:5], s[4:5], exec
	s_or_saveexec_b64 s[6:7], s[6:7]
	v_mov_b32_e32 v21, s10
	s_xor_b64 exec, exec, s[6:7]
	s_cbranch_execnz .LBB1_4912
; %bb.13095:
	s_getpc_b64 s[14:15]
.Lpost_getpc2451:
	s_add_u32 s14, s14, (.LBB1_814-.Lpost_getpc2451)&4294967295
	s_addc_u32 s15, s15, (.LBB1_814-.Lpost_getpc2451)>>32
	s_setpc_b64 s[14:15]
.LBB1_4912:
	v_mov_b32_e32 v21, 0
	v_cmp_ne_u16_sdwa s[8:9], v16, v21 src0_sel:BYTE_0 src1_sel:DWORD
	s_andn2_b64 s[4:5], s[4:5], exec
	s_and_b64 s[8:9], s[8:9], exec
	s_or_b64 s[4:5], s[4:5], s[8:9]
	s_or_b64 exec, exec, s[6:7]
	s_and_saveexec_b64 s[6:7], s[4:5]
	s_cbranch_execz .LBB1_8599
; %bb.13097:
	s_getpc_b64 s[14:15]
.Lpost_getpc2452:
	s_add_u32 s14, s14, (.LBB1_815-.Lpost_getpc2452)&4294967295
	s_addc_u32 s15, s15, (.LBB1_815-.Lpost_getpc2452)>>32
	s_setpc_b64 s[14:15]
.LBB1_8599:
	s_getpc_b64 s[14:15]
.Lpost_getpc203:
	s_add_u32 s14, s14, (.LBB1_816-.Lpost_getpc203)&4294967295
	s_addc_u32 s15, s15, (.LBB1_816-.Lpost_getpc203)>>32
	s_setpc_b64 s[14:15]
.LBB1_4913:
	s_movk_i32 s4, 0x80
	v_cmp_eq_u16_e32 vcc, s4, v16
	s_mov_b64 s[4:5], -1
                                        ; implicit-def: $sgpr10
	s_and_saveexec_b64 s[8:9], vcc
; %bb.4914:
	s_mov_b32 s10, 0x7f800001
	s_xor_b64 s[4:5], exec, -1
; %bb.4915:
	s_or_b64 exec, exec, s[8:9]
	s_and_b64 s[4:5], s[4:5], exec
                                        ; implicit-def: $vgpr16
	s_or_saveexec_b64 s[6:7], s[6:7]
	v_mov_b32_e32 v12, s10
	s_xor_b64 exec, exec, s[6:7]
	s_cbranch_execnz .LBB1_4916
; %bb.13099:
	s_getpc_b64 s[14:15]
.Lpost_getpc2453:
	s_add_u32 s14, s14, (.LBB1_818-.Lpost_getpc2453)&4294967295
	s_addc_u32 s15, s15, (.LBB1_818-.Lpost_getpc2453)>>32
	s_setpc_b64 s[14:15]
.LBB1_4916:
	v_cmp_ne_u16_e32 vcc, 0, v16
	s_andn2_b64 s[4:5], s[4:5], exec
	s_and_b64 s[8:9], vcc, exec
	v_mov_b32_e32 v12, 0
	s_or_b64 s[4:5], s[4:5], s[8:9]
	s_or_b64 exec, exec, s[6:7]
	s_and_saveexec_b64 s[6:7], s[4:5]
	s_cbranch_execz .LBB1_8601
; %bb.13101:
	s_getpc_b64 s[14:15]
.Lpost_getpc2454:
	s_add_u32 s14, s14, (.LBB1_819-.Lpost_getpc2454)&4294967295
	s_addc_u32 s15, s15, (.LBB1_819-.Lpost_getpc2454)>>32
	s_setpc_b64 s[14:15]
.LBB1_8601:
	s_getpc_b64 s[14:15]
.Lpost_getpc204:
	s_add_u32 s14, s14, (.LBB1_820-.Lpost_getpc204)&4294967295
	s_addc_u32 s15, s15, (.LBB1_820-.Lpost_getpc204)>>32
	s_setpc_b64 s[14:15]
.LBB1_4917:
	s_movk_i32 s4, 0x80
	v_cmp_eq_u16_e32 vcc, s4, v16
	s_mov_b64 s[4:5], -1
                                        ; implicit-def: $sgpr10
	s_and_saveexec_b64 s[8:9], vcc
; %bb.4918:
	s_mov_b32 s10, 0x7f800001
	s_xor_b64 s[4:5], exec, -1
; %bb.4919:
	s_or_b64 exec, exec, s[8:9]
	s_and_b64 s[4:5], s[4:5], exec
                                        ; implicit-def: $vgpr16
	s_or_saveexec_b64 s[6:7], s[6:7]
	v_mov_b32_e32 v21, s10
	s_xor_b64 exec, exec, s[6:7]
	s_cbranch_execnz .LBB1_4920
; %bb.13103:
	s_getpc_b64 s[14:15]
.Lpost_getpc2455:
	s_add_u32 s14, s14, (.LBB1_822-.Lpost_getpc2455)&4294967295
	s_addc_u32 s15, s15, (.LBB1_822-.Lpost_getpc2455)>>32
	s_setpc_b64 s[14:15]
.LBB1_4920:
	v_cmp_ne_u16_e32 vcc, 0, v16
	s_andn2_b64 s[4:5], s[4:5], exec
	s_and_b64 s[8:9], vcc, exec
	v_mov_b32_e32 v21, 0
	s_or_b64 s[4:5], s[4:5], s[8:9]
	s_or_b64 exec, exec, s[6:7]
	s_and_saveexec_b64 s[6:7], s[4:5]
	s_cbranch_execz .LBB1_8603
; %bb.13105:
	s_getpc_b64 s[14:15]
.Lpost_getpc2456:
	s_add_u32 s14, s14, (.LBB1_823-.Lpost_getpc2456)&4294967295
	s_addc_u32 s15, s15, (.LBB1_823-.Lpost_getpc2456)>>32
	s_setpc_b64 s[14:15]
.LBB1_8603:
	s_getpc_b64 s[14:15]
.Lpost_getpc205:
	s_add_u32 s14, s14, (.LBB1_824-.Lpost_getpc205)&4294967295
	s_addc_u32 s15, s15, (.LBB1_824-.Lpost_getpc205)>>32
	s_setpc_b64 s[14:15]
.LBB1_4921:
	s_movk_i32 s4, 0x80
	v_cmp_eq_u16_sdwa s[12:13], v17, s4 src0_sel:BYTE_3 src1_sel:DWORD
	s_mov_b64 s[4:5], -1
                                        ; implicit-def: $sgpr10
	s_and_saveexec_b64 s[8:9], s[12:13]
; %bb.4922:
	s_mov_b32 s10, 0x7f800001
	s_xor_b64 s[4:5], exec, -1
; %bb.4923:
	s_or_b64 exec, exec, s[8:9]
	s_and_b64 s[4:5], s[4:5], exec
	s_or_saveexec_b64 s[6:7], s[6:7]
	v_mov_b32_e32 v12, s10
	s_xor_b64 exec, exec, s[6:7]
	s_cbranch_execnz .LBB1_4924
; %bb.13107:
	s_getpc_b64 s[14:15]
.Lpost_getpc2457:
	s_add_u32 s14, s14, (.LBB1_826-.Lpost_getpc2457)&4294967295
	s_addc_u32 s15, s15, (.LBB1_826-.Lpost_getpc2457)>>32
	s_setpc_b64 s[14:15]
.LBB1_4924:
	v_mov_b32_e32 v12, 0
	v_cmp_ne_u16_sdwa s[8:9], v17, v12 src0_sel:BYTE_3 src1_sel:DWORD
	s_andn2_b64 s[4:5], s[4:5], exec
	s_and_b64 s[8:9], s[8:9], exec
	s_or_b64 s[4:5], s[4:5], s[8:9]
	s_or_b64 exec, exec, s[6:7]
	s_and_saveexec_b64 s[6:7], s[4:5]
	s_cbranch_execz .LBB1_8605
; %bb.13109:
	s_getpc_b64 s[14:15]
.Lpost_getpc2458:
	s_add_u32 s14, s14, (.LBB1_827-.Lpost_getpc2458)&4294967295
	s_addc_u32 s15, s15, (.LBB1_827-.Lpost_getpc2458)>>32
	s_setpc_b64 s[14:15]
.LBB1_8605:
	s_getpc_b64 s[14:15]
.Lpost_getpc206:
	s_add_u32 s14, s14, (.LBB1_828-.Lpost_getpc206)&4294967295
	s_addc_u32 s15, s15, (.LBB1_828-.Lpost_getpc206)>>32
	s_setpc_b64 s[14:15]
.LBB1_4925:
	s_movk_i32 s4, 0x80
	v_cmp_eq_u16_sdwa s[12:13], v13, s4 src0_sel:BYTE_3 src1_sel:DWORD
	s_mov_b64 s[4:5], -1
                                        ; implicit-def: $sgpr10
	s_and_saveexec_b64 s[8:9], s[12:13]
; %bb.4926:
	s_mov_b32 s10, 0x7f800001
	s_xor_b64 s[4:5], exec, -1
; %bb.4927:
	s_or_b64 exec, exec, s[8:9]
	s_and_b64 s[4:5], s[4:5], exec
	s_or_saveexec_b64 s[6:7], s[6:7]
	v_mov_b32_e32 v16, s10
	s_xor_b64 exec, exec, s[6:7]
	s_cbranch_execnz .LBB1_4928
; %bb.13111:
	s_getpc_b64 s[14:15]
.Lpost_getpc2459:
	s_add_u32 s14, s14, (.LBB1_830-.Lpost_getpc2459)&4294967295
	s_addc_u32 s15, s15, (.LBB1_830-.Lpost_getpc2459)>>32
	s_setpc_b64 s[14:15]
.LBB1_4928:
	v_mov_b32_e32 v16, 0
	v_cmp_ne_u16_sdwa s[8:9], v13, v16 src0_sel:BYTE_3 src1_sel:DWORD
	s_andn2_b64 s[4:5], s[4:5], exec
	s_and_b64 s[8:9], s[8:9], exec
	s_or_b64 s[4:5], s[4:5], s[8:9]
	s_or_b64 exec, exec, s[6:7]
	s_and_saveexec_b64 s[6:7], s[4:5]
	s_cbranch_execz .LBB1_8607
; %bb.13113:
	s_getpc_b64 s[14:15]
.Lpost_getpc2460:
	s_add_u32 s14, s14, (.LBB1_831-.Lpost_getpc2460)&4294967295
	s_addc_u32 s15, s15, (.LBB1_831-.Lpost_getpc2460)>>32
	s_setpc_b64 s[14:15]
.LBB1_8607:
	s_getpc_b64 s[14:15]
.Lpost_getpc207:
	s_add_u32 s14, s14, (.LBB1_832-.Lpost_getpc207)&4294967295
	s_addc_u32 s15, s15, (.LBB1_832-.Lpost_getpc207)>>32
	s_setpc_b64 s[14:15]
.LBB1_4929:
	s_movk_i32 s4, 0x80
	v_cmp_eq_u16_sdwa s[12:13], v18, s4 src0_sel:BYTE_0 src1_sel:DWORD
	s_mov_b64 s[4:5], -1
                                        ; implicit-def: $sgpr10
	s_and_saveexec_b64 s[8:9], s[12:13]
; %bb.4930:
	s_mov_b32 s10, 0x7f800001
	s_xor_b64 s[4:5], exec, -1
; %bb.4931:
	s_or_b64 exec, exec, s[8:9]
	s_and_b64 s[4:5], s[4:5], exec
	s_or_saveexec_b64 s[6:7], s[6:7]
	v_mov_b32_e32 v13, s10
	s_xor_b64 exec, exec, s[6:7]
	s_cbranch_execnz .LBB1_4932
; %bb.13115:
	s_getpc_b64 s[14:15]
.Lpost_getpc2461:
	s_add_u32 s14, s14, (.LBB1_834-.Lpost_getpc2461)&4294967295
	s_addc_u32 s15, s15, (.LBB1_834-.Lpost_getpc2461)>>32
	s_setpc_b64 s[14:15]
.LBB1_4932:
	v_mov_b32_e32 v13, 0
	v_cmp_ne_u16_sdwa s[8:9], v18, v13 src0_sel:BYTE_0 src1_sel:DWORD
	s_andn2_b64 s[4:5], s[4:5], exec
	s_and_b64 s[8:9], s[8:9], exec
	s_or_b64 s[4:5], s[4:5], s[8:9]
	s_or_b64 exec, exec, s[6:7]
	s_and_saveexec_b64 s[6:7], s[4:5]
	s_cbranch_execz .LBB1_8609
; %bb.13117:
	s_getpc_b64 s[14:15]
.Lpost_getpc2462:
	s_add_u32 s14, s14, (.LBB1_835-.Lpost_getpc2462)&4294967295
	s_addc_u32 s15, s15, (.LBB1_835-.Lpost_getpc2462)>>32
	s_setpc_b64 s[14:15]
.LBB1_8609:
	s_getpc_b64 s[14:15]
.Lpost_getpc208:
	s_add_u32 s14, s14, (.LBB1_836-.Lpost_getpc208)&4294967295
	s_addc_u32 s15, s15, (.LBB1_836-.Lpost_getpc208)>>32
	s_setpc_b64 s[14:15]
.LBB1_4933:
	s_movk_i32 s4, 0x80
	v_cmp_eq_u16_sdwa s[12:13], v16, s4 src0_sel:BYTE_0 src1_sel:DWORD
	s_mov_b64 s[4:5], -1
                                        ; implicit-def: $sgpr10
	s_and_saveexec_b64 s[8:9], s[12:13]
; %bb.4934:
	s_mov_b32 s10, 0x7f800001
	s_xor_b64 s[4:5], exec, -1
; %bb.4935:
	s_or_b64 exec, exec, s[8:9]
	s_and_b64 s[4:5], s[4:5], exec
	s_or_saveexec_b64 s[6:7], s[6:7]
	v_mov_b32_e32 v14, s10
	s_xor_b64 exec, exec, s[6:7]
	s_cbranch_execnz .LBB1_4936
; %bb.13119:
	s_getpc_b64 s[14:15]
.Lpost_getpc2463:
	s_add_u32 s14, s14, (.LBB1_838-.Lpost_getpc2463)&4294967295
	s_addc_u32 s15, s15, (.LBB1_838-.Lpost_getpc2463)>>32
	s_setpc_b64 s[14:15]
.LBB1_4936:
	v_mov_b32_e32 v14, 0
	v_cmp_ne_u16_sdwa s[8:9], v16, v14 src0_sel:BYTE_0 src1_sel:DWORD
	s_andn2_b64 s[4:5], s[4:5], exec
	s_and_b64 s[8:9], s[8:9], exec
	s_or_b64 s[4:5], s[4:5], s[8:9]
	s_or_b64 exec, exec, s[6:7]
	v_or_b32_sdwa v12, v16, v12 dst_sel:DWORD dst_unused:UNUSED_PAD src0_sel:WORD_0 src1_sel:DWORD
	s_and_saveexec_b64 s[6:7], s[4:5]
	s_cbranch_execz .LBB1_8611
; %bb.13121:
	s_getpc_b64 s[14:15]
.Lpost_getpc2464:
	s_add_u32 s14, s14, (.LBB1_839-.Lpost_getpc2464)&4294967295
	s_addc_u32 s15, s15, (.LBB1_839-.Lpost_getpc2464)>>32
	s_setpc_b64 s[14:15]
.LBB1_8611:
	s_getpc_b64 s[14:15]
.Lpost_getpc209:
	s_add_u32 s14, s14, (.LBB1_840-.Lpost_getpc209)&4294967295
	s_addc_u32 s15, s15, (.LBB1_840-.Lpost_getpc209)>>32
	s_setpc_b64 s[14:15]
.LBB1_4937:
	s_movk_i32 s4, 0x80
	v_cmp_eq_u16_sdwa s[12:13], v14, s4 src0_sel:BYTE_0 src1_sel:DWORD
	s_mov_b64 s[4:5], -1
                                        ; implicit-def: $sgpr10
	s_and_saveexec_b64 s[8:9], s[12:13]
; %bb.4938:
	s_mov_b32 s10, 0x7f800001
	s_xor_b64 s[4:5], exec, -1
; %bb.4939:
	s_or_b64 exec, exec, s[8:9]
	s_and_b64 s[4:5], s[4:5], exec
	s_or_saveexec_b64 s[6:7], s[6:7]
	v_mov_b32_e32 v13, s10
	s_xor_b64 exec, exec, s[6:7]
	s_cbranch_execnz .LBB1_4940
; %bb.13123:
	s_getpc_b64 s[14:15]
.Lpost_getpc2465:
	s_add_u32 s14, s14, (.LBB1_842-.Lpost_getpc2465)&4294967295
	s_addc_u32 s15, s15, (.LBB1_842-.Lpost_getpc2465)>>32
	s_setpc_b64 s[14:15]
.LBB1_4940:
	v_mov_b32_e32 v13, 0
	v_cmp_ne_u16_sdwa s[8:9], v14, v13 src0_sel:BYTE_0 src1_sel:DWORD
	s_andn2_b64 s[4:5], s[4:5], exec
	s_and_b64 s[8:9], s[8:9], exec
	s_or_b64 s[4:5], s[4:5], s[8:9]
	s_or_b64 exec, exec, s[6:7]
	s_and_saveexec_b64 s[6:7], s[4:5]
	s_cbranch_execz .LBB1_8613
; %bb.13125:
	s_getpc_b64 s[14:15]
.Lpost_getpc2466:
	s_add_u32 s14, s14, (.LBB1_843-.Lpost_getpc2466)&4294967295
	s_addc_u32 s15, s15, (.LBB1_843-.Lpost_getpc2466)>>32
	s_setpc_b64 s[14:15]
.LBB1_8613:
	s_getpc_b64 s[14:15]
.Lpost_getpc210:
	s_add_u32 s14, s14, (.LBB1_844-.Lpost_getpc210)&4294967295
	s_addc_u32 s15, s15, (.LBB1_844-.Lpost_getpc210)>>32
	s_setpc_b64 s[14:15]
.LBB1_4941:
	s_movk_i32 s4, 0x80
	v_cmp_eq_u16_sdwa s[12:13], v14, s4 src0_sel:BYTE_0 src1_sel:DWORD
	s_mov_b64 s[4:5], -1
                                        ; implicit-def: $sgpr10
	s_and_saveexec_b64 s[8:9], s[12:13]
; %bb.4942:
	s_mov_b32 s10, 0x7f800001
	s_xor_b64 s[4:5], exec, -1
; %bb.4943:
	s_or_b64 exec, exec, s[8:9]
	s_and_b64 s[4:5], s[4:5], exec
	s_or_saveexec_b64 s[6:7], s[6:7]
	v_mov_b32_e32 v16, s10
	s_xor_b64 exec, exec, s[6:7]
	s_cbranch_execnz .LBB1_4944
; %bb.13127:
	s_getpc_b64 s[14:15]
.Lpost_getpc2467:
	s_add_u32 s14, s14, (.LBB1_846-.Lpost_getpc2467)&4294967295
	s_addc_u32 s15, s15, (.LBB1_846-.Lpost_getpc2467)>>32
	s_setpc_b64 s[14:15]
.LBB1_4944:
	v_mov_b32_e32 v16, 0
	v_cmp_ne_u16_sdwa s[8:9], v14, v16 src0_sel:BYTE_0 src1_sel:DWORD
	s_andn2_b64 s[4:5], s[4:5], exec
	s_and_b64 s[8:9], s[8:9], exec
	s_or_b64 s[4:5], s[4:5], s[8:9]
	s_or_b64 exec, exec, s[6:7]
	s_and_saveexec_b64 s[6:7], s[4:5]
	s_cbranch_execz .LBB1_8615
; %bb.13129:
	s_getpc_b64 s[14:15]
.Lpost_getpc2468:
	s_add_u32 s14, s14, (.LBB1_847-.Lpost_getpc2468)&4294967295
	s_addc_u32 s15, s15, (.LBB1_847-.Lpost_getpc2468)>>32
	s_setpc_b64 s[14:15]
.LBB1_8615:
	s_getpc_b64 s[14:15]
.Lpost_getpc211:
	s_add_u32 s14, s14, (.LBB1_848-.Lpost_getpc211)&4294967295
	s_addc_u32 s15, s15, (.LBB1_848-.Lpost_getpc211)>>32
	s_setpc_b64 s[14:15]
.LBB1_4945:
	s_movk_i32 s4, 0x80
	v_cmp_eq_u16_e32 vcc, s4, v14
	s_mov_b64 s[4:5], -1
                                        ; implicit-def: $sgpr10
	s_and_saveexec_b64 s[8:9], vcc
; %bb.4946:
	s_mov_b32 s10, 0x7f800001
	s_xor_b64 s[4:5], exec, -1
; %bb.4947:
	s_or_b64 exec, exec, s[8:9]
	s_and_b64 s[4:5], s[4:5], exec
                                        ; implicit-def: $vgpr14
	s_or_saveexec_b64 s[6:7], s[6:7]
	v_mov_b32_e32 v13, s10
	s_xor_b64 exec, exec, s[6:7]
	s_cbranch_execnz .LBB1_4948
; %bb.13131:
	s_getpc_b64 s[14:15]
.Lpost_getpc2469:
	s_add_u32 s14, s14, (.LBB1_850-.Lpost_getpc2469)&4294967295
	s_addc_u32 s15, s15, (.LBB1_850-.Lpost_getpc2469)>>32
	s_setpc_b64 s[14:15]
.LBB1_4948:
	v_cmp_ne_u16_e32 vcc, 0, v14
	s_andn2_b64 s[4:5], s[4:5], exec
	s_and_b64 s[8:9], vcc, exec
	v_mov_b32_e32 v13, 0
	s_or_b64 s[4:5], s[4:5], s[8:9]
	s_or_b64 exec, exec, s[6:7]
	s_and_saveexec_b64 s[6:7], s[4:5]
	s_cbranch_execz .LBB1_8617
; %bb.13133:
	s_getpc_b64 s[14:15]
.Lpost_getpc2470:
	s_add_u32 s14, s14, (.LBB1_851-.Lpost_getpc2470)&4294967295
	s_addc_u32 s15, s15, (.LBB1_851-.Lpost_getpc2470)>>32
	s_setpc_b64 s[14:15]
.LBB1_8617:
	s_getpc_b64 s[14:15]
.Lpost_getpc212:
	s_add_u32 s14, s14, (.LBB1_852-.Lpost_getpc212)&4294967295
	s_addc_u32 s15, s15, (.LBB1_852-.Lpost_getpc212)>>32
	s_setpc_b64 s[14:15]
.LBB1_4949:
	s_movk_i32 s4, 0x80
	v_cmp_eq_u16_e32 vcc, s4, v14
	s_mov_b64 s[4:5], -1
                                        ; implicit-def: $sgpr10
	s_and_saveexec_b64 s[8:9], vcc
; %bb.4950:
	s_mov_b32 s10, 0x7f800001
	s_xor_b64 s[4:5], exec, -1
; %bb.4951:
	s_or_b64 exec, exec, s[8:9]
	s_and_b64 s[4:5], s[4:5], exec
                                        ; implicit-def: $vgpr14
	s_or_saveexec_b64 s[6:7], s[6:7]
	v_mov_b32_e32 v16, s10
	s_xor_b64 exec, exec, s[6:7]
	s_cbranch_execnz .LBB1_4952
; %bb.13135:
	s_getpc_b64 s[14:15]
.Lpost_getpc2471:
	s_add_u32 s14, s14, (.LBB1_854-.Lpost_getpc2471)&4294967295
	s_addc_u32 s15, s15, (.LBB1_854-.Lpost_getpc2471)>>32
	s_setpc_b64 s[14:15]
.LBB1_4952:
	v_cmp_ne_u16_e32 vcc, 0, v14
	s_andn2_b64 s[4:5], s[4:5], exec
	s_and_b64 s[8:9], vcc, exec
	v_mov_b32_e32 v16, 0
	s_or_b64 s[4:5], s[4:5], s[8:9]
	s_or_b64 exec, exec, s[6:7]
	s_and_saveexec_b64 s[6:7], s[4:5]
	s_cbranch_execz .LBB1_8619
; %bb.13137:
	s_getpc_b64 s[14:15]
.Lpost_getpc2472:
	s_add_u32 s14, s14, (.LBB1_855-.Lpost_getpc2472)&4294967295
	s_addc_u32 s15, s15, (.LBB1_855-.Lpost_getpc2472)>>32
	s_setpc_b64 s[14:15]
.LBB1_8619:
	s_getpc_b64 s[14:15]
.Lpost_getpc213:
	s_add_u32 s14, s14, (.LBB1_856-.Lpost_getpc213)&4294967295
	s_addc_u32 s15, s15, (.LBB1_856-.Lpost_getpc213)>>32
	s_setpc_b64 s[14:15]
.LBB1_4953:
	s_movk_i32 s4, 0x80
	v_cmp_eq_u16_sdwa s[12:13], v18, s4 src0_sel:BYTE_3 src1_sel:DWORD
	s_mov_b64 s[4:5], -1
                                        ; implicit-def: $sgpr10
	s_and_saveexec_b64 s[8:9], s[12:13]
; %bb.4954:
	s_mov_b32 s10, 0x7f800001
	s_xor_b64 s[4:5], exec, -1
; %bb.4955:
	s_or_b64 exec, exec, s[8:9]
	s_and_b64 s[4:5], s[4:5], exec
	s_or_saveexec_b64 s[6:7], s[6:7]
	v_mov_b32_e32 v13, s10
	s_xor_b64 exec, exec, s[6:7]
	s_cbranch_execnz .LBB1_4956
; %bb.13139:
	s_getpc_b64 s[14:15]
.Lpost_getpc2473:
	s_add_u32 s14, s14, (.LBB1_858-.Lpost_getpc2473)&4294967295
	s_addc_u32 s15, s15, (.LBB1_858-.Lpost_getpc2473)>>32
	s_setpc_b64 s[14:15]
.LBB1_4956:
	v_mov_b32_e32 v13, 0
	v_cmp_ne_u16_sdwa s[8:9], v18, v13 src0_sel:BYTE_3 src1_sel:DWORD
	s_andn2_b64 s[4:5], s[4:5], exec
	s_and_b64 s[8:9], s[8:9], exec
	s_or_b64 s[4:5], s[4:5], s[8:9]
	s_or_b64 exec, exec, s[6:7]
	s_and_saveexec_b64 s[6:7], s[4:5]
	s_cbranch_execz .LBB1_8621
; %bb.13141:
	s_getpc_b64 s[14:15]
.Lpost_getpc2474:
	s_add_u32 s14, s14, (.LBB1_859-.Lpost_getpc2474)&4294967295
	s_addc_u32 s15, s15, (.LBB1_859-.Lpost_getpc2474)>>32
	s_setpc_b64 s[14:15]
.LBB1_8621:
	s_getpc_b64 s[14:15]
.Lpost_getpc214:
	s_add_u32 s14, s14, (.LBB1_860-.Lpost_getpc214)&4294967295
	s_addc_u32 s15, s15, (.LBB1_860-.Lpost_getpc214)>>32
	s_setpc_b64 s[14:15]
.LBB1_4957:
	s_movk_i32 s4, 0x80
	v_cmp_eq_u16_sdwa s[12:13], v12, s4 src0_sel:BYTE_3 src1_sel:DWORD
	s_mov_b64 s[4:5], -1
                                        ; implicit-def: $sgpr10
	s_and_saveexec_b64 s[8:9], s[12:13]
; %bb.4958:
	s_mov_b32 s10, 0x7f800001
	s_xor_b64 s[4:5], exec, -1
; %bb.4959:
	s_or_b64 exec, exec, s[8:9]
	s_and_b64 s[4:5], s[4:5], exec
	s_or_saveexec_b64 s[6:7], s[6:7]
	v_mov_b32_e32 v14, s10
	s_xor_b64 exec, exec, s[6:7]
	s_cbranch_execnz .LBB1_4960
; %bb.13143:
	s_getpc_b64 s[14:15]
.Lpost_getpc2475:
	s_add_u32 s14, s14, (.LBB1_862-.Lpost_getpc2475)&4294967295
	s_addc_u32 s15, s15, (.LBB1_862-.Lpost_getpc2475)>>32
	s_setpc_b64 s[14:15]
.LBB1_4960:
	v_mov_b32_e32 v14, 0
	v_cmp_ne_u16_sdwa s[8:9], v12, v14 src0_sel:BYTE_3 src1_sel:DWORD
	s_andn2_b64 s[4:5], s[4:5], exec
	s_and_b64 s[8:9], s[8:9], exec
	s_or_b64 s[4:5], s[4:5], s[8:9]
	s_or_b64 exec, exec, s[6:7]
	s_and_saveexec_b64 s[6:7], s[4:5]
	s_cbranch_execz .LBB1_8623
; %bb.13145:
	s_getpc_b64 s[14:15]
.Lpost_getpc2476:
	s_add_u32 s14, s14, (.LBB1_863-.Lpost_getpc2476)&4294967295
	s_addc_u32 s15, s15, (.LBB1_863-.Lpost_getpc2476)>>32
	s_setpc_b64 s[14:15]
.LBB1_8623:
	s_getpc_b64 s[14:15]
.Lpost_getpc215:
	s_add_u32 s14, s14, (.LBB1_864-.Lpost_getpc215)&4294967295
	s_addc_u32 s15, s15, (.LBB1_864-.Lpost_getpc215)>>32
	s_setpc_b64 s[14:15]
.LBB1_4961:
	s_movk_i32 s4, 0x80
	v_cmp_eq_u16_sdwa s[12:13], v19, s4 src0_sel:BYTE_0 src1_sel:DWORD
	s_mov_b64 s[4:5], -1
                                        ; implicit-def: $sgpr10
	s_and_saveexec_b64 s[8:9], s[12:13]
; %bb.4962:
	s_mov_b32 s10, 0x7f800001
	s_xor_b64 s[4:5], exec, -1
; %bb.4963:
	s_or_b64 exec, exec, s[8:9]
	s_and_b64 s[4:5], s[4:5], exec
	s_or_saveexec_b64 s[6:7], s[6:7]
	v_mov_b32_e32 v12, s10
	s_xor_b64 exec, exec, s[6:7]
	s_cbranch_execnz .LBB1_4964
; %bb.13147:
	s_getpc_b64 s[14:15]
.Lpost_getpc2477:
	s_add_u32 s14, s14, (.LBB1_866-.Lpost_getpc2477)&4294967295
	s_addc_u32 s15, s15, (.LBB1_866-.Lpost_getpc2477)>>32
	s_setpc_b64 s[14:15]
.LBB1_4964:
	v_mov_b32_e32 v12, 0
	v_cmp_ne_u16_sdwa s[8:9], v19, v12 src0_sel:BYTE_0 src1_sel:DWORD
	s_andn2_b64 s[4:5], s[4:5], exec
	s_and_b64 s[8:9], s[8:9], exec
	s_or_b64 s[4:5], s[4:5], s[8:9]
	s_or_b64 exec, exec, s[6:7]
	s_and_saveexec_b64 s[6:7], s[4:5]
	s_cbranch_execz .LBB1_8625
; %bb.13149:
	s_getpc_b64 s[14:15]
.Lpost_getpc2478:
	s_add_u32 s14, s14, (.LBB1_867-.Lpost_getpc2478)&4294967295
	s_addc_u32 s15, s15, (.LBB1_867-.Lpost_getpc2478)>>32
	s_setpc_b64 s[14:15]
.LBB1_8625:
	s_getpc_b64 s[14:15]
.Lpost_getpc216:
	s_add_u32 s14, s14, (.LBB1_868-.Lpost_getpc216)&4294967295
	s_addc_u32 s15, s15, (.LBB1_868-.Lpost_getpc216)>>32
	s_setpc_b64 s[14:15]
.LBB1_4965:
	s_movk_i32 s4, 0x80
	v_cmp_eq_u16_sdwa s[12:13], v15, s4 src0_sel:BYTE_0 src1_sel:DWORD
	s_mov_b64 s[4:5], -1
                                        ; implicit-def: $sgpr10
	s_and_saveexec_b64 s[8:9], s[12:13]
; %bb.4966:
	s_mov_b32 s10, 0x7f800001
	s_xor_b64 s[4:5], exec, -1
; %bb.4967:
	s_or_b64 exec, exec, s[8:9]
	s_and_b64 s[4:5], s[4:5], exec
	s_or_saveexec_b64 s[6:7], s[6:7]
	v_mov_b32_e32 v13, s10
	s_xor_b64 exec, exec, s[6:7]
	s_cbranch_execnz .LBB1_4968
; %bb.13151:
	s_getpc_b64 s[14:15]
.Lpost_getpc2479:
	s_add_u32 s14, s14, (.LBB1_870-.Lpost_getpc2479)&4294967295
	s_addc_u32 s15, s15, (.LBB1_870-.Lpost_getpc2479)>>32
	s_setpc_b64 s[14:15]
.LBB1_4968:
	v_mov_b32_e32 v13, 0
	v_cmp_ne_u16_sdwa s[8:9], v15, v13 src0_sel:BYTE_0 src1_sel:DWORD
	s_andn2_b64 s[4:5], s[4:5], exec
	s_and_b64 s[8:9], s[8:9], exec
	s_or_b64 s[4:5], s[4:5], s[8:9]
	s_or_b64 exec, exec, s[6:7]
	s_and_saveexec_b64 s[6:7], s[4:5]
	s_cbranch_execz .LBB1_8627
; %bb.13153:
	s_getpc_b64 s[14:15]
.Lpost_getpc2480:
	s_add_u32 s14, s14, (.LBB1_871-.Lpost_getpc2480)&4294967295
	s_addc_u32 s15, s15, (.LBB1_871-.Lpost_getpc2480)>>32
	s_setpc_b64 s[14:15]
.LBB1_8627:
	s_getpc_b64 s[14:15]
.Lpost_getpc217:
	s_add_u32 s14, s14, (.LBB1_872-.Lpost_getpc217)&4294967295
	s_addc_u32 s15, s15, (.LBB1_872-.Lpost_getpc217)>>32
	s_setpc_b64 s[14:15]
.LBB1_4969:
	s_movk_i32 s4, 0x80
	v_cmp_eq_u16_sdwa s[12:13], v13, s4 src0_sel:BYTE_0 src1_sel:DWORD
	s_mov_b64 s[4:5], -1
                                        ; implicit-def: $sgpr10
	s_and_saveexec_b64 s[8:9], s[12:13]
; %bb.4970:
	s_mov_b32 s10, 0x7f800001
	s_xor_b64 s[4:5], exec, -1
; %bb.4971:
	s_or_b64 exec, exec, s[8:9]
	s_and_b64 s[4:5], s[4:5], exec
	s_or_saveexec_b64 s[6:7], s[6:7]
	v_mov_b32_e32 v12, s10
	s_xor_b64 exec, exec, s[6:7]
	s_cbranch_execnz .LBB1_4972
; %bb.13155:
	s_getpc_b64 s[14:15]
.Lpost_getpc2481:
	s_add_u32 s14, s14, (.LBB1_874-.Lpost_getpc2481)&4294967295
	s_addc_u32 s15, s15, (.LBB1_874-.Lpost_getpc2481)>>32
	s_setpc_b64 s[14:15]
.LBB1_4972:
	v_mov_b32_e32 v12, 0
	v_cmp_ne_u16_sdwa s[8:9], v13, v12 src0_sel:BYTE_0 src1_sel:DWORD
	s_andn2_b64 s[4:5], s[4:5], exec
	s_and_b64 s[8:9], s[8:9], exec
	s_or_b64 s[4:5], s[4:5], s[8:9]
	s_or_b64 exec, exec, s[6:7]
	s_and_saveexec_b64 s[6:7], s[4:5]
	s_cbranch_execz .LBB1_8629
; %bb.13157:
	s_getpc_b64 s[14:15]
.Lpost_getpc2482:
	s_add_u32 s14, s14, (.LBB1_875-.Lpost_getpc2482)&4294967295
	s_addc_u32 s15, s15, (.LBB1_875-.Lpost_getpc2482)>>32
	s_setpc_b64 s[14:15]
.LBB1_8629:
	s_getpc_b64 s[14:15]
.Lpost_getpc218:
	s_add_u32 s14, s14, (.LBB1_876-.Lpost_getpc218)&4294967295
	s_addc_u32 s15, s15, (.LBB1_876-.Lpost_getpc218)>>32
	s_setpc_b64 s[14:15]
.LBB1_4973:
	s_movk_i32 s4, 0x80
	v_cmp_eq_u16_sdwa s[12:13], v13, s4 src0_sel:BYTE_0 src1_sel:DWORD
	s_mov_b64 s[4:5], -1
                                        ; implicit-def: $sgpr10
	s_and_saveexec_b64 s[8:9], s[12:13]
; %bb.4974:
	s_mov_b32 s10, 0x7f800001
	s_xor_b64 s[4:5], exec, -1
; %bb.4975:
	s_or_b64 exec, exec, s[8:9]
	s_and_b64 s[4:5], s[4:5], exec
	s_or_saveexec_b64 s[6:7], s[6:7]
	v_mov_b32_e32 v14, s10
	s_xor_b64 exec, exec, s[6:7]
	s_cbranch_execnz .LBB1_4976
; %bb.13159:
	s_getpc_b64 s[14:15]
.Lpost_getpc2483:
	s_add_u32 s14, s14, (.LBB1_878-.Lpost_getpc2483)&4294967295
	s_addc_u32 s15, s15, (.LBB1_878-.Lpost_getpc2483)>>32
	s_setpc_b64 s[14:15]
.LBB1_4976:
	v_mov_b32_e32 v14, 0
	v_cmp_ne_u16_sdwa s[8:9], v13, v14 src0_sel:BYTE_0 src1_sel:DWORD
	s_andn2_b64 s[4:5], s[4:5], exec
	s_and_b64 s[8:9], s[8:9], exec
	s_or_b64 s[4:5], s[4:5], s[8:9]
	s_or_b64 exec, exec, s[6:7]
	s_and_saveexec_b64 s[6:7], s[4:5]
	s_cbranch_execz .LBB1_8631
; %bb.13161:
	s_getpc_b64 s[14:15]
.Lpost_getpc2484:
	s_add_u32 s14, s14, (.LBB1_879-.Lpost_getpc2484)&4294967295
	s_addc_u32 s15, s15, (.LBB1_879-.Lpost_getpc2484)>>32
	s_setpc_b64 s[14:15]
.LBB1_8631:
	s_getpc_b64 s[14:15]
.Lpost_getpc219:
	s_add_u32 s14, s14, (.LBB1_880-.Lpost_getpc219)&4294967295
	s_addc_u32 s15, s15, (.LBB1_880-.Lpost_getpc219)>>32
	s_setpc_b64 s[14:15]
.LBB1_4977:
	s_movk_i32 s4, 0x80
	v_cmp_eq_u16_e32 vcc, s4, v13
	s_mov_b64 s[4:5], -1
                                        ; implicit-def: $sgpr10
	s_and_saveexec_b64 s[8:9], vcc
; %bb.4978:
	s_mov_b32 s10, 0x7f800001
	s_xor_b64 s[4:5], exec, -1
; %bb.4979:
	s_or_b64 exec, exec, s[8:9]
	s_and_b64 s[4:5], s[4:5], exec
                                        ; implicit-def: $vgpr13
	s_or_saveexec_b64 s[6:7], s[6:7]
	v_mov_b32_e32 v12, s10
	s_xor_b64 exec, exec, s[6:7]
	s_cbranch_execnz .LBB1_4980
; %bb.13163:
	s_getpc_b64 s[14:15]
.Lpost_getpc2485:
	s_add_u32 s14, s14, (.LBB1_882-.Lpost_getpc2485)&4294967295
	s_addc_u32 s15, s15, (.LBB1_882-.Lpost_getpc2485)>>32
	s_setpc_b64 s[14:15]
.LBB1_4980:
	v_cmp_ne_u16_e32 vcc, 0, v13
	s_andn2_b64 s[4:5], s[4:5], exec
	s_and_b64 s[8:9], vcc, exec
	v_mov_b32_e32 v12, 0
	s_or_b64 s[4:5], s[4:5], s[8:9]
	s_or_b64 exec, exec, s[6:7]
	s_and_saveexec_b64 s[6:7], s[4:5]
	s_cbranch_execz .LBB1_8633
; %bb.13165:
	s_getpc_b64 s[14:15]
.Lpost_getpc2486:
	s_add_u32 s14, s14, (.LBB1_883-.Lpost_getpc2486)&4294967295
	s_addc_u32 s15, s15, (.LBB1_883-.Lpost_getpc2486)>>32
	s_setpc_b64 s[14:15]
.LBB1_8633:
	s_getpc_b64 s[14:15]
.Lpost_getpc220:
	s_add_u32 s14, s14, (.LBB1_884-.Lpost_getpc220)&4294967295
	s_addc_u32 s15, s15, (.LBB1_884-.Lpost_getpc220)>>32
	s_setpc_b64 s[14:15]
.LBB1_4981:
	s_movk_i32 s4, 0x80
	v_cmp_eq_u16_e32 vcc, s4, v13
	s_mov_b64 s[4:5], -1
                                        ; implicit-def: $sgpr10
	s_and_saveexec_b64 s[8:9], vcc
; %bb.4982:
	s_mov_b32 s10, 0x7f800001
	s_xor_b64 s[4:5], exec, -1
; %bb.4983:
	s_or_b64 exec, exec, s[8:9]
	s_and_b64 s[4:5], s[4:5], exec
                                        ; implicit-def: $vgpr13
	s_or_saveexec_b64 s[6:7], s[6:7]
	v_mov_b32_e32 v14, s10
	s_xor_b64 exec, exec, s[6:7]
	s_cbranch_execnz .LBB1_4984
; %bb.13167:
	s_getpc_b64 s[14:15]
.Lpost_getpc2487:
	s_add_u32 s14, s14, (.LBB1_886-.Lpost_getpc2487)&4294967295
	s_addc_u32 s15, s15, (.LBB1_886-.Lpost_getpc2487)>>32
	s_setpc_b64 s[14:15]
.LBB1_4984:
	v_cmp_ne_u16_e32 vcc, 0, v13
	s_andn2_b64 s[4:5], s[4:5], exec
	s_and_b64 s[8:9], vcc, exec
	v_mov_b32_e32 v14, 0
	s_or_b64 s[4:5], s[4:5], s[8:9]
	s_or_b64 exec, exec, s[6:7]
	s_and_saveexec_b64 s[6:7], s[4:5]
	s_cbranch_execz .LBB1_8635
; %bb.13169:
	s_getpc_b64 s[14:15]
.Lpost_getpc2488:
	s_add_u32 s14, s14, (.LBB1_887-.Lpost_getpc2488)&4294967295
	s_addc_u32 s15, s15, (.LBB1_887-.Lpost_getpc2488)>>32
	s_setpc_b64 s[14:15]
.LBB1_8635:
	s_getpc_b64 s[14:15]
.Lpost_getpc221:
	s_add_u32 s14, s14, (.LBB1_888-.Lpost_getpc221)&4294967295
	s_addc_u32 s15, s15, (.LBB1_888-.Lpost_getpc221)>>32
	s_setpc_b64 s[14:15]
.LBB1_4985:
	s_movk_i32 s4, 0x80
	v_cmp_eq_u16_sdwa s[12:13], v19, s4 src0_sel:BYTE_3 src1_sel:DWORD
	s_mov_b64 s[4:5], -1
                                        ; implicit-def: $sgpr10
	s_and_saveexec_b64 s[8:9], s[12:13]
; %bb.4986:
	s_mov_b32 s10, 0x7f800001
	s_xor_b64 s[4:5], exec, -1
; %bb.4987:
	s_or_b64 exec, exec, s[8:9]
	s_and_b64 s[4:5], s[4:5], exec
	s_or_saveexec_b64 s[6:7], s[6:7]
	v_mov_b32_e32 v12, s10
	s_xor_b64 exec, exec, s[6:7]
	s_cbranch_execnz .LBB1_4988
; %bb.13171:
	s_getpc_b64 s[14:15]
.Lpost_getpc2489:
	s_add_u32 s14, s14, (.LBB1_890-.Lpost_getpc2489)&4294967295
	s_addc_u32 s15, s15, (.LBB1_890-.Lpost_getpc2489)>>32
	s_setpc_b64 s[14:15]
.LBB1_4988:
	v_mov_b32_e32 v12, 0
	v_cmp_ne_u16_sdwa s[8:9], v19, v12 src0_sel:BYTE_3 src1_sel:DWORD
	s_andn2_b64 s[4:5], s[4:5], exec
	s_and_b64 s[8:9], s[8:9], exec
	s_or_b64 s[4:5], s[4:5], s[8:9]
	s_or_b64 exec, exec, s[6:7]
	s_and_saveexec_b64 s[6:7], s[4:5]
	s_cbranch_execz .LBB1_8637
; %bb.13173:
	s_getpc_b64 s[14:15]
.Lpost_getpc2490:
	s_add_u32 s14, s14, (.LBB1_891-.Lpost_getpc2490)&4294967295
	s_addc_u32 s15, s15, (.LBB1_891-.Lpost_getpc2490)>>32
	s_setpc_b64 s[14:15]
.LBB1_8637:
	s_getpc_b64 s[14:15]
.Lpost_getpc222:
	s_add_u32 s14, s14, (.LBB1_892-.Lpost_getpc222)&4294967295
	s_addc_u32 s15, s15, (.LBB1_892-.Lpost_getpc222)>>32
	s_setpc_b64 s[14:15]
.LBB1_4989:
	s_movk_i32 s4, 0x80
	v_cmp_eq_u16_sdwa s[12:13], v15, s4 src0_sel:BYTE_3 src1_sel:DWORD
	s_mov_b64 s[4:5], -1
                                        ; implicit-def: $sgpr10
	s_and_saveexec_b64 s[8:9], s[12:13]
; %bb.4990:
	s_mov_b32 s10, 0x7f800001
	s_xor_b64 s[4:5], exec, -1
; %bb.4991:
	s_or_b64 exec, exec, s[8:9]
	s_and_b64 s[4:5], s[4:5], exec
	s_or_saveexec_b64 s[6:7], s[6:7]
	v_mov_b32_e32 v13, s10
	s_xor_b64 exec, exec, s[6:7]
	s_cbranch_execnz .LBB1_4992
; %bb.13175:
	s_getpc_b64 s[14:15]
.Lpost_getpc2491:
	s_add_u32 s14, s14, (.LBB1_894-.Lpost_getpc2491)&4294967295
	s_addc_u32 s15, s15, (.LBB1_894-.Lpost_getpc2491)>>32
	s_setpc_b64 s[14:15]
.LBB1_4992:
	v_mov_b32_e32 v13, 0
	v_cmp_ne_u16_sdwa s[8:9], v15, v13 src0_sel:BYTE_3 src1_sel:DWORD
	s_andn2_b64 s[4:5], s[4:5], exec
	s_and_b64 s[8:9], s[8:9], exec
	s_or_b64 s[4:5], s[4:5], s[8:9]
	s_or_b64 exec, exec, s[6:7]
	s_and_saveexec_b64 s[6:7], s[4:5]
	s_cbranch_execz .LBB1_8639
; %bb.13177:
	s_getpc_b64 s[14:15]
.Lpost_getpc2492:
	s_add_u32 s14, s14, (.LBB1_895-.Lpost_getpc2492)&4294967295
	s_addc_u32 s15, s15, (.LBB1_895-.Lpost_getpc2492)>>32
	s_setpc_b64 s[14:15]
.LBB1_8639:
	s_getpc_b64 s[14:15]
.Lpost_getpc223:
	s_add_u32 s14, s14, (.LBB1_896-.Lpost_getpc223)&4294967295
	s_addc_u32 s15, s15, (.LBB1_896-.Lpost_getpc223)>>32
	s_setpc_b64 s[14:15]
.LBB1_4993:
	s_movk_i32 s4, 0x80
	v_cmp_eq_u16_sdwa s[12:13], v16, s4 src0_sel:BYTE_0 src1_sel:DWORD
	s_mov_b64 s[4:5], -1
                                        ; implicit-def: $sgpr10
	s_and_saveexec_b64 s[8:9], s[12:13]
; %bb.4994:
	s_mov_b32 s10, 0x7f800001
	s_xor_b64 s[4:5], exec, -1
; %bb.4995:
	s_or_b64 exec, exec, s[8:9]
	s_and_b64 s[4:5], s[4:5], exec
	s_or_saveexec_b64 s[6:7], s[6:7]
	v_mov_b32_e32 v21, s10
	s_xor_b64 exec, exec, s[6:7]
	s_cbranch_execnz .LBB1_4996
; %bb.13179:
	s_getpc_b64 s[14:15]
.Lpost_getpc2493:
	s_add_u32 s14, s14, (.LBB1_898-.Lpost_getpc2493)&4294967295
	s_addc_u32 s15, s15, (.LBB1_898-.Lpost_getpc2493)>>32
	s_setpc_b64 s[14:15]
.LBB1_4996:
	v_mov_b32_e32 v21, 0
	v_cmp_ne_u16_sdwa s[8:9], v16, v21 src0_sel:BYTE_0 src1_sel:DWORD
	s_andn2_b64 s[4:5], s[4:5], exec
	s_and_b64 s[8:9], s[8:9], exec
	s_or_b64 s[4:5], s[4:5], s[8:9]
	s_or_b64 exec, exec, s[6:7]
	s_and_saveexec_b64 s[6:7], s[4:5]
	s_cbranch_execz .LBB1_8641
; %bb.13181:
	s_getpc_b64 s[14:15]
.Lpost_getpc2494:
	s_add_u32 s14, s14, (.LBB1_899-.Lpost_getpc2494)&4294967295
	s_addc_u32 s15, s15, (.LBB1_899-.Lpost_getpc2494)>>32
	s_setpc_b64 s[14:15]
.LBB1_8641:
	s_getpc_b64 s[14:15]
.Lpost_getpc224:
	s_add_u32 s14, s14, (.LBB1_900-.Lpost_getpc224)&4294967295
	s_addc_u32 s15, s15, (.LBB1_900-.Lpost_getpc224)>>32
	s_setpc_b64 s[14:15]
.LBB1_4997:
	s_movk_i32 s4, 0x80
	v_cmp_eq_u16_sdwa s[12:13], v12, s4 src0_sel:BYTE_0 src1_sel:DWORD
	s_mov_b64 s[4:5], -1
                                        ; implicit-def: $sgpr10
	s_and_saveexec_b64 s[8:9], s[12:13]
; %bb.4998:
	s_mov_b32 s10, 0x7f800001
	s_xor_b64 s[4:5], exec, -1
; %bb.4999:
	s_or_b64 exec, exec, s[8:9]
	s_and_b64 s[4:5], s[4:5], exec
	s_or_saveexec_b64 s[6:7], s[6:7]
	v_mov_b32_e32 v22, s10
	s_xor_b64 exec, exec, s[6:7]
	s_cbranch_execnz .LBB1_5000
; %bb.13183:
	s_getpc_b64 s[14:15]
.Lpost_getpc2495:
	s_add_u32 s14, s14, (.LBB1_902-.Lpost_getpc2495)&4294967295
	s_addc_u32 s15, s15, (.LBB1_902-.Lpost_getpc2495)>>32
	s_setpc_b64 s[14:15]
.LBB1_5000:
	v_mov_b32_e32 v22, 0
	v_cmp_ne_u16_sdwa s[8:9], v12, v22 src0_sel:BYTE_0 src1_sel:DWORD
	s_andn2_b64 s[4:5], s[4:5], exec
	s_and_b64 s[8:9], s[8:9], exec
	s_or_b64 s[4:5], s[4:5], s[8:9]
	s_or_b64 exec, exec, s[6:7]
	s_and_saveexec_b64 s[6:7], s[4:5]
	s_cbranch_execz .LBB1_8643
; %bb.13185:
	s_getpc_b64 s[14:15]
.Lpost_getpc2496:
	s_add_u32 s14, s14, (.LBB1_903-.Lpost_getpc2496)&4294967295
	s_addc_u32 s15, s15, (.LBB1_903-.Lpost_getpc2496)>>32
	s_setpc_b64 s[14:15]
.LBB1_8643:
	s_getpc_b64 s[14:15]
.Lpost_getpc225:
	s_add_u32 s14, s14, (.LBB1_904-.Lpost_getpc225)&4294967295
	s_addc_u32 s15, s15, (.LBB1_904-.Lpost_getpc225)>>32
	s_setpc_b64 s[14:15]
.LBB1_5001:
	s_movk_i32 s4, 0x80
	v_cmp_eq_u16_sdwa s[12:13], v22, s4 src0_sel:BYTE_0 src1_sel:DWORD
	s_mov_b64 s[4:5], -1
                                        ; implicit-def: $sgpr10
	s_and_saveexec_b64 s[8:9], s[12:13]
; %bb.5002:
	s_mov_b32 s10, 0x7f800001
	s_xor_b64 s[4:5], exec, -1
; %bb.5003:
	s_or_b64 exec, exec, s[8:9]
	s_and_b64 s[4:5], s[4:5], exec
	s_or_saveexec_b64 s[6:7], s[6:7]
	v_mov_b32_e32 v21, s10
	s_xor_b64 exec, exec, s[6:7]
	s_cbranch_execnz .LBB1_5004
; %bb.13187:
	s_getpc_b64 s[14:15]
.Lpost_getpc2497:
	s_add_u32 s14, s14, (.LBB1_906-.Lpost_getpc2497)&4294967295
	s_addc_u32 s15, s15, (.LBB1_906-.Lpost_getpc2497)>>32
	s_setpc_b64 s[14:15]
.LBB1_5004:
	v_mov_b32_e32 v21, 0
	v_cmp_ne_u16_sdwa s[8:9], v22, v21 src0_sel:BYTE_0 src1_sel:DWORD
	s_andn2_b64 s[4:5], s[4:5], exec
	s_and_b64 s[8:9], s[8:9], exec
	s_or_b64 s[4:5], s[4:5], s[8:9]
	s_or_b64 exec, exec, s[6:7]
	s_and_saveexec_b64 s[6:7], s[4:5]
	s_cbranch_execz .LBB1_8645
; %bb.13189:
	s_getpc_b64 s[14:15]
.Lpost_getpc2498:
	s_add_u32 s14, s14, (.LBB1_907-.Lpost_getpc2498)&4294967295
	s_addc_u32 s15, s15, (.LBB1_907-.Lpost_getpc2498)>>32
	s_setpc_b64 s[14:15]
.LBB1_8645:
	s_getpc_b64 s[14:15]
.Lpost_getpc226:
	s_add_u32 s14, s14, (.LBB1_908-.Lpost_getpc226)&4294967295
	s_addc_u32 s15, s15, (.LBB1_908-.Lpost_getpc226)>>32
	s_setpc_b64 s[14:15]
.LBB1_5005:
	s_movk_i32 s4, 0x80
	v_cmp_eq_u16_sdwa s[12:13], v22, s4 src0_sel:BYTE_0 src1_sel:DWORD
	s_mov_b64 s[4:5], -1
                                        ; implicit-def: $sgpr10
	s_and_saveexec_b64 s[8:9], s[12:13]
; %bb.5006:
	s_mov_b32 s10, 0x7f800001
	s_xor_b64 s[4:5], exec, -1
; %bb.5007:
	s_or_b64 exec, exec, s[8:9]
	s_and_b64 s[4:5], s[4:5], exec
	s_or_saveexec_b64 s[6:7], s[6:7]
	v_mov_b32_e32 v23, s10
	s_xor_b64 exec, exec, s[6:7]
	s_cbranch_execnz .LBB1_5008
; %bb.13191:
	s_getpc_b64 s[14:15]
.Lpost_getpc2499:
	s_add_u32 s14, s14, (.LBB1_910-.Lpost_getpc2499)&4294967295
	s_addc_u32 s15, s15, (.LBB1_910-.Lpost_getpc2499)>>32
	s_setpc_b64 s[14:15]
.LBB1_5008:
	v_mov_b32_e32 v23, 0
	v_cmp_ne_u16_sdwa s[8:9], v22, v23 src0_sel:BYTE_0 src1_sel:DWORD
	s_andn2_b64 s[4:5], s[4:5], exec
	s_and_b64 s[8:9], s[8:9], exec
	s_or_b64 s[4:5], s[4:5], s[8:9]
	s_or_b64 exec, exec, s[6:7]
	s_and_saveexec_b64 s[6:7], s[4:5]
	s_cbranch_execz .LBB1_8647
; %bb.13193:
	s_getpc_b64 s[14:15]
.Lpost_getpc2500:
	s_add_u32 s14, s14, (.LBB1_911-.Lpost_getpc2500)&4294967295
	s_addc_u32 s15, s15, (.LBB1_911-.Lpost_getpc2500)>>32
	s_setpc_b64 s[14:15]
.LBB1_8647:
	s_getpc_b64 s[14:15]
.Lpost_getpc227:
	s_add_u32 s14, s14, (.LBB1_912-.Lpost_getpc227)&4294967295
	s_addc_u32 s15, s15, (.LBB1_912-.Lpost_getpc227)>>32
	s_setpc_b64 s[14:15]
.LBB1_5009:
	s_movk_i32 s4, 0x80
	v_cmp_eq_u16_e32 vcc, s4, v22
	s_mov_b64 s[4:5], -1
                                        ; implicit-def: $sgpr10
	s_and_saveexec_b64 s[8:9], vcc
; %bb.5010:
	s_mov_b32 s10, 0x7f800001
	s_xor_b64 s[4:5], exec, -1
; %bb.5011:
	s_or_b64 exec, exec, s[8:9]
	s_and_b64 s[4:5], s[4:5], exec
                                        ; implicit-def: $vgpr22
	s_or_saveexec_b64 s[6:7], s[6:7]
	v_mov_b32_e32 v21, s10
	s_xor_b64 exec, exec, s[6:7]
	s_cbranch_execnz .LBB1_5012
; %bb.13195:
	s_getpc_b64 s[14:15]
.Lpost_getpc2501:
	s_add_u32 s14, s14, (.LBB1_914-.Lpost_getpc2501)&4294967295
	s_addc_u32 s15, s15, (.LBB1_914-.Lpost_getpc2501)>>32
	s_setpc_b64 s[14:15]
.LBB1_5012:
	v_cmp_ne_u16_e32 vcc, 0, v22
	s_andn2_b64 s[4:5], s[4:5], exec
	s_and_b64 s[8:9], vcc, exec
	v_mov_b32_e32 v21, 0
	s_or_b64 s[4:5], s[4:5], s[8:9]
	s_or_b64 exec, exec, s[6:7]
	s_and_saveexec_b64 s[6:7], s[4:5]
	s_cbranch_execz .LBB1_8649
; %bb.13197:
	s_getpc_b64 s[14:15]
.Lpost_getpc2502:
	s_add_u32 s14, s14, (.LBB1_915-.Lpost_getpc2502)&4294967295
	s_addc_u32 s15, s15, (.LBB1_915-.Lpost_getpc2502)>>32
	s_setpc_b64 s[14:15]
.LBB1_8649:
	s_getpc_b64 s[14:15]
.Lpost_getpc228:
	s_add_u32 s14, s14, (.LBB1_916-.Lpost_getpc228)&4294967295
	s_addc_u32 s15, s15, (.LBB1_916-.Lpost_getpc228)>>32
	s_setpc_b64 s[14:15]
.LBB1_5013:
	s_movk_i32 s4, 0x80
	v_cmp_eq_u16_e32 vcc, s4, v22
	s_mov_b64 s[4:5], -1
                                        ; implicit-def: $sgpr10
	s_and_saveexec_b64 s[8:9], vcc
; %bb.5014:
	s_mov_b32 s10, 0x7f800001
	s_xor_b64 s[4:5], exec, -1
; %bb.5015:
	s_or_b64 exec, exec, s[8:9]
	s_and_b64 s[4:5], s[4:5], exec
                                        ; implicit-def: $vgpr22
	s_or_saveexec_b64 s[6:7], s[6:7]
	v_mov_b32_e32 v23, s10
	s_xor_b64 exec, exec, s[6:7]
	s_cbranch_execnz .LBB1_5016
; %bb.13199:
	s_getpc_b64 s[14:15]
.Lpost_getpc2503:
	s_add_u32 s14, s14, (.LBB1_918-.Lpost_getpc2503)&4294967295
	s_addc_u32 s15, s15, (.LBB1_918-.Lpost_getpc2503)>>32
	s_setpc_b64 s[14:15]
.LBB1_5016:
	v_cmp_ne_u16_e32 vcc, 0, v22
	s_andn2_b64 s[4:5], s[4:5], exec
	s_and_b64 s[8:9], vcc, exec
	v_mov_b32_e32 v23, 0
	s_or_b64 s[4:5], s[4:5], s[8:9]
	s_or_b64 exec, exec, s[6:7]
	s_and_saveexec_b64 s[6:7], s[4:5]
	s_cbranch_execz .LBB1_8651
; %bb.13201:
	s_getpc_b64 s[14:15]
.Lpost_getpc2504:
	s_add_u32 s14, s14, (.LBB1_919-.Lpost_getpc2504)&4294967295
	s_addc_u32 s15, s15, (.LBB1_919-.Lpost_getpc2504)>>32
	s_setpc_b64 s[14:15]
.LBB1_8651:
	s_getpc_b64 s[14:15]
.Lpost_getpc229:
	s_add_u32 s14, s14, (.LBB1_920-.Lpost_getpc229)&4294967295
	s_addc_u32 s15, s15, (.LBB1_920-.Lpost_getpc229)>>32
	s_setpc_b64 s[14:15]
.LBB1_5017:
	s_movk_i32 s4, 0x80
	v_cmp_eq_u16_sdwa s[12:13], v16, s4 src0_sel:BYTE_3 src1_sel:DWORD
	s_mov_b64 s[4:5], -1
                                        ; implicit-def: $sgpr10
	s_and_saveexec_b64 s[8:9], s[12:13]
; %bb.5018:
	s_mov_b32 s10, 0x7f800001
	s_xor_b64 s[4:5], exec, -1
; %bb.5019:
	s_or_b64 exec, exec, s[8:9]
	s_and_b64 s[4:5], s[4:5], exec
	s_or_saveexec_b64 s[6:7], s[6:7]
	v_mov_b32_e32 v21, s10
	s_xor_b64 exec, exec, s[6:7]
	s_cbranch_execnz .LBB1_5020
; %bb.13203:
	s_getpc_b64 s[14:15]
.Lpost_getpc2505:
	s_add_u32 s14, s14, (.LBB1_922-.Lpost_getpc2505)&4294967295
	s_addc_u32 s15, s15, (.LBB1_922-.Lpost_getpc2505)>>32
	s_setpc_b64 s[14:15]
.LBB1_5020:
	v_mov_b32_e32 v21, 0
	v_cmp_ne_u16_sdwa s[8:9], v16, v21 src0_sel:BYTE_3 src1_sel:DWORD
	s_andn2_b64 s[4:5], s[4:5], exec
	s_and_b64 s[8:9], s[8:9], exec
	s_or_b64 s[4:5], s[4:5], s[8:9]
	s_or_b64 exec, exec, s[6:7]
	s_and_saveexec_b64 s[6:7], s[4:5]
	s_cbranch_execz .LBB1_8653
; %bb.13205:
	s_getpc_b64 s[14:15]
.Lpost_getpc2506:
	s_add_u32 s14, s14, (.LBB1_923-.Lpost_getpc2506)&4294967295
	s_addc_u32 s15, s15, (.LBB1_923-.Lpost_getpc2506)>>32
	s_setpc_b64 s[14:15]
.LBB1_8653:
	s_getpc_b64 s[14:15]
.Lpost_getpc230:
	s_add_u32 s14, s14, (.LBB1_924-.Lpost_getpc230)&4294967295
	s_addc_u32 s15, s15, (.LBB1_924-.Lpost_getpc230)>>32
	s_setpc_b64 s[14:15]
.LBB1_5021:
	s_movk_i32 s4, 0x80
	v_cmp_eq_u16_sdwa s[12:13], v12, s4 src0_sel:BYTE_3 src1_sel:DWORD
	s_mov_b64 s[4:5], -1
                                        ; implicit-def: $sgpr10
	s_and_saveexec_b64 s[8:9], s[12:13]
; %bb.5022:
	s_mov_b32 s10, 0x7f800001
	s_xor_b64 s[4:5], exec, -1
; %bb.5023:
	s_or_b64 exec, exec, s[8:9]
	s_and_b64 s[4:5], s[4:5], exec
	s_or_saveexec_b64 s[6:7], s[6:7]
	v_mov_b32_e32 v16, s10
	s_xor_b64 exec, exec, s[6:7]
	s_cbranch_execnz .LBB1_5024
; %bb.13207:
	s_getpc_b64 s[14:15]
.Lpost_getpc2507:
	s_add_u32 s14, s14, (.LBB1_926-.Lpost_getpc2507)&4294967295
	s_addc_u32 s15, s15, (.LBB1_926-.Lpost_getpc2507)>>32
	s_setpc_b64 s[14:15]
.LBB1_5024:
	v_mov_b32_e32 v16, 0
	v_cmp_ne_u16_sdwa s[8:9], v12, v16 src0_sel:BYTE_3 src1_sel:DWORD
	s_andn2_b64 s[4:5], s[4:5], exec
	s_and_b64 s[8:9], s[8:9], exec
	s_or_b64 s[4:5], s[4:5], s[8:9]
	s_or_b64 exec, exec, s[6:7]
	s_and_saveexec_b64 s[6:7], s[4:5]
	s_cbranch_execz .LBB1_8655
; %bb.13209:
	s_getpc_b64 s[14:15]
.Lpost_getpc2508:
	s_add_u32 s14, s14, (.LBB1_927-.Lpost_getpc2508)&4294967295
	s_addc_u32 s15, s15, (.LBB1_927-.Lpost_getpc2508)>>32
	s_setpc_b64 s[14:15]
.LBB1_8655:
	s_getpc_b64 s[14:15]
.Lpost_getpc231:
	s_add_u32 s14, s14, (.LBB1_928-.Lpost_getpc231)&4294967295
	s_addc_u32 s15, s15, (.LBB1_928-.Lpost_getpc231)>>32
	s_setpc_b64 s[14:15]
.LBB1_5025:
	s_movk_i32 s4, 0x80
	v_cmp_eq_u16_sdwa s[12:13], v17, s4 src0_sel:BYTE_0 src1_sel:DWORD
	s_mov_b64 s[4:5], -1
                                        ; implicit-def: $sgpr10
	s_and_saveexec_b64 s[8:9], s[12:13]
; %bb.5026:
	s_mov_b32 s10, 0x7f800001
	s_xor_b64 s[4:5], exec, -1
; %bb.5027:
	s_or_b64 exec, exec, s[8:9]
	s_and_b64 s[4:5], s[4:5], exec
	s_or_saveexec_b64 s[6:7], s[6:7]
	v_mov_b32_e32 v12, s10
	s_xor_b64 exec, exec, s[6:7]
	s_cbranch_execnz .LBB1_5028
; %bb.13211:
	s_getpc_b64 s[14:15]
.Lpost_getpc2509:
	s_add_u32 s14, s14, (.LBB1_930-.Lpost_getpc2509)&4294967295
	s_addc_u32 s15, s15, (.LBB1_930-.Lpost_getpc2509)>>32
	s_setpc_b64 s[14:15]
.LBB1_5028:
	v_mov_b32_e32 v12, 0
	v_cmp_ne_u16_sdwa s[8:9], v17, v12 src0_sel:BYTE_0 src1_sel:DWORD
	s_andn2_b64 s[4:5], s[4:5], exec
	s_and_b64 s[8:9], s[8:9], exec
	s_or_b64 s[4:5], s[4:5], s[8:9]
	s_or_b64 exec, exec, s[6:7]
	s_and_saveexec_b64 s[6:7], s[4:5]
	s_cbranch_execz .LBB1_8657
; %bb.13213:
	s_getpc_b64 s[14:15]
.Lpost_getpc2510:
	s_add_u32 s14, s14, (.LBB1_931-.Lpost_getpc2510)&4294967295
	s_addc_u32 s15, s15, (.LBB1_931-.Lpost_getpc2510)>>32
	s_setpc_b64 s[14:15]
.LBB1_8657:
	s_getpc_b64 s[14:15]
.Lpost_getpc232:
	s_add_u32 s14, s14, (.LBB1_932-.Lpost_getpc232)&4294967295
	s_addc_u32 s15, s15, (.LBB1_932-.Lpost_getpc232)>>32
	s_setpc_b64 s[14:15]
.LBB1_5029:
	s_movk_i32 s4, 0x80
	v_cmp_eq_u16_sdwa s[12:13], v13, s4 src0_sel:BYTE_0 src1_sel:DWORD
	s_mov_b64 s[4:5], -1
                                        ; implicit-def: $sgpr10
	s_and_saveexec_b64 s[8:9], s[12:13]
; %bb.5030:
	s_mov_b32 s10, 0x7f800001
	s_xor_b64 s[4:5], exec, -1
; %bb.5031:
	s_or_b64 exec, exec, s[8:9]
	s_and_b64 s[4:5], s[4:5], exec
	s_or_saveexec_b64 s[6:7], s[6:7]
	v_mov_b32_e32 v16, s10
	s_xor_b64 exec, exec, s[6:7]
	s_cbranch_execnz .LBB1_5032
; %bb.13215:
	s_getpc_b64 s[14:15]
.Lpost_getpc2511:
	s_add_u32 s14, s14, (.LBB1_934-.Lpost_getpc2511)&4294967295
	s_addc_u32 s15, s15, (.LBB1_934-.Lpost_getpc2511)>>32
	s_setpc_b64 s[14:15]
.LBB1_5032:
	v_mov_b32_e32 v16, 0
	v_cmp_ne_u16_sdwa s[8:9], v13, v16 src0_sel:BYTE_0 src1_sel:DWORD
	s_andn2_b64 s[4:5], s[4:5], exec
	s_and_b64 s[8:9], s[8:9], exec
	s_or_b64 s[4:5], s[4:5], s[8:9]
	s_or_b64 exec, exec, s[6:7]
	s_and_saveexec_b64 s[6:7], s[4:5]
	s_cbranch_execz .LBB1_8659
; %bb.13217:
	s_getpc_b64 s[14:15]
.Lpost_getpc2512:
	s_add_u32 s14, s14, (.LBB1_935-.Lpost_getpc2512)&4294967295
	s_addc_u32 s15, s15, (.LBB1_935-.Lpost_getpc2512)>>32
	s_setpc_b64 s[14:15]
.LBB1_8659:
	s_getpc_b64 s[14:15]
.Lpost_getpc233:
	s_add_u32 s14, s14, (.LBB1_936-.Lpost_getpc233)&4294967295
	s_addc_u32 s15, s15, (.LBB1_936-.Lpost_getpc233)>>32
	s_setpc_b64 s[14:15]
.LBB1_5033:
	s_movk_i32 s4, 0x80
	v_cmp_eq_u16_sdwa s[12:13], v16, s4 src0_sel:BYTE_0 src1_sel:DWORD
	s_mov_b64 s[4:5], -1
                                        ; implicit-def: $sgpr10
	s_and_saveexec_b64 s[8:9], s[12:13]
; %bb.5034:
	s_mov_b32 s10, 0x7f800001
	s_xor_b64 s[4:5], exec, -1
; %bb.5035:
	s_or_b64 exec, exec, s[8:9]
	s_and_b64 s[4:5], s[4:5], exec
	s_or_saveexec_b64 s[6:7], s[6:7]
	v_mov_b32_e32 v12, s10
	s_xor_b64 exec, exec, s[6:7]
	s_cbranch_execnz .LBB1_5036
; %bb.13219:
	s_getpc_b64 s[14:15]
.Lpost_getpc2513:
	s_add_u32 s14, s14, (.LBB1_938-.Lpost_getpc2513)&4294967295
	s_addc_u32 s15, s15, (.LBB1_938-.Lpost_getpc2513)>>32
	s_setpc_b64 s[14:15]
.LBB1_5036:
	v_mov_b32_e32 v12, 0
	v_cmp_ne_u16_sdwa s[8:9], v16, v12 src0_sel:BYTE_0 src1_sel:DWORD
	s_andn2_b64 s[4:5], s[4:5], exec
	s_and_b64 s[8:9], s[8:9], exec
	s_or_b64 s[4:5], s[4:5], s[8:9]
	s_or_b64 exec, exec, s[6:7]
	s_and_saveexec_b64 s[6:7], s[4:5]
	s_cbranch_execz .LBB1_8661
; %bb.13221:
	s_getpc_b64 s[14:15]
.Lpost_getpc2514:
	s_add_u32 s14, s14, (.LBB1_939-.Lpost_getpc2514)&4294967295
	s_addc_u32 s15, s15, (.LBB1_939-.Lpost_getpc2514)>>32
	s_setpc_b64 s[14:15]
.LBB1_8661:
	s_getpc_b64 s[14:15]
.Lpost_getpc234:
	s_add_u32 s14, s14, (.LBB1_940-.Lpost_getpc234)&4294967295
	s_addc_u32 s15, s15, (.LBB1_940-.Lpost_getpc234)>>32
	s_setpc_b64 s[14:15]
.LBB1_5037:
	s_movk_i32 s4, 0x80
	v_cmp_eq_u16_sdwa s[12:13], v16, s4 src0_sel:BYTE_0 src1_sel:DWORD
	s_mov_b64 s[4:5], -1
                                        ; implicit-def: $sgpr10
	s_and_saveexec_b64 s[8:9], s[12:13]
; %bb.5038:
	s_mov_b32 s10, 0x7f800001
	s_xor_b64 s[4:5], exec, -1
; %bb.5039:
	s_or_b64 exec, exec, s[8:9]
	s_and_b64 s[4:5], s[4:5], exec
	s_or_saveexec_b64 s[6:7], s[6:7]
	v_mov_b32_e32 v21, s10
	s_xor_b64 exec, exec, s[6:7]
	s_cbranch_execnz .LBB1_5040
; %bb.13223:
	s_getpc_b64 s[14:15]
.Lpost_getpc2515:
	s_add_u32 s14, s14, (.LBB1_942-.Lpost_getpc2515)&4294967295
	s_addc_u32 s15, s15, (.LBB1_942-.Lpost_getpc2515)>>32
	s_setpc_b64 s[14:15]
.LBB1_5040:
	v_mov_b32_e32 v21, 0
	v_cmp_ne_u16_sdwa s[8:9], v16, v21 src0_sel:BYTE_0 src1_sel:DWORD
	s_andn2_b64 s[4:5], s[4:5], exec
	s_and_b64 s[8:9], s[8:9], exec
	s_or_b64 s[4:5], s[4:5], s[8:9]
	s_or_b64 exec, exec, s[6:7]
	s_and_saveexec_b64 s[6:7], s[4:5]
	s_cbranch_execz .LBB1_8663
; %bb.13225:
	s_getpc_b64 s[14:15]
.Lpost_getpc2516:
	s_add_u32 s14, s14, (.LBB1_943-.Lpost_getpc2516)&4294967295
	s_addc_u32 s15, s15, (.LBB1_943-.Lpost_getpc2516)>>32
	s_setpc_b64 s[14:15]
.LBB1_8663:
	s_getpc_b64 s[14:15]
.Lpost_getpc235:
	s_add_u32 s14, s14, (.LBB1_944-.Lpost_getpc235)&4294967295
	s_addc_u32 s15, s15, (.LBB1_944-.Lpost_getpc235)>>32
	s_setpc_b64 s[14:15]
.LBB1_5041:
	s_movk_i32 s4, 0x80
	v_cmp_eq_u16_e32 vcc, s4, v16
	s_mov_b64 s[4:5], -1
                                        ; implicit-def: $sgpr10
	s_and_saveexec_b64 s[8:9], vcc
; %bb.5042:
	s_mov_b32 s10, 0x7f800001
	s_xor_b64 s[4:5], exec, -1
; %bb.5043:
	s_or_b64 exec, exec, s[8:9]
	s_and_b64 s[4:5], s[4:5], exec
                                        ; implicit-def: $vgpr16
	s_or_saveexec_b64 s[6:7], s[6:7]
	v_mov_b32_e32 v12, s10
	s_xor_b64 exec, exec, s[6:7]
	s_cbranch_execnz .LBB1_5044
; %bb.13227:
	s_getpc_b64 s[14:15]
.Lpost_getpc2517:
	s_add_u32 s14, s14, (.LBB1_946-.Lpost_getpc2517)&4294967295
	s_addc_u32 s15, s15, (.LBB1_946-.Lpost_getpc2517)>>32
	s_setpc_b64 s[14:15]
.LBB1_5044:
	v_cmp_ne_u16_e32 vcc, 0, v16
	s_andn2_b64 s[4:5], s[4:5], exec
	s_and_b64 s[8:9], vcc, exec
	v_mov_b32_e32 v12, 0
	s_or_b64 s[4:5], s[4:5], s[8:9]
	s_or_b64 exec, exec, s[6:7]
	s_and_saveexec_b64 s[6:7], s[4:5]
	s_cbranch_execz .LBB1_8665
; %bb.13229:
	s_getpc_b64 s[14:15]
.Lpost_getpc2518:
	s_add_u32 s14, s14, (.LBB1_947-.Lpost_getpc2518)&4294967295
	s_addc_u32 s15, s15, (.LBB1_947-.Lpost_getpc2518)>>32
	s_setpc_b64 s[14:15]
.LBB1_8665:
	s_getpc_b64 s[14:15]
.Lpost_getpc236:
	s_add_u32 s14, s14, (.LBB1_948-.Lpost_getpc236)&4294967295
	s_addc_u32 s15, s15, (.LBB1_948-.Lpost_getpc236)>>32
	s_setpc_b64 s[14:15]
.LBB1_5045:
	s_movk_i32 s4, 0x80
	v_cmp_eq_u16_e32 vcc, s4, v16
	s_mov_b64 s[4:5], -1
                                        ; implicit-def: $sgpr10
	s_and_saveexec_b64 s[8:9], vcc
; %bb.5046:
	s_mov_b32 s10, 0x7f800001
	s_xor_b64 s[4:5], exec, -1
; %bb.5047:
	s_or_b64 exec, exec, s[8:9]
	s_and_b64 s[4:5], s[4:5], exec
                                        ; implicit-def: $vgpr16
	s_or_saveexec_b64 s[6:7], s[6:7]
	v_mov_b32_e32 v21, s10
	s_xor_b64 exec, exec, s[6:7]
	s_cbranch_execnz .LBB1_5048
; %bb.13231:
	s_getpc_b64 s[14:15]
.Lpost_getpc2519:
	s_add_u32 s14, s14, (.LBB1_950-.Lpost_getpc2519)&4294967295
	s_addc_u32 s15, s15, (.LBB1_950-.Lpost_getpc2519)>>32
	s_setpc_b64 s[14:15]
.LBB1_5048:
	v_cmp_ne_u16_e32 vcc, 0, v16
	s_andn2_b64 s[4:5], s[4:5], exec
	s_and_b64 s[8:9], vcc, exec
	v_mov_b32_e32 v21, 0
	s_or_b64 s[4:5], s[4:5], s[8:9]
	s_or_b64 exec, exec, s[6:7]
	s_and_saveexec_b64 s[6:7], s[4:5]
	s_cbranch_execz .LBB1_8667
; %bb.13233:
	s_getpc_b64 s[14:15]
.Lpost_getpc2520:
	s_add_u32 s14, s14, (.LBB1_951-.Lpost_getpc2520)&4294967295
	s_addc_u32 s15, s15, (.LBB1_951-.Lpost_getpc2520)>>32
	s_setpc_b64 s[14:15]
.LBB1_8667:
	s_getpc_b64 s[14:15]
.Lpost_getpc237:
	s_add_u32 s14, s14, (.LBB1_952-.Lpost_getpc237)&4294967295
	s_addc_u32 s15, s15, (.LBB1_952-.Lpost_getpc237)>>32
	s_setpc_b64 s[14:15]
.LBB1_5049:
	s_movk_i32 s4, 0x80
	v_cmp_eq_u16_sdwa s[12:13], v17, s4 src0_sel:BYTE_3 src1_sel:DWORD
	s_mov_b64 s[4:5], -1
                                        ; implicit-def: $sgpr10
	s_and_saveexec_b64 s[8:9], s[12:13]
; %bb.5050:
	s_mov_b32 s10, 0x7f800001
	s_xor_b64 s[4:5], exec, -1
; %bb.5051:
	s_or_b64 exec, exec, s[8:9]
	s_and_b64 s[4:5], s[4:5], exec
	s_or_saveexec_b64 s[6:7], s[6:7]
	v_mov_b32_e32 v12, s10
	s_xor_b64 exec, exec, s[6:7]
	s_cbranch_execnz .LBB1_5052
; %bb.13235:
	s_getpc_b64 s[14:15]
.Lpost_getpc2521:
	s_add_u32 s14, s14, (.LBB1_954-.Lpost_getpc2521)&4294967295
	s_addc_u32 s15, s15, (.LBB1_954-.Lpost_getpc2521)>>32
	s_setpc_b64 s[14:15]
.LBB1_5052:
	v_mov_b32_e32 v12, 0
	v_cmp_ne_u16_sdwa s[8:9], v17, v12 src0_sel:BYTE_3 src1_sel:DWORD
	s_andn2_b64 s[4:5], s[4:5], exec
	s_and_b64 s[8:9], s[8:9], exec
	s_or_b64 s[4:5], s[4:5], s[8:9]
	s_or_b64 exec, exec, s[6:7]
	s_and_saveexec_b64 s[6:7], s[4:5]
	s_cbranch_execz .LBB1_8669
; %bb.13237:
	s_getpc_b64 s[14:15]
.Lpost_getpc2522:
	s_add_u32 s14, s14, (.LBB1_955-.Lpost_getpc2522)&4294967295
	s_addc_u32 s15, s15, (.LBB1_955-.Lpost_getpc2522)>>32
	s_setpc_b64 s[14:15]
.LBB1_8669:
	s_getpc_b64 s[14:15]
.Lpost_getpc238:
	s_add_u32 s14, s14, (.LBB1_956-.Lpost_getpc238)&4294967295
	s_addc_u32 s15, s15, (.LBB1_956-.Lpost_getpc238)>>32
	s_setpc_b64 s[14:15]
.LBB1_5053:
	s_movk_i32 s4, 0x80
	v_cmp_eq_u16_sdwa s[12:13], v13, s4 src0_sel:BYTE_3 src1_sel:DWORD
	s_mov_b64 s[4:5], -1
                                        ; implicit-def: $sgpr10
	s_and_saveexec_b64 s[8:9], s[12:13]
; %bb.5054:
	s_mov_b32 s10, 0x7f800001
	s_xor_b64 s[4:5], exec, -1
; %bb.5055:
	s_or_b64 exec, exec, s[8:9]
	s_and_b64 s[4:5], s[4:5], exec
	s_or_saveexec_b64 s[6:7], s[6:7]
	v_mov_b32_e32 v16, s10
	s_xor_b64 exec, exec, s[6:7]
	s_cbranch_execnz .LBB1_5056
; %bb.13239:
	s_getpc_b64 s[14:15]
.Lpost_getpc2523:
	s_add_u32 s14, s14, (.LBB1_958-.Lpost_getpc2523)&4294967295
	s_addc_u32 s15, s15, (.LBB1_958-.Lpost_getpc2523)>>32
	s_setpc_b64 s[14:15]
.LBB1_5056:
	v_mov_b32_e32 v16, 0
	v_cmp_ne_u16_sdwa s[8:9], v13, v16 src0_sel:BYTE_3 src1_sel:DWORD
	s_andn2_b64 s[4:5], s[4:5], exec
	s_and_b64 s[8:9], s[8:9], exec
	s_or_b64 s[4:5], s[4:5], s[8:9]
	s_or_b64 exec, exec, s[6:7]
	s_and_saveexec_b64 s[6:7], s[4:5]
	s_cbranch_execz .LBB1_8671
; %bb.13241:
	s_getpc_b64 s[14:15]
.Lpost_getpc2524:
	s_add_u32 s14, s14, (.LBB1_959-.Lpost_getpc2524)&4294967295
	s_addc_u32 s15, s15, (.LBB1_959-.Lpost_getpc2524)>>32
	s_setpc_b64 s[14:15]
.LBB1_8671:
	s_getpc_b64 s[14:15]
.Lpost_getpc239:
	s_add_u32 s14, s14, (.LBB1_960-.Lpost_getpc239)&4294967295
	s_addc_u32 s15, s15, (.LBB1_960-.Lpost_getpc239)>>32
	s_setpc_b64 s[14:15]
.LBB1_5057:
	s_movk_i32 s4, 0x80
	v_cmp_eq_u16_sdwa s[12:13], v18, s4 src0_sel:BYTE_0 src1_sel:DWORD
	s_mov_b64 s[4:5], -1
                                        ; implicit-def: $sgpr10
	s_and_saveexec_b64 s[8:9], s[12:13]
; %bb.5058:
	s_mov_b32 s10, 0x7f800001
	s_xor_b64 s[4:5], exec, -1
; %bb.5059:
	s_or_b64 exec, exec, s[8:9]
	s_and_b64 s[4:5], s[4:5], exec
	s_or_saveexec_b64 s[6:7], s[6:7]
	v_mov_b32_e32 v13, s10
	s_xor_b64 exec, exec, s[6:7]
	s_cbranch_execnz .LBB1_5060
; %bb.13243:
	s_getpc_b64 s[14:15]
.Lpost_getpc2525:
	s_add_u32 s14, s14, (.LBB1_962-.Lpost_getpc2525)&4294967295
	s_addc_u32 s15, s15, (.LBB1_962-.Lpost_getpc2525)>>32
	s_setpc_b64 s[14:15]
.LBB1_5060:
	v_mov_b32_e32 v13, 0
	v_cmp_ne_u16_sdwa s[8:9], v18, v13 src0_sel:BYTE_0 src1_sel:DWORD
	s_andn2_b64 s[4:5], s[4:5], exec
	s_and_b64 s[8:9], s[8:9], exec
	s_or_b64 s[4:5], s[4:5], s[8:9]
	s_or_b64 exec, exec, s[6:7]
	s_and_saveexec_b64 s[6:7], s[4:5]
	s_cbranch_execz .LBB1_8673
; %bb.13245:
	s_getpc_b64 s[14:15]
.Lpost_getpc2526:
	s_add_u32 s14, s14, (.LBB1_963-.Lpost_getpc2526)&4294967295
	s_addc_u32 s15, s15, (.LBB1_963-.Lpost_getpc2526)>>32
	s_setpc_b64 s[14:15]
.LBB1_8673:
	s_getpc_b64 s[14:15]
.Lpost_getpc240:
	s_add_u32 s14, s14, (.LBB1_964-.Lpost_getpc240)&4294967295
	s_addc_u32 s15, s15, (.LBB1_964-.Lpost_getpc240)>>32
	s_setpc_b64 s[14:15]
.LBB1_5061:
	s_movk_i32 s4, 0x80
	v_cmp_eq_u16_sdwa s[12:13], v16, s4 src0_sel:BYTE_0 src1_sel:DWORD
	s_mov_b64 s[4:5], -1
                                        ; implicit-def: $sgpr10
	s_and_saveexec_b64 s[8:9], s[12:13]
; %bb.5062:
	s_mov_b32 s10, 0x7f800001
	s_xor_b64 s[4:5], exec, -1
; %bb.5063:
	s_or_b64 exec, exec, s[8:9]
	s_and_b64 s[4:5], s[4:5], exec
	s_or_saveexec_b64 s[6:7], s[6:7]
	v_mov_b32_e32 v14, s10
	s_xor_b64 exec, exec, s[6:7]
	s_cbranch_execnz .LBB1_5064
; %bb.13247:
	s_getpc_b64 s[14:15]
.Lpost_getpc2527:
	s_add_u32 s14, s14, (.LBB1_966-.Lpost_getpc2527)&4294967295
	s_addc_u32 s15, s15, (.LBB1_966-.Lpost_getpc2527)>>32
	s_setpc_b64 s[14:15]
.LBB1_5064:
	v_mov_b32_e32 v14, 0
	v_cmp_ne_u16_sdwa s[8:9], v16, v14 src0_sel:BYTE_0 src1_sel:DWORD
	s_andn2_b64 s[4:5], s[4:5], exec
	s_and_b64 s[8:9], s[8:9], exec
	s_or_b64 s[4:5], s[4:5], s[8:9]
	s_or_b64 exec, exec, s[6:7]
	v_or_b32_sdwa v12, v16, v12 dst_sel:DWORD dst_unused:UNUSED_PAD src0_sel:WORD_0 src1_sel:DWORD
	s_and_saveexec_b64 s[6:7], s[4:5]
	s_cbranch_execz .LBB1_8675
; %bb.13249:
	s_getpc_b64 s[14:15]
.Lpost_getpc2528:
	s_add_u32 s14, s14, (.LBB1_967-.Lpost_getpc2528)&4294967295
	s_addc_u32 s15, s15, (.LBB1_967-.Lpost_getpc2528)>>32
	s_setpc_b64 s[14:15]
.LBB1_8675:
	s_getpc_b64 s[14:15]
.Lpost_getpc241:
	s_add_u32 s14, s14, (.LBB1_968-.Lpost_getpc241)&4294967295
	s_addc_u32 s15, s15, (.LBB1_968-.Lpost_getpc241)>>32
	s_setpc_b64 s[14:15]
.LBB1_5065:
	s_movk_i32 s4, 0x80
	v_cmp_eq_u16_sdwa s[12:13], v14, s4 src0_sel:BYTE_0 src1_sel:DWORD
	s_mov_b64 s[4:5], -1
                                        ; implicit-def: $sgpr10
	s_and_saveexec_b64 s[8:9], s[12:13]
; %bb.5066:
	s_mov_b32 s10, 0x7f800001
	s_xor_b64 s[4:5], exec, -1
; %bb.5067:
	s_or_b64 exec, exec, s[8:9]
	s_and_b64 s[4:5], s[4:5], exec
	s_or_saveexec_b64 s[6:7], s[6:7]
	v_mov_b32_e32 v13, s10
	s_xor_b64 exec, exec, s[6:7]
	s_cbranch_execnz .LBB1_5068
; %bb.13251:
	s_getpc_b64 s[14:15]
.Lpost_getpc2529:
	s_add_u32 s14, s14, (.LBB1_970-.Lpost_getpc2529)&4294967295
	s_addc_u32 s15, s15, (.LBB1_970-.Lpost_getpc2529)>>32
	s_setpc_b64 s[14:15]
.LBB1_5068:
	v_mov_b32_e32 v13, 0
	v_cmp_ne_u16_sdwa s[8:9], v14, v13 src0_sel:BYTE_0 src1_sel:DWORD
	s_andn2_b64 s[4:5], s[4:5], exec
	s_and_b64 s[8:9], s[8:9], exec
	s_or_b64 s[4:5], s[4:5], s[8:9]
	s_or_b64 exec, exec, s[6:7]
	s_and_saveexec_b64 s[6:7], s[4:5]
	s_cbranch_execz .LBB1_8677
; %bb.13253:
	s_getpc_b64 s[14:15]
.Lpost_getpc2530:
	s_add_u32 s14, s14, (.LBB1_971-.Lpost_getpc2530)&4294967295
	s_addc_u32 s15, s15, (.LBB1_971-.Lpost_getpc2530)>>32
	s_setpc_b64 s[14:15]
.LBB1_8677:
	s_getpc_b64 s[14:15]
.Lpost_getpc242:
	s_add_u32 s14, s14, (.LBB1_972-.Lpost_getpc242)&4294967295
	s_addc_u32 s15, s15, (.LBB1_972-.Lpost_getpc242)>>32
	s_setpc_b64 s[14:15]
.LBB1_5069:
	s_movk_i32 s4, 0x80
	v_cmp_eq_u16_sdwa s[12:13], v14, s4 src0_sel:BYTE_0 src1_sel:DWORD
	s_mov_b64 s[4:5], -1
                                        ; implicit-def: $sgpr10
	s_and_saveexec_b64 s[8:9], s[12:13]
; %bb.5070:
	s_mov_b32 s10, 0x7f800001
	s_xor_b64 s[4:5], exec, -1
; %bb.5071:
	s_or_b64 exec, exec, s[8:9]
	s_and_b64 s[4:5], s[4:5], exec
	s_or_saveexec_b64 s[6:7], s[6:7]
	v_mov_b32_e32 v16, s10
	s_xor_b64 exec, exec, s[6:7]
	s_cbranch_execnz .LBB1_5072
; %bb.13255:
	s_getpc_b64 s[14:15]
.Lpost_getpc2531:
	s_add_u32 s14, s14, (.LBB1_974-.Lpost_getpc2531)&4294967295
	s_addc_u32 s15, s15, (.LBB1_974-.Lpost_getpc2531)>>32
	s_setpc_b64 s[14:15]
.LBB1_5072:
	v_mov_b32_e32 v16, 0
	v_cmp_ne_u16_sdwa s[8:9], v14, v16 src0_sel:BYTE_0 src1_sel:DWORD
	s_andn2_b64 s[4:5], s[4:5], exec
	s_and_b64 s[8:9], s[8:9], exec
	s_or_b64 s[4:5], s[4:5], s[8:9]
	s_or_b64 exec, exec, s[6:7]
	s_and_saveexec_b64 s[6:7], s[4:5]
	s_cbranch_execz .LBB1_8679
; %bb.13257:
	s_getpc_b64 s[14:15]
.Lpost_getpc2532:
	s_add_u32 s14, s14, (.LBB1_975-.Lpost_getpc2532)&4294967295
	s_addc_u32 s15, s15, (.LBB1_975-.Lpost_getpc2532)>>32
	s_setpc_b64 s[14:15]
.LBB1_8679:
	s_getpc_b64 s[14:15]
.Lpost_getpc243:
	s_add_u32 s14, s14, (.LBB1_976-.Lpost_getpc243)&4294967295
	s_addc_u32 s15, s15, (.LBB1_976-.Lpost_getpc243)>>32
	s_setpc_b64 s[14:15]
.LBB1_5073:
	s_movk_i32 s4, 0x80
	v_cmp_eq_u16_e32 vcc, s4, v14
	s_mov_b64 s[4:5], -1
                                        ; implicit-def: $sgpr10
	s_and_saveexec_b64 s[8:9], vcc
; %bb.5074:
	s_mov_b32 s10, 0x7f800001
	s_xor_b64 s[4:5], exec, -1
; %bb.5075:
	s_or_b64 exec, exec, s[8:9]
	s_and_b64 s[4:5], s[4:5], exec
                                        ; implicit-def: $vgpr14
	s_or_saveexec_b64 s[6:7], s[6:7]
	v_mov_b32_e32 v13, s10
	s_xor_b64 exec, exec, s[6:7]
	s_cbranch_execnz .LBB1_5076
; %bb.13259:
	s_getpc_b64 s[14:15]
.Lpost_getpc2533:
	s_add_u32 s14, s14, (.LBB1_978-.Lpost_getpc2533)&4294967295
	s_addc_u32 s15, s15, (.LBB1_978-.Lpost_getpc2533)>>32
	s_setpc_b64 s[14:15]
.LBB1_5076:
	v_cmp_ne_u16_e32 vcc, 0, v14
	s_andn2_b64 s[4:5], s[4:5], exec
	s_and_b64 s[8:9], vcc, exec
	v_mov_b32_e32 v13, 0
	s_or_b64 s[4:5], s[4:5], s[8:9]
	s_or_b64 exec, exec, s[6:7]
	s_and_saveexec_b64 s[6:7], s[4:5]
	s_cbranch_execz .LBB1_8681
; %bb.13261:
	s_getpc_b64 s[14:15]
.Lpost_getpc2534:
	s_add_u32 s14, s14, (.LBB1_979-.Lpost_getpc2534)&4294967295
	s_addc_u32 s15, s15, (.LBB1_979-.Lpost_getpc2534)>>32
	s_setpc_b64 s[14:15]
.LBB1_8681:
	s_getpc_b64 s[14:15]
.Lpost_getpc244:
	s_add_u32 s14, s14, (.LBB1_980-.Lpost_getpc244)&4294967295
	s_addc_u32 s15, s15, (.LBB1_980-.Lpost_getpc244)>>32
	s_setpc_b64 s[14:15]
.LBB1_5077:
	s_movk_i32 s4, 0x80
	v_cmp_eq_u16_e32 vcc, s4, v14
	s_mov_b64 s[4:5], -1
                                        ; implicit-def: $sgpr10
	s_and_saveexec_b64 s[8:9], vcc
; %bb.5078:
	s_mov_b32 s10, 0x7f800001
	s_xor_b64 s[4:5], exec, -1
; %bb.5079:
	s_or_b64 exec, exec, s[8:9]
	s_and_b64 s[4:5], s[4:5], exec
                                        ; implicit-def: $vgpr14
	s_or_saveexec_b64 s[6:7], s[6:7]
	v_mov_b32_e32 v16, s10
	s_xor_b64 exec, exec, s[6:7]
	s_cbranch_execnz .LBB1_5080
; %bb.13263:
	s_getpc_b64 s[14:15]
.Lpost_getpc2535:
	s_add_u32 s14, s14, (.LBB1_982-.Lpost_getpc2535)&4294967295
	s_addc_u32 s15, s15, (.LBB1_982-.Lpost_getpc2535)>>32
	s_setpc_b64 s[14:15]
.LBB1_5080:
	v_cmp_ne_u16_e32 vcc, 0, v14
	s_andn2_b64 s[4:5], s[4:5], exec
	s_and_b64 s[8:9], vcc, exec
	v_mov_b32_e32 v16, 0
	s_or_b64 s[4:5], s[4:5], s[8:9]
	s_or_b64 exec, exec, s[6:7]
	s_and_saveexec_b64 s[6:7], s[4:5]
	s_cbranch_execz .LBB1_8683
; %bb.13265:
	s_getpc_b64 s[14:15]
.Lpost_getpc2536:
	s_add_u32 s14, s14, (.LBB1_983-.Lpost_getpc2536)&4294967295
	s_addc_u32 s15, s15, (.LBB1_983-.Lpost_getpc2536)>>32
	s_setpc_b64 s[14:15]
.LBB1_8683:
	s_getpc_b64 s[14:15]
.Lpost_getpc245:
	s_add_u32 s14, s14, (.LBB1_984-.Lpost_getpc245)&4294967295
	s_addc_u32 s15, s15, (.LBB1_984-.Lpost_getpc245)>>32
	s_setpc_b64 s[14:15]
.LBB1_5081:
	s_movk_i32 s4, 0x80
	v_cmp_eq_u16_sdwa s[12:13], v18, s4 src0_sel:BYTE_3 src1_sel:DWORD
	s_mov_b64 s[4:5], -1
                                        ; implicit-def: $sgpr10
	s_and_saveexec_b64 s[8:9], s[12:13]
; %bb.5082:
	s_mov_b32 s10, 0x7f800001
	s_xor_b64 s[4:5], exec, -1
; %bb.5083:
	s_or_b64 exec, exec, s[8:9]
	s_and_b64 s[4:5], s[4:5], exec
	s_or_saveexec_b64 s[6:7], s[6:7]
	v_mov_b32_e32 v13, s10
	s_xor_b64 exec, exec, s[6:7]
	s_cbranch_execnz .LBB1_5084
; %bb.13267:
	s_getpc_b64 s[14:15]
.Lpost_getpc2537:
	s_add_u32 s14, s14, (.LBB1_986-.Lpost_getpc2537)&4294967295
	s_addc_u32 s15, s15, (.LBB1_986-.Lpost_getpc2537)>>32
	s_setpc_b64 s[14:15]
.LBB1_5084:
	v_mov_b32_e32 v13, 0
	v_cmp_ne_u16_sdwa s[8:9], v18, v13 src0_sel:BYTE_3 src1_sel:DWORD
	s_andn2_b64 s[4:5], s[4:5], exec
	s_and_b64 s[8:9], s[8:9], exec
	s_or_b64 s[4:5], s[4:5], s[8:9]
	s_or_b64 exec, exec, s[6:7]
	s_and_saveexec_b64 s[6:7], s[4:5]
	s_cbranch_execz .LBB1_8685
; %bb.13269:
	s_getpc_b64 s[14:15]
.Lpost_getpc2538:
	s_add_u32 s14, s14, (.LBB1_987-.Lpost_getpc2538)&4294967295
	s_addc_u32 s15, s15, (.LBB1_987-.Lpost_getpc2538)>>32
	s_setpc_b64 s[14:15]
.LBB1_8685:
	s_getpc_b64 s[14:15]
.Lpost_getpc246:
	s_add_u32 s14, s14, (.LBB1_988-.Lpost_getpc246)&4294967295
	s_addc_u32 s15, s15, (.LBB1_988-.Lpost_getpc246)>>32
	s_setpc_b64 s[14:15]
.LBB1_5085:
	s_movk_i32 s4, 0x80
	v_cmp_eq_u16_sdwa s[12:13], v12, s4 src0_sel:BYTE_3 src1_sel:DWORD
	s_mov_b64 s[4:5], -1
                                        ; implicit-def: $sgpr10
	s_and_saveexec_b64 s[8:9], s[12:13]
; %bb.5086:
	s_mov_b32 s10, 0x7f800001
	s_xor_b64 s[4:5], exec, -1
; %bb.5087:
	s_or_b64 exec, exec, s[8:9]
	s_and_b64 s[4:5], s[4:5], exec
	s_or_saveexec_b64 s[6:7], s[6:7]
	v_mov_b32_e32 v14, s10
	s_xor_b64 exec, exec, s[6:7]
	s_cbranch_execnz .LBB1_5088
; %bb.13271:
	s_getpc_b64 s[14:15]
.Lpost_getpc2539:
	s_add_u32 s14, s14, (.LBB1_990-.Lpost_getpc2539)&4294967295
	s_addc_u32 s15, s15, (.LBB1_990-.Lpost_getpc2539)>>32
	s_setpc_b64 s[14:15]
.LBB1_5088:
	v_mov_b32_e32 v14, 0
	v_cmp_ne_u16_sdwa s[8:9], v12, v14 src0_sel:BYTE_3 src1_sel:DWORD
	s_andn2_b64 s[4:5], s[4:5], exec
	s_and_b64 s[8:9], s[8:9], exec
	s_or_b64 s[4:5], s[4:5], s[8:9]
	s_or_b64 exec, exec, s[6:7]
	s_and_saveexec_b64 s[6:7], s[4:5]
	s_cbranch_execz .LBB1_8687
; %bb.13273:
	s_getpc_b64 s[14:15]
.Lpost_getpc2540:
	s_add_u32 s14, s14, (.LBB1_991-.Lpost_getpc2540)&4294967295
	s_addc_u32 s15, s15, (.LBB1_991-.Lpost_getpc2540)>>32
	s_setpc_b64 s[14:15]
.LBB1_8687:
	s_getpc_b64 s[14:15]
.Lpost_getpc247:
	s_add_u32 s14, s14, (.LBB1_992-.Lpost_getpc247)&4294967295
	s_addc_u32 s15, s15, (.LBB1_992-.Lpost_getpc247)>>32
	s_setpc_b64 s[14:15]
.LBB1_5089:
	s_movk_i32 s4, 0x80
	v_cmp_eq_u16_sdwa s[12:13], v19, s4 src0_sel:BYTE_0 src1_sel:DWORD
	s_mov_b64 s[4:5], -1
                                        ; implicit-def: $sgpr10
	s_and_saveexec_b64 s[8:9], s[12:13]
; %bb.5090:
	s_mov_b32 s10, 0x7f800001
	s_xor_b64 s[4:5], exec, -1
; %bb.5091:
	s_or_b64 exec, exec, s[8:9]
	s_and_b64 s[4:5], s[4:5], exec
	s_or_saveexec_b64 s[6:7], s[6:7]
	v_mov_b32_e32 v12, s10
	s_xor_b64 exec, exec, s[6:7]
	s_cbranch_execnz .LBB1_5092
; %bb.13275:
	s_getpc_b64 s[14:15]
.Lpost_getpc2541:
	s_add_u32 s14, s14, (.LBB1_994-.Lpost_getpc2541)&4294967295
	s_addc_u32 s15, s15, (.LBB1_994-.Lpost_getpc2541)>>32
	s_setpc_b64 s[14:15]
.LBB1_5092:
	v_mov_b32_e32 v12, 0
	v_cmp_ne_u16_sdwa s[8:9], v19, v12 src0_sel:BYTE_0 src1_sel:DWORD
	s_andn2_b64 s[4:5], s[4:5], exec
	s_and_b64 s[8:9], s[8:9], exec
	s_or_b64 s[4:5], s[4:5], s[8:9]
	s_or_b64 exec, exec, s[6:7]
	s_and_saveexec_b64 s[6:7], s[4:5]
	s_cbranch_execz .LBB1_8689
; %bb.13277:
	s_getpc_b64 s[14:15]
.Lpost_getpc2542:
	s_add_u32 s14, s14, (.LBB1_995-.Lpost_getpc2542)&4294967295
	s_addc_u32 s15, s15, (.LBB1_995-.Lpost_getpc2542)>>32
	s_setpc_b64 s[14:15]
.LBB1_8689:
	s_getpc_b64 s[14:15]
.Lpost_getpc248:
	s_add_u32 s14, s14, (.LBB1_996-.Lpost_getpc248)&4294967295
	s_addc_u32 s15, s15, (.LBB1_996-.Lpost_getpc248)>>32
	s_setpc_b64 s[14:15]
.LBB1_5093:
	s_movk_i32 s4, 0x80
	v_cmp_eq_u16_sdwa s[12:13], v15, s4 src0_sel:BYTE_0 src1_sel:DWORD
	s_mov_b64 s[4:5], -1
                                        ; implicit-def: $sgpr10
	s_and_saveexec_b64 s[8:9], s[12:13]
; %bb.5094:
	s_mov_b32 s10, 0x7f800001
	s_xor_b64 s[4:5], exec, -1
; %bb.5095:
	s_or_b64 exec, exec, s[8:9]
	s_and_b64 s[4:5], s[4:5], exec
	s_or_saveexec_b64 s[6:7], s[6:7]
	v_mov_b32_e32 v13, s10
	s_xor_b64 exec, exec, s[6:7]
	s_cbranch_execnz .LBB1_5096
; %bb.13279:
	s_getpc_b64 s[14:15]
.Lpost_getpc2543:
	s_add_u32 s14, s14, (.LBB1_998-.Lpost_getpc2543)&4294967295
	s_addc_u32 s15, s15, (.LBB1_998-.Lpost_getpc2543)>>32
	s_setpc_b64 s[14:15]
.LBB1_5096:
	v_mov_b32_e32 v13, 0
	v_cmp_ne_u16_sdwa s[8:9], v15, v13 src0_sel:BYTE_0 src1_sel:DWORD
	s_andn2_b64 s[4:5], s[4:5], exec
	s_and_b64 s[8:9], s[8:9], exec
	s_or_b64 s[4:5], s[4:5], s[8:9]
	s_or_b64 exec, exec, s[6:7]
	s_and_saveexec_b64 s[6:7], s[4:5]
	s_cbranch_execz .LBB1_8691
; %bb.13281:
	s_getpc_b64 s[14:15]
.Lpost_getpc2544:
	s_add_u32 s14, s14, (.LBB1_999-.Lpost_getpc2544)&4294967295
	s_addc_u32 s15, s15, (.LBB1_999-.Lpost_getpc2544)>>32
	s_setpc_b64 s[14:15]
.LBB1_8691:
	s_getpc_b64 s[14:15]
.Lpost_getpc249:
	s_add_u32 s14, s14, (.LBB1_1000-.Lpost_getpc249)&4294967295
	s_addc_u32 s15, s15, (.LBB1_1000-.Lpost_getpc249)>>32
	s_setpc_b64 s[14:15]
.LBB1_5097:
	s_movk_i32 s4, 0x80
	v_cmp_eq_u16_sdwa s[12:13], v13, s4 src0_sel:BYTE_0 src1_sel:DWORD
	s_mov_b64 s[4:5], -1
                                        ; implicit-def: $sgpr10
	s_and_saveexec_b64 s[8:9], s[12:13]
; %bb.5098:
	s_mov_b32 s10, 0x7f800001
	s_xor_b64 s[4:5], exec, -1
; %bb.5099:
	s_or_b64 exec, exec, s[8:9]
	s_and_b64 s[4:5], s[4:5], exec
	s_or_saveexec_b64 s[6:7], s[6:7]
	v_mov_b32_e32 v12, s10
	s_xor_b64 exec, exec, s[6:7]
	s_cbranch_execnz .LBB1_5100
; %bb.13283:
	s_getpc_b64 s[14:15]
.Lpost_getpc2545:
	s_add_u32 s14, s14, (.LBB1_1002-.Lpost_getpc2545)&4294967295
	s_addc_u32 s15, s15, (.LBB1_1002-.Lpost_getpc2545)>>32
	s_setpc_b64 s[14:15]
.LBB1_5100:
	v_mov_b32_e32 v12, 0
	v_cmp_ne_u16_sdwa s[8:9], v13, v12 src0_sel:BYTE_0 src1_sel:DWORD
	s_andn2_b64 s[4:5], s[4:5], exec
	s_and_b64 s[8:9], s[8:9], exec
	s_or_b64 s[4:5], s[4:5], s[8:9]
	s_or_b64 exec, exec, s[6:7]
	s_and_saveexec_b64 s[6:7], s[4:5]
	s_cbranch_execz .LBB1_8693
; %bb.13285:
	s_getpc_b64 s[14:15]
.Lpost_getpc2546:
	s_add_u32 s14, s14, (.LBB1_1003-.Lpost_getpc2546)&4294967295
	s_addc_u32 s15, s15, (.LBB1_1003-.Lpost_getpc2546)>>32
	s_setpc_b64 s[14:15]
.LBB1_8693:
	s_getpc_b64 s[14:15]
.Lpost_getpc250:
	s_add_u32 s14, s14, (.LBB1_1004-.Lpost_getpc250)&4294967295
	s_addc_u32 s15, s15, (.LBB1_1004-.Lpost_getpc250)>>32
	s_setpc_b64 s[14:15]
.LBB1_5101:
	s_movk_i32 s4, 0x80
	v_cmp_eq_u16_sdwa s[12:13], v13, s4 src0_sel:BYTE_0 src1_sel:DWORD
	s_mov_b64 s[4:5], -1
                                        ; implicit-def: $sgpr10
	s_and_saveexec_b64 s[8:9], s[12:13]
; %bb.5102:
	s_mov_b32 s10, 0x7f800001
	s_xor_b64 s[4:5], exec, -1
; %bb.5103:
	s_or_b64 exec, exec, s[8:9]
	s_and_b64 s[4:5], s[4:5], exec
	s_or_saveexec_b64 s[6:7], s[6:7]
	v_mov_b32_e32 v14, s10
	s_xor_b64 exec, exec, s[6:7]
	s_cbranch_execnz .LBB1_5104
; %bb.13287:
	s_getpc_b64 s[14:15]
.Lpost_getpc2547:
	s_add_u32 s14, s14, (.LBB1_1006-.Lpost_getpc2547)&4294967295
	s_addc_u32 s15, s15, (.LBB1_1006-.Lpost_getpc2547)>>32
	s_setpc_b64 s[14:15]
.LBB1_5104:
	v_mov_b32_e32 v14, 0
	v_cmp_ne_u16_sdwa s[8:9], v13, v14 src0_sel:BYTE_0 src1_sel:DWORD
	s_andn2_b64 s[4:5], s[4:5], exec
	s_and_b64 s[8:9], s[8:9], exec
	s_or_b64 s[4:5], s[4:5], s[8:9]
	s_or_b64 exec, exec, s[6:7]
	s_and_saveexec_b64 s[6:7], s[4:5]
	s_cbranch_execz .LBB1_8695
; %bb.13289:
	s_getpc_b64 s[14:15]
.Lpost_getpc2548:
	s_add_u32 s14, s14, (.LBB1_1007-.Lpost_getpc2548)&4294967295
	s_addc_u32 s15, s15, (.LBB1_1007-.Lpost_getpc2548)>>32
	s_setpc_b64 s[14:15]
.LBB1_8695:
	s_getpc_b64 s[14:15]
.Lpost_getpc251:
	s_add_u32 s14, s14, (.LBB1_1008-.Lpost_getpc251)&4294967295
	s_addc_u32 s15, s15, (.LBB1_1008-.Lpost_getpc251)>>32
	s_setpc_b64 s[14:15]
.LBB1_5105:
	s_movk_i32 s4, 0x80
	v_cmp_eq_u16_e32 vcc, s4, v13
	s_mov_b64 s[4:5], -1
                                        ; implicit-def: $sgpr10
	s_and_saveexec_b64 s[8:9], vcc
; %bb.5106:
	s_mov_b32 s10, 0x7f800001
	s_xor_b64 s[4:5], exec, -1
; %bb.5107:
	s_or_b64 exec, exec, s[8:9]
	s_and_b64 s[4:5], s[4:5], exec
                                        ; implicit-def: $vgpr13
	s_or_saveexec_b64 s[6:7], s[6:7]
	v_mov_b32_e32 v12, s10
	s_xor_b64 exec, exec, s[6:7]
	s_cbranch_execnz .LBB1_5108
; %bb.13291:
	s_getpc_b64 s[14:15]
.Lpost_getpc2549:
	s_add_u32 s14, s14, (.LBB1_1010-.Lpost_getpc2549)&4294967295
	s_addc_u32 s15, s15, (.LBB1_1010-.Lpost_getpc2549)>>32
	s_setpc_b64 s[14:15]
.LBB1_5108:
	v_cmp_ne_u16_e32 vcc, 0, v13
	s_andn2_b64 s[4:5], s[4:5], exec
	s_and_b64 s[8:9], vcc, exec
	v_mov_b32_e32 v12, 0
	s_or_b64 s[4:5], s[4:5], s[8:9]
	s_or_b64 exec, exec, s[6:7]
	s_and_saveexec_b64 s[6:7], s[4:5]
	s_cbranch_execz .LBB1_8697
; %bb.13293:
	s_getpc_b64 s[14:15]
.Lpost_getpc2550:
	s_add_u32 s14, s14, (.LBB1_1011-.Lpost_getpc2550)&4294967295
	s_addc_u32 s15, s15, (.LBB1_1011-.Lpost_getpc2550)>>32
	s_setpc_b64 s[14:15]
.LBB1_8697:
	s_getpc_b64 s[14:15]
.Lpost_getpc252:
	s_add_u32 s14, s14, (.LBB1_1012-.Lpost_getpc252)&4294967295
	s_addc_u32 s15, s15, (.LBB1_1012-.Lpost_getpc252)>>32
	s_setpc_b64 s[14:15]
.LBB1_5109:
	s_movk_i32 s4, 0x80
	v_cmp_eq_u16_e32 vcc, s4, v13
	s_mov_b64 s[4:5], -1
                                        ; implicit-def: $sgpr10
	s_and_saveexec_b64 s[8:9], vcc
; %bb.5110:
	s_mov_b32 s10, 0x7f800001
	s_xor_b64 s[4:5], exec, -1
; %bb.5111:
	s_or_b64 exec, exec, s[8:9]
	s_and_b64 s[4:5], s[4:5], exec
                                        ; implicit-def: $vgpr13
	s_or_saveexec_b64 s[6:7], s[6:7]
	v_mov_b32_e32 v14, s10
	s_xor_b64 exec, exec, s[6:7]
	s_cbranch_execnz .LBB1_5112
; %bb.13295:
	s_getpc_b64 s[14:15]
.Lpost_getpc2551:
	s_add_u32 s14, s14, (.LBB1_1014-.Lpost_getpc2551)&4294967295
	s_addc_u32 s15, s15, (.LBB1_1014-.Lpost_getpc2551)>>32
	s_setpc_b64 s[14:15]
.LBB1_5112:
	v_cmp_ne_u16_e32 vcc, 0, v13
	s_andn2_b64 s[4:5], s[4:5], exec
	s_and_b64 s[8:9], vcc, exec
	v_mov_b32_e32 v14, 0
	s_or_b64 s[4:5], s[4:5], s[8:9]
	s_or_b64 exec, exec, s[6:7]
	s_and_saveexec_b64 s[6:7], s[4:5]
	s_cbranch_execz .LBB1_8699
; %bb.13297:
	s_getpc_b64 s[14:15]
.Lpost_getpc2552:
	s_add_u32 s14, s14, (.LBB1_1015-.Lpost_getpc2552)&4294967295
	s_addc_u32 s15, s15, (.LBB1_1015-.Lpost_getpc2552)>>32
	s_setpc_b64 s[14:15]
.LBB1_8699:
	s_getpc_b64 s[14:15]
.Lpost_getpc253:
	s_add_u32 s14, s14, (.LBB1_1016-.Lpost_getpc253)&4294967295
	s_addc_u32 s15, s15, (.LBB1_1016-.Lpost_getpc253)>>32
	s_setpc_b64 s[14:15]
.LBB1_5113:
	s_movk_i32 s4, 0x80
	v_cmp_eq_u16_sdwa s[12:13], v19, s4 src0_sel:BYTE_3 src1_sel:DWORD
	s_mov_b64 s[4:5], -1
                                        ; implicit-def: $sgpr10
	s_and_saveexec_b64 s[8:9], s[12:13]
; %bb.5114:
	s_mov_b32 s10, 0x7f800001
	s_xor_b64 s[4:5], exec, -1
; %bb.5115:
	s_or_b64 exec, exec, s[8:9]
	s_and_b64 s[4:5], s[4:5], exec
	s_or_saveexec_b64 s[6:7], s[6:7]
	v_mov_b32_e32 v12, s10
	s_xor_b64 exec, exec, s[6:7]
	s_cbranch_execnz .LBB1_5116
; %bb.13299:
	s_getpc_b64 s[14:15]
.Lpost_getpc2553:
	s_add_u32 s14, s14, (.LBB1_1018-.Lpost_getpc2553)&4294967295
	s_addc_u32 s15, s15, (.LBB1_1018-.Lpost_getpc2553)>>32
	s_setpc_b64 s[14:15]
.LBB1_5116:
	v_mov_b32_e32 v12, 0
	v_cmp_ne_u16_sdwa s[8:9], v19, v12 src0_sel:BYTE_3 src1_sel:DWORD
	s_andn2_b64 s[4:5], s[4:5], exec
	s_and_b64 s[8:9], s[8:9], exec
	s_or_b64 s[4:5], s[4:5], s[8:9]
	s_or_b64 exec, exec, s[6:7]
	s_and_saveexec_b64 s[6:7], s[4:5]
	s_cbranch_execz .LBB1_8701
; %bb.13301:
	s_getpc_b64 s[14:15]
.Lpost_getpc2554:
	s_add_u32 s14, s14, (.LBB1_1019-.Lpost_getpc2554)&4294967295
	s_addc_u32 s15, s15, (.LBB1_1019-.Lpost_getpc2554)>>32
	s_setpc_b64 s[14:15]
.LBB1_8701:
	s_getpc_b64 s[14:15]
.Lpost_getpc254:
	s_add_u32 s14, s14, (.LBB1_1020-.Lpost_getpc254)&4294967295
	s_addc_u32 s15, s15, (.LBB1_1020-.Lpost_getpc254)>>32
	s_setpc_b64 s[14:15]
.LBB1_5117:
	s_movk_i32 s4, 0x80
	v_cmp_eq_u16_sdwa s[12:13], v15, s4 src0_sel:BYTE_3 src1_sel:DWORD
	s_mov_b64 s[4:5], -1
                                        ; implicit-def: $sgpr10
	s_and_saveexec_b64 s[8:9], s[12:13]
; %bb.5118:
	s_mov_b32 s10, 0x7f800001
	s_xor_b64 s[4:5], exec, -1
; %bb.5119:
	s_or_b64 exec, exec, s[8:9]
	s_and_b64 s[4:5], s[4:5], exec
	s_or_saveexec_b64 s[6:7], s[6:7]
	v_mov_b32_e32 v13, s10
	s_xor_b64 exec, exec, s[6:7]
	s_cbranch_execnz .LBB1_5120
; %bb.13303:
	s_getpc_b64 s[14:15]
.Lpost_getpc2555:
	s_add_u32 s14, s14, (.LBB1_1022-.Lpost_getpc2555)&4294967295
	s_addc_u32 s15, s15, (.LBB1_1022-.Lpost_getpc2555)>>32
	s_setpc_b64 s[14:15]
.LBB1_5120:
	v_mov_b32_e32 v13, 0
	v_cmp_ne_u16_sdwa s[8:9], v15, v13 src0_sel:BYTE_3 src1_sel:DWORD
	s_andn2_b64 s[4:5], s[4:5], exec
	s_and_b64 s[8:9], s[8:9], exec
	s_or_b64 s[4:5], s[4:5], s[8:9]
	s_or_b64 exec, exec, s[6:7]
	s_and_saveexec_b64 s[6:7], s[4:5]
	s_cbranch_execz .LBB1_8703
; %bb.13305:
	s_getpc_b64 s[14:15]
.Lpost_getpc2556:
	s_add_u32 s14, s14, (.LBB1_1023-.Lpost_getpc2556)&4294967295
	s_addc_u32 s15, s15, (.LBB1_1023-.Lpost_getpc2556)>>32
	s_setpc_b64 s[14:15]
.LBB1_8703:
	s_getpc_b64 s[14:15]
.Lpost_getpc255:
	s_add_u32 s14, s14, (.LBB1_1024-.Lpost_getpc255)&4294967295
	s_addc_u32 s15, s15, (.LBB1_1024-.Lpost_getpc255)>>32
	s_setpc_b64 s[14:15]
.LBB1_5121:
	s_movk_i32 s4, 0x80
	v_cmp_eq_u16_sdwa s[12:13], v16, s4 src0_sel:BYTE_0 src1_sel:DWORD
	s_mov_b64 s[4:5], -1
                                        ; implicit-def: $sgpr10
	s_and_saveexec_b64 s[8:9], s[12:13]
; %bb.5122:
	s_mov_b32 s10, 0x7f800001
	s_xor_b64 s[4:5], exec, -1
; %bb.5123:
	s_or_b64 exec, exec, s[8:9]
	s_and_b64 s[4:5], s[4:5], exec
	s_or_saveexec_b64 s[6:7], s[6:7]
	v_mov_b32_e32 v21, s10
	s_xor_b64 exec, exec, s[6:7]
	s_cbranch_execnz .LBB1_5124
; %bb.13307:
	s_getpc_b64 s[14:15]
.Lpost_getpc2557:
	s_add_u32 s14, s14, (.LBB1_1026-.Lpost_getpc2557)&4294967295
	s_addc_u32 s15, s15, (.LBB1_1026-.Lpost_getpc2557)>>32
	s_setpc_b64 s[14:15]
.LBB1_5124:
	v_mov_b32_e32 v21, 0
	v_cmp_ne_u16_sdwa s[8:9], v16, v21 src0_sel:BYTE_0 src1_sel:DWORD
	s_andn2_b64 s[4:5], s[4:5], exec
	s_and_b64 s[8:9], s[8:9], exec
	s_or_b64 s[4:5], s[4:5], s[8:9]
	s_or_b64 exec, exec, s[6:7]
	s_and_saveexec_b64 s[6:7], s[4:5]
	s_cbranch_execz .LBB1_8705
; %bb.13309:
	s_getpc_b64 s[14:15]
.Lpost_getpc2558:
	s_add_u32 s14, s14, (.LBB1_1027-.Lpost_getpc2558)&4294967295
	s_addc_u32 s15, s15, (.LBB1_1027-.Lpost_getpc2558)>>32
	s_setpc_b64 s[14:15]
.LBB1_8705:
	s_getpc_b64 s[14:15]
.Lpost_getpc256:
	s_add_u32 s14, s14, (.LBB1_1028-.Lpost_getpc256)&4294967295
	s_addc_u32 s15, s15, (.LBB1_1028-.Lpost_getpc256)>>32
	s_setpc_b64 s[14:15]
.LBB1_5125:
	s_movk_i32 s4, 0x80
	v_cmp_eq_u16_sdwa s[12:13], v12, s4 src0_sel:BYTE_0 src1_sel:DWORD
	s_mov_b64 s[4:5], -1
                                        ; implicit-def: $sgpr10
	s_and_saveexec_b64 s[8:9], s[12:13]
; %bb.5126:
	s_mov_b32 s10, 0x7f800001
	s_xor_b64 s[4:5], exec, -1
; %bb.5127:
	s_or_b64 exec, exec, s[8:9]
	s_and_b64 s[4:5], s[4:5], exec
	s_or_saveexec_b64 s[6:7], s[6:7]
	v_mov_b32_e32 v22, s10
	s_xor_b64 exec, exec, s[6:7]
	s_cbranch_execnz .LBB1_5128
; %bb.13311:
	s_getpc_b64 s[14:15]
.Lpost_getpc2559:
	s_add_u32 s14, s14, (.LBB1_1030-.Lpost_getpc2559)&4294967295
	s_addc_u32 s15, s15, (.LBB1_1030-.Lpost_getpc2559)>>32
	s_setpc_b64 s[14:15]
.LBB1_5128:
	v_mov_b32_e32 v22, 0
	v_cmp_ne_u16_sdwa s[8:9], v12, v22 src0_sel:BYTE_0 src1_sel:DWORD
	s_andn2_b64 s[4:5], s[4:5], exec
	s_and_b64 s[8:9], s[8:9], exec
	s_or_b64 s[4:5], s[4:5], s[8:9]
	s_or_b64 exec, exec, s[6:7]
	s_and_saveexec_b64 s[6:7], s[4:5]
	s_cbranch_execz .LBB1_8707
; %bb.13313:
	s_getpc_b64 s[14:15]
.Lpost_getpc2560:
	s_add_u32 s14, s14, (.LBB1_1031-.Lpost_getpc2560)&4294967295
	s_addc_u32 s15, s15, (.LBB1_1031-.Lpost_getpc2560)>>32
	s_setpc_b64 s[14:15]
.LBB1_8707:
	s_getpc_b64 s[14:15]
.Lpost_getpc257:
	s_add_u32 s14, s14, (.LBB1_1032-.Lpost_getpc257)&4294967295
	s_addc_u32 s15, s15, (.LBB1_1032-.Lpost_getpc257)>>32
	s_setpc_b64 s[14:15]
.LBB1_5129:
	s_movk_i32 s4, 0x80
	v_cmp_eq_u16_sdwa s[12:13], v22, s4 src0_sel:BYTE_0 src1_sel:DWORD
	s_mov_b64 s[4:5], -1
                                        ; implicit-def: $sgpr10
	s_and_saveexec_b64 s[8:9], s[12:13]
; %bb.5130:
	s_mov_b32 s10, 0x7f800001
	s_xor_b64 s[4:5], exec, -1
; %bb.5131:
	s_or_b64 exec, exec, s[8:9]
	s_and_b64 s[4:5], s[4:5], exec
	s_or_saveexec_b64 s[6:7], s[6:7]
	v_mov_b32_e32 v21, s10
	s_xor_b64 exec, exec, s[6:7]
	s_cbranch_execnz .LBB1_5132
; %bb.13315:
	s_getpc_b64 s[14:15]
.Lpost_getpc2561:
	s_add_u32 s14, s14, (.LBB1_1034-.Lpost_getpc2561)&4294967295
	s_addc_u32 s15, s15, (.LBB1_1034-.Lpost_getpc2561)>>32
	s_setpc_b64 s[14:15]
.LBB1_5132:
	v_mov_b32_e32 v21, 0
	v_cmp_ne_u16_sdwa s[8:9], v22, v21 src0_sel:BYTE_0 src1_sel:DWORD
	s_andn2_b64 s[4:5], s[4:5], exec
	s_and_b64 s[8:9], s[8:9], exec
	s_or_b64 s[4:5], s[4:5], s[8:9]
	s_or_b64 exec, exec, s[6:7]
	s_and_saveexec_b64 s[6:7], s[4:5]
	s_cbranch_execz .LBB1_8709
; %bb.13317:
	s_getpc_b64 s[14:15]
.Lpost_getpc2562:
	s_add_u32 s14, s14, (.LBB1_1035-.Lpost_getpc2562)&4294967295
	s_addc_u32 s15, s15, (.LBB1_1035-.Lpost_getpc2562)>>32
	s_setpc_b64 s[14:15]
.LBB1_8709:
	s_getpc_b64 s[14:15]
.Lpost_getpc258:
	s_add_u32 s14, s14, (.LBB1_1036-.Lpost_getpc258)&4294967295
	s_addc_u32 s15, s15, (.LBB1_1036-.Lpost_getpc258)>>32
	s_setpc_b64 s[14:15]
.LBB1_5133:
	s_movk_i32 s4, 0x80
	v_cmp_eq_u16_sdwa s[12:13], v22, s4 src0_sel:BYTE_0 src1_sel:DWORD
	s_mov_b64 s[4:5], -1
                                        ; implicit-def: $sgpr10
	s_and_saveexec_b64 s[8:9], s[12:13]
; %bb.5134:
	s_mov_b32 s10, 0x7f800001
	s_xor_b64 s[4:5], exec, -1
; %bb.5135:
	s_or_b64 exec, exec, s[8:9]
	s_and_b64 s[4:5], s[4:5], exec
	s_or_saveexec_b64 s[6:7], s[6:7]
	v_mov_b32_e32 v23, s10
	s_xor_b64 exec, exec, s[6:7]
	s_cbranch_execnz .LBB1_5136
; %bb.13319:
	s_getpc_b64 s[14:15]
.Lpost_getpc2563:
	s_add_u32 s14, s14, (.LBB1_1038-.Lpost_getpc2563)&4294967295
	s_addc_u32 s15, s15, (.LBB1_1038-.Lpost_getpc2563)>>32
	s_setpc_b64 s[14:15]
.LBB1_5136:
	v_mov_b32_e32 v23, 0
	v_cmp_ne_u16_sdwa s[8:9], v22, v23 src0_sel:BYTE_0 src1_sel:DWORD
	s_andn2_b64 s[4:5], s[4:5], exec
	s_and_b64 s[8:9], s[8:9], exec
	s_or_b64 s[4:5], s[4:5], s[8:9]
	s_or_b64 exec, exec, s[6:7]
	s_and_saveexec_b64 s[6:7], s[4:5]
	s_cbranch_execz .LBB1_8711
; %bb.13321:
	s_getpc_b64 s[14:15]
.Lpost_getpc2564:
	s_add_u32 s14, s14, (.LBB1_1039-.Lpost_getpc2564)&4294967295
	s_addc_u32 s15, s15, (.LBB1_1039-.Lpost_getpc2564)>>32
	s_setpc_b64 s[14:15]
.LBB1_8711:
	s_getpc_b64 s[14:15]
.Lpost_getpc259:
	s_add_u32 s14, s14, (.LBB1_1040-.Lpost_getpc259)&4294967295
	s_addc_u32 s15, s15, (.LBB1_1040-.Lpost_getpc259)>>32
	s_setpc_b64 s[14:15]
.LBB1_5137:
	s_movk_i32 s4, 0x80
	v_cmp_eq_u16_e32 vcc, s4, v22
	s_mov_b64 s[4:5], -1
                                        ; implicit-def: $sgpr10
	s_and_saveexec_b64 s[8:9], vcc
; %bb.5138:
	s_mov_b32 s10, 0x7f800001
	s_xor_b64 s[4:5], exec, -1
; %bb.5139:
	s_or_b64 exec, exec, s[8:9]
	s_and_b64 s[4:5], s[4:5], exec
                                        ; implicit-def: $vgpr22
	s_or_saveexec_b64 s[6:7], s[6:7]
	v_mov_b32_e32 v21, s10
	s_xor_b64 exec, exec, s[6:7]
	s_cbranch_execnz .LBB1_5140
; %bb.13323:
	s_getpc_b64 s[14:15]
.Lpost_getpc2565:
	s_add_u32 s14, s14, (.LBB1_1042-.Lpost_getpc2565)&4294967295
	s_addc_u32 s15, s15, (.LBB1_1042-.Lpost_getpc2565)>>32
	s_setpc_b64 s[14:15]
.LBB1_5140:
	v_cmp_ne_u16_e32 vcc, 0, v22
	s_andn2_b64 s[4:5], s[4:5], exec
	s_and_b64 s[8:9], vcc, exec
	v_mov_b32_e32 v21, 0
	s_or_b64 s[4:5], s[4:5], s[8:9]
	s_or_b64 exec, exec, s[6:7]
	s_and_saveexec_b64 s[6:7], s[4:5]
	s_cbranch_execz .LBB1_8713
; %bb.13325:
	s_getpc_b64 s[14:15]
.Lpost_getpc2566:
	s_add_u32 s14, s14, (.LBB1_1043-.Lpost_getpc2566)&4294967295
	s_addc_u32 s15, s15, (.LBB1_1043-.Lpost_getpc2566)>>32
	s_setpc_b64 s[14:15]
.LBB1_8713:
	s_getpc_b64 s[14:15]
.Lpost_getpc260:
	s_add_u32 s14, s14, (.LBB1_1044-.Lpost_getpc260)&4294967295
	s_addc_u32 s15, s15, (.LBB1_1044-.Lpost_getpc260)>>32
	s_setpc_b64 s[14:15]
.LBB1_5141:
	s_movk_i32 s4, 0x80
	v_cmp_eq_u16_e32 vcc, s4, v22
	s_mov_b64 s[4:5], -1
                                        ; implicit-def: $sgpr10
	s_and_saveexec_b64 s[8:9], vcc
; %bb.5142:
	s_mov_b32 s10, 0x7f800001
	s_xor_b64 s[4:5], exec, -1
; %bb.5143:
	s_or_b64 exec, exec, s[8:9]
	s_and_b64 s[4:5], s[4:5], exec
                                        ; implicit-def: $vgpr22
	s_or_saveexec_b64 s[6:7], s[6:7]
	v_mov_b32_e32 v23, s10
	s_xor_b64 exec, exec, s[6:7]
	s_cbranch_execnz .LBB1_5144
; %bb.13327:
	s_getpc_b64 s[14:15]
.Lpost_getpc2567:
	s_add_u32 s14, s14, (.LBB1_1046-.Lpost_getpc2567)&4294967295
	s_addc_u32 s15, s15, (.LBB1_1046-.Lpost_getpc2567)>>32
	s_setpc_b64 s[14:15]
.LBB1_5144:
	v_cmp_ne_u16_e32 vcc, 0, v22
	s_andn2_b64 s[4:5], s[4:5], exec
	s_and_b64 s[8:9], vcc, exec
	v_mov_b32_e32 v23, 0
	s_or_b64 s[4:5], s[4:5], s[8:9]
	s_or_b64 exec, exec, s[6:7]
	s_and_saveexec_b64 s[6:7], s[4:5]
	s_cbranch_execz .LBB1_8715
; %bb.13329:
	s_getpc_b64 s[14:15]
.Lpost_getpc2568:
	s_add_u32 s14, s14, (.LBB1_1047-.Lpost_getpc2568)&4294967295
	s_addc_u32 s15, s15, (.LBB1_1047-.Lpost_getpc2568)>>32
	s_setpc_b64 s[14:15]
.LBB1_8715:
	s_getpc_b64 s[14:15]
.Lpost_getpc261:
	s_add_u32 s14, s14, (.LBB1_1048-.Lpost_getpc261)&4294967295
	s_addc_u32 s15, s15, (.LBB1_1048-.Lpost_getpc261)>>32
	s_setpc_b64 s[14:15]
.LBB1_5145:
	s_movk_i32 s4, 0x80
	v_cmp_eq_u16_sdwa s[12:13], v16, s4 src0_sel:BYTE_3 src1_sel:DWORD
	s_mov_b64 s[4:5], -1
                                        ; implicit-def: $sgpr10
	s_and_saveexec_b64 s[8:9], s[12:13]
; %bb.5146:
	s_mov_b32 s10, 0x7f800001
	s_xor_b64 s[4:5], exec, -1
; %bb.5147:
	s_or_b64 exec, exec, s[8:9]
	s_and_b64 s[4:5], s[4:5], exec
	s_or_saveexec_b64 s[6:7], s[6:7]
	v_mov_b32_e32 v21, s10
	s_xor_b64 exec, exec, s[6:7]
	s_cbranch_execnz .LBB1_5148
; %bb.13331:
	s_getpc_b64 s[14:15]
.Lpost_getpc2569:
	s_add_u32 s14, s14, (.LBB1_1050-.Lpost_getpc2569)&4294967295
	s_addc_u32 s15, s15, (.LBB1_1050-.Lpost_getpc2569)>>32
	s_setpc_b64 s[14:15]
.LBB1_5148:
	v_mov_b32_e32 v21, 0
	v_cmp_ne_u16_sdwa s[8:9], v16, v21 src0_sel:BYTE_3 src1_sel:DWORD
	s_andn2_b64 s[4:5], s[4:5], exec
	s_and_b64 s[8:9], s[8:9], exec
	s_or_b64 s[4:5], s[4:5], s[8:9]
	s_or_b64 exec, exec, s[6:7]
	s_and_saveexec_b64 s[6:7], s[4:5]
	s_cbranch_execz .LBB1_8717
; %bb.13333:
	s_getpc_b64 s[14:15]
.Lpost_getpc2570:
	s_add_u32 s14, s14, (.LBB1_1051-.Lpost_getpc2570)&4294967295
	s_addc_u32 s15, s15, (.LBB1_1051-.Lpost_getpc2570)>>32
	s_setpc_b64 s[14:15]
.LBB1_8717:
	s_getpc_b64 s[14:15]
.Lpost_getpc262:
	s_add_u32 s14, s14, (.LBB1_1052-.Lpost_getpc262)&4294967295
	s_addc_u32 s15, s15, (.LBB1_1052-.Lpost_getpc262)>>32
	s_setpc_b64 s[14:15]
.LBB1_5149:
	s_movk_i32 s4, 0x80
	v_cmp_eq_u16_sdwa s[12:13], v12, s4 src0_sel:BYTE_3 src1_sel:DWORD
	s_mov_b64 s[4:5], -1
                                        ; implicit-def: $sgpr10
	s_and_saveexec_b64 s[8:9], s[12:13]
; %bb.5150:
	s_mov_b32 s10, 0x7f800001
	s_xor_b64 s[4:5], exec, -1
; %bb.5151:
	s_or_b64 exec, exec, s[8:9]
	s_and_b64 s[4:5], s[4:5], exec
	s_or_saveexec_b64 s[6:7], s[6:7]
	v_mov_b32_e32 v16, s10
	s_xor_b64 exec, exec, s[6:7]
	s_cbranch_execnz .LBB1_5152
; %bb.13335:
	s_getpc_b64 s[14:15]
.Lpost_getpc2571:
	s_add_u32 s14, s14, (.LBB1_1054-.Lpost_getpc2571)&4294967295
	s_addc_u32 s15, s15, (.LBB1_1054-.Lpost_getpc2571)>>32
	s_setpc_b64 s[14:15]
.LBB1_5152:
	v_mov_b32_e32 v16, 0
	v_cmp_ne_u16_sdwa s[8:9], v12, v16 src0_sel:BYTE_3 src1_sel:DWORD
	s_andn2_b64 s[4:5], s[4:5], exec
	s_and_b64 s[8:9], s[8:9], exec
	s_or_b64 s[4:5], s[4:5], s[8:9]
	s_or_b64 exec, exec, s[6:7]
	s_and_saveexec_b64 s[6:7], s[4:5]
	s_cbranch_execz .LBB1_8719
; %bb.13337:
	s_getpc_b64 s[14:15]
.Lpost_getpc2572:
	s_add_u32 s14, s14, (.LBB1_1055-.Lpost_getpc2572)&4294967295
	s_addc_u32 s15, s15, (.LBB1_1055-.Lpost_getpc2572)>>32
	s_setpc_b64 s[14:15]
.LBB1_8719:
	s_getpc_b64 s[14:15]
.Lpost_getpc263:
	s_add_u32 s14, s14, (.LBB1_1056-.Lpost_getpc263)&4294967295
	s_addc_u32 s15, s15, (.LBB1_1056-.Lpost_getpc263)>>32
	s_setpc_b64 s[14:15]
.LBB1_5153:
	s_movk_i32 s4, 0x80
	v_cmp_eq_u16_sdwa s[12:13], v17, s4 src0_sel:BYTE_0 src1_sel:DWORD
	s_mov_b64 s[4:5], -1
                                        ; implicit-def: $sgpr10
	s_and_saveexec_b64 s[8:9], s[12:13]
; %bb.5154:
	s_mov_b32 s10, 0x7f800001
	s_xor_b64 s[4:5], exec, -1
; %bb.5155:
	s_or_b64 exec, exec, s[8:9]
	s_and_b64 s[4:5], s[4:5], exec
	s_or_saveexec_b64 s[6:7], s[6:7]
	v_mov_b32_e32 v12, s10
	s_xor_b64 exec, exec, s[6:7]
	s_cbranch_execnz .LBB1_5156
; %bb.13339:
	s_getpc_b64 s[14:15]
.Lpost_getpc2573:
	s_add_u32 s14, s14, (.LBB1_1058-.Lpost_getpc2573)&4294967295
	s_addc_u32 s15, s15, (.LBB1_1058-.Lpost_getpc2573)>>32
	s_setpc_b64 s[14:15]
.LBB1_5156:
	v_mov_b32_e32 v12, 0
	v_cmp_ne_u16_sdwa s[8:9], v17, v12 src0_sel:BYTE_0 src1_sel:DWORD
	s_andn2_b64 s[4:5], s[4:5], exec
	s_and_b64 s[8:9], s[8:9], exec
	s_or_b64 s[4:5], s[4:5], s[8:9]
	s_or_b64 exec, exec, s[6:7]
	s_and_saveexec_b64 s[6:7], s[4:5]
	s_cbranch_execz .LBB1_8721
; %bb.13341:
	s_getpc_b64 s[14:15]
.Lpost_getpc2574:
	s_add_u32 s14, s14, (.LBB1_1059-.Lpost_getpc2574)&4294967295
	s_addc_u32 s15, s15, (.LBB1_1059-.Lpost_getpc2574)>>32
	s_setpc_b64 s[14:15]
.LBB1_8721:
	s_getpc_b64 s[14:15]
.Lpost_getpc264:
	s_add_u32 s14, s14, (.LBB1_1060-.Lpost_getpc264)&4294967295
	s_addc_u32 s15, s15, (.LBB1_1060-.Lpost_getpc264)>>32
	s_setpc_b64 s[14:15]
.LBB1_5157:
	s_movk_i32 s4, 0x80
	v_cmp_eq_u16_sdwa s[12:13], v13, s4 src0_sel:BYTE_0 src1_sel:DWORD
	s_mov_b64 s[4:5], -1
                                        ; implicit-def: $sgpr10
	s_and_saveexec_b64 s[8:9], s[12:13]
; %bb.5158:
	s_mov_b32 s10, 0x7f800001
	s_xor_b64 s[4:5], exec, -1
; %bb.5159:
	s_or_b64 exec, exec, s[8:9]
	s_and_b64 s[4:5], s[4:5], exec
	s_or_saveexec_b64 s[6:7], s[6:7]
	v_mov_b32_e32 v16, s10
	s_xor_b64 exec, exec, s[6:7]
	s_cbranch_execnz .LBB1_5160
; %bb.13343:
	s_getpc_b64 s[14:15]
.Lpost_getpc2575:
	s_add_u32 s14, s14, (.LBB1_1062-.Lpost_getpc2575)&4294967295
	s_addc_u32 s15, s15, (.LBB1_1062-.Lpost_getpc2575)>>32
	s_setpc_b64 s[14:15]
.LBB1_5160:
	v_mov_b32_e32 v16, 0
	v_cmp_ne_u16_sdwa s[8:9], v13, v16 src0_sel:BYTE_0 src1_sel:DWORD
	s_andn2_b64 s[4:5], s[4:5], exec
	s_and_b64 s[8:9], s[8:9], exec
	s_or_b64 s[4:5], s[4:5], s[8:9]
	s_or_b64 exec, exec, s[6:7]
	s_and_saveexec_b64 s[6:7], s[4:5]
	s_cbranch_execz .LBB1_8723
; %bb.13345:
	s_getpc_b64 s[14:15]
.Lpost_getpc2576:
	s_add_u32 s14, s14, (.LBB1_1063-.Lpost_getpc2576)&4294967295
	s_addc_u32 s15, s15, (.LBB1_1063-.Lpost_getpc2576)>>32
	s_setpc_b64 s[14:15]
.LBB1_8723:
	s_getpc_b64 s[14:15]
.Lpost_getpc265:
	s_add_u32 s14, s14, (.LBB1_1064-.Lpost_getpc265)&4294967295
	s_addc_u32 s15, s15, (.LBB1_1064-.Lpost_getpc265)>>32
	s_setpc_b64 s[14:15]
.LBB1_5161:
	s_movk_i32 s4, 0x80
	v_cmp_eq_u16_sdwa s[12:13], v16, s4 src0_sel:BYTE_0 src1_sel:DWORD
	s_mov_b64 s[4:5], -1
                                        ; implicit-def: $sgpr10
	s_and_saveexec_b64 s[8:9], s[12:13]
; %bb.5162:
	s_mov_b32 s10, 0x7f800001
	s_xor_b64 s[4:5], exec, -1
; %bb.5163:
	s_or_b64 exec, exec, s[8:9]
	s_and_b64 s[4:5], s[4:5], exec
	s_or_saveexec_b64 s[6:7], s[6:7]
	v_mov_b32_e32 v12, s10
	s_xor_b64 exec, exec, s[6:7]
	s_cbranch_execnz .LBB1_5164
; %bb.13347:
	s_getpc_b64 s[14:15]
.Lpost_getpc2577:
	s_add_u32 s14, s14, (.LBB1_1066-.Lpost_getpc2577)&4294967295
	s_addc_u32 s15, s15, (.LBB1_1066-.Lpost_getpc2577)>>32
	s_setpc_b64 s[14:15]
.LBB1_5164:
	v_mov_b32_e32 v12, 0
	v_cmp_ne_u16_sdwa s[8:9], v16, v12 src0_sel:BYTE_0 src1_sel:DWORD
	s_andn2_b64 s[4:5], s[4:5], exec
	s_and_b64 s[8:9], s[8:9], exec
	s_or_b64 s[4:5], s[4:5], s[8:9]
	s_or_b64 exec, exec, s[6:7]
	s_and_saveexec_b64 s[6:7], s[4:5]
	s_cbranch_execz .LBB1_8725
; %bb.13349:
	s_getpc_b64 s[14:15]
.Lpost_getpc2578:
	s_add_u32 s14, s14, (.LBB1_1067-.Lpost_getpc2578)&4294967295
	s_addc_u32 s15, s15, (.LBB1_1067-.Lpost_getpc2578)>>32
	s_setpc_b64 s[14:15]
.LBB1_8725:
	s_getpc_b64 s[14:15]
.Lpost_getpc266:
	s_add_u32 s14, s14, (.LBB1_1068-.Lpost_getpc266)&4294967295
	s_addc_u32 s15, s15, (.LBB1_1068-.Lpost_getpc266)>>32
	s_setpc_b64 s[14:15]
.LBB1_5165:
	s_movk_i32 s4, 0x80
	v_cmp_eq_u16_sdwa s[12:13], v16, s4 src0_sel:BYTE_0 src1_sel:DWORD
	s_mov_b64 s[4:5], -1
                                        ; implicit-def: $sgpr10
	s_and_saveexec_b64 s[8:9], s[12:13]
; %bb.5166:
	s_mov_b32 s10, 0x7f800001
	s_xor_b64 s[4:5], exec, -1
; %bb.5167:
	s_or_b64 exec, exec, s[8:9]
	s_and_b64 s[4:5], s[4:5], exec
	s_or_saveexec_b64 s[6:7], s[6:7]
	v_mov_b32_e32 v21, s10
	s_xor_b64 exec, exec, s[6:7]
	s_cbranch_execnz .LBB1_5168
; %bb.13351:
	s_getpc_b64 s[14:15]
.Lpost_getpc2579:
	s_add_u32 s14, s14, (.LBB1_1070-.Lpost_getpc2579)&4294967295
	s_addc_u32 s15, s15, (.LBB1_1070-.Lpost_getpc2579)>>32
	s_setpc_b64 s[14:15]
.LBB1_5168:
	v_mov_b32_e32 v21, 0
	v_cmp_ne_u16_sdwa s[8:9], v16, v21 src0_sel:BYTE_0 src1_sel:DWORD
	s_andn2_b64 s[4:5], s[4:5], exec
	s_and_b64 s[8:9], s[8:9], exec
	s_or_b64 s[4:5], s[4:5], s[8:9]
	s_or_b64 exec, exec, s[6:7]
	s_and_saveexec_b64 s[6:7], s[4:5]
	s_cbranch_execz .LBB1_8727
; %bb.13353:
	s_getpc_b64 s[14:15]
.Lpost_getpc2580:
	s_add_u32 s14, s14, (.LBB1_1071-.Lpost_getpc2580)&4294967295
	s_addc_u32 s15, s15, (.LBB1_1071-.Lpost_getpc2580)>>32
	s_setpc_b64 s[14:15]
.LBB1_8727:
	s_getpc_b64 s[14:15]
.Lpost_getpc267:
	s_add_u32 s14, s14, (.LBB1_1072-.Lpost_getpc267)&4294967295
	s_addc_u32 s15, s15, (.LBB1_1072-.Lpost_getpc267)>>32
	s_setpc_b64 s[14:15]
.LBB1_5169:
	s_movk_i32 s4, 0x80
	v_cmp_eq_u16_e32 vcc, s4, v16
	s_mov_b64 s[4:5], -1
                                        ; implicit-def: $sgpr10
	s_and_saveexec_b64 s[8:9], vcc
; %bb.5170:
	s_mov_b32 s10, 0x7f800001
	s_xor_b64 s[4:5], exec, -1
; %bb.5171:
	s_or_b64 exec, exec, s[8:9]
	s_and_b64 s[4:5], s[4:5], exec
                                        ; implicit-def: $vgpr16
	s_or_saveexec_b64 s[6:7], s[6:7]
	v_mov_b32_e32 v12, s10
	s_xor_b64 exec, exec, s[6:7]
	s_cbranch_execnz .LBB1_5172
; %bb.13355:
	s_getpc_b64 s[14:15]
.Lpost_getpc2581:
	s_add_u32 s14, s14, (.LBB1_1074-.Lpost_getpc2581)&4294967295
	s_addc_u32 s15, s15, (.LBB1_1074-.Lpost_getpc2581)>>32
	s_setpc_b64 s[14:15]
.LBB1_5172:
	v_cmp_ne_u16_e32 vcc, 0, v16
	s_andn2_b64 s[4:5], s[4:5], exec
	s_and_b64 s[8:9], vcc, exec
	v_mov_b32_e32 v12, 0
	s_or_b64 s[4:5], s[4:5], s[8:9]
	s_or_b64 exec, exec, s[6:7]
	s_and_saveexec_b64 s[6:7], s[4:5]
	s_cbranch_execz .LBB1_8729
; %bb.13357:
	s_getpc_b64 s[14:15]
.Lpost_getpc2582:
	s_add_u32 s14, s14, (.LBB1_1075-.Lpost_getpc2582)&4294967295
	s_addc_u32 s15, s15, (.LBB1_1075-.Lpost_getpc2582)>>32
	s_setpc_b64 s[14:15]
.LBB1_8729:
	s_getpc_b64 s[14:15]
.Lpost_getpc268:
	s_add_u32 s14, s14, (.LBB1_1076-.Lpost_getpc268)&4294967295
	s_addc_u32 s15, s15, (.LBB1_1076-.Lpost_getpc268)>>32
	s_setpc_b64 s[14:15]
.LBB1_5173:
	s_movk_i32 s4, 0x80
	v_cmp_eq_u16_e32 vcc, s4, v16
	s_mov_b64 s[4:5], -1
                                        ; implicit-def: $sgpr10
	s_and_saveexec_b64 s[8:9], vcc
; %bb.5174:
	s_mov_b32 s10, 0x7f800001
	s_xor_b64 s[4:5], exec, -1
; %bb.5175:
	s_or_b64 exec, exec, s[8:9]
	s_and_b64 s[4:5], s[4:5], exec
                                        ; implicit-def: $vgpr16
	s_or_saveexec_b64 s[6:7], s[6:7]
	v_mov_b32_e32 v21, s10
	s_xor_b64 exec, exec, s[6:7]
	s_cbranch_execnz .LBB1_5176
; %bb.13359:
	s_getpc_b64 s[14:15]
.Lpost_getpc2583:
	s_add_u32 s14, s14, (.LBB1_1078-.Lpost_getpc2583)&4294967295
	s_addc_u32 s15, s15, (.LBB1_1078-.Lpost_getpc2583)>>32
	s_setpc_b64 s[14:15]
.LBB1_5176:
	v_cmp_ne_u16_e32 vcc, 0, v16
	s_andn2_b64 s[4:5], s[4:5], exec
	s_and_b64 s[8:9], vcc, exec
	v_mov_b32_e32 v21, 0
	s_or_b64 s[4:5], s[4:5], s[8:9]
	s_or_b64 exec, exec, s[6:7]
	s_and_saveexec_b64 s[6:7], s[4:5]
	s_cbranch_execz .LBB1_8731
; %bb.13361:
	s_getpc_b64 s[14:15]
.Lpost_getpc2584:
	s_add_u32 s14, s14, (.LBB1_1079-.Lpost_getpc2584)&4294967295
	s_addc_u32 s15, s15, (.LBB1_1079-.Lpost_getpc2584)>>32
	s_setpc_b64 s[14:15]
.LBB1_8731:
	s_getpc_b64 s[14:15]
.Lpost_getpc269:
	s_add_u32 s14, s14, (.LBB1_1080-.Lpost_getpc269)&4294967295
	s_addc_u32 s15, s15, (.LBB1_1080-.Lpost_getpc269)>>32
	s_setpc_b64 s[14:15]
.LBB1_5177:
	s_movk_i32 s4, 0x80
	v_cmp_eq_u16_sdwa s[12:13], v17, s4 src0_sel:BYTE_3 src1_sel:DWORD
	s_mov_b64 s[4:5], -1
                                        ; implicit-def: $sgpr10
	s_and_saveexec_b64 s[8:9], s[12:13]
; %bb.5178:
	s_mov_b32 s10, 0x7f800001
	s_xor_b64 s[4:5], exec, -1
; %bb.5179:
	s_or_b64 exec, exec, s[8:9]
	s_and_b64 s[4:5], s[4:5], exec
	s_or_saveexec_b64 s[6:7], s[6:7]
	v_mov_b32_e32 v12, s10
	s_xor_b64 exec, exec, s[6:7]
	s_cbranch_execnz .LBB1_5180
; %bb.13363:
	s_getpc_b64 s[14:15]
.Lpost_getpc2585:
	s_add_u32 s14, s14, (.LBB1_1082-.Lpost_getpc2585)&4294967295
	s_addc_u32 s15, s15, (.LBB1_1082-.Lpost_getpc2585)>>32
	s_setpc_b64 s[14:15]
.LBB1_5180:
	v_mov_b32_e32 v12, 0
	v_cmp_ne_u16_sdwa s[8:9], v17, v12 src0_sel:BYTE_3 src1_sel:DWORD
	s_andn2_b64 s[4:5], s[4:5], exec
	s_and_b64 s[8:9], s[8:9], exec
	s_or_b64 s[4:5], s[4:5], s[8:9]
	s_or_b64 exec, exec, s[6:7]
	s_and_saveexec_b64 s[6:7], s[4:5]
	s_cbranch_execz .LBB1_8733
; %bb.13365:
	s_getpc_b64 s[14:15]
.Lpost_getpc2586:
	s_add_u32 s14, s14, (.LBB1_1083-.Lpost_getpc2586)&4294967295
	s_addc_u32 s15, s15, (.LBB1_1083-.Lpost_getpc2586)>>32
	s_setpc_b64 s[14:15]
.LBB1_8733:
	s_getpc_b64 s[14:15]
.Lpost_getpc270:
	s_add_u32 s14, s14, (.LBB1_1084-.Lpost_getpc270)&4294967295
	s_addc_u32 s15, s15, (.LBB1_1084-.Lpost_getpc270)>>32
	s_setpc_b64 s[14:15]
.LBB1_5181:
	s_movk_i32 s4, 0x80
	v_cmp_eq_u16_sdwa s[12:13], v13, s4 src0_sel:BYTE_3 src1_sel:DWORD
	s_mov_b64 s[4:5], -1
                                        ; implicit-def: $sgpr10
	s_and_saveexec_b64 s[8:9], s[12:13]
; %bb.5182:
	s_mov_b32 s10, 0x7f800001
	s_xor_b64 s[4:5], exec, -1
; %bb.5183:
	s_or_b64 exec, exec, s[8:9]
	s_and_b64 s[4:5], s[4:5], exec
	s_or_saveexec_b64 s[6:7], s[6:7]
	v_mov_b32_e32 v16, s10
	s_xor_b64 exec, exec, s[6:7]
	s_cbranch_execnz .LBB1_5184
; %bb.13367:
	s_getpc_b64 s[14:15]
.Lpost_getpc2587:
	s_add_u32 s14, s14, (.LBB1_1086-.Lpost_getpc2587)&4294967295
	s_addc_u32 s15, s15, (.LBB1_1086-.Lpost_getpc2587)>>32
	s_setpc_b64 s[14:15]
.LBB1_5184:
	v_mov_b32_e32 v16, 0
	v_cmp_ne_u16_sdwa s[8:9], v13, v16 src0_sel:BYTE_3 src1_sel:DWORD
	s_andn2_b64 s[4:5], s[4:5], exec
	s_and_b64 s[8:9], s[8:9], exec
	s_or_b64 s[4:5], s[4:5], s[8:9]
	s_or_b64 exec, exec, s[6:7]
	s_and_saveexec_b64 s[6:7], s[4:5]
	s_cbranch_execz .LBB1_8735
; %bb.13369:
	s_getpc_b64 s[14:15]
.Lpost_getpc2588:
	s_add_u32 s14, s14, (.LBB1_1087-.Lpost_getpc2588)&4294967295
	s_addc_u32 s15, s15, (.LBB1_1087-.Lpost_getpc2588)>>32
	s_setpc_b64 s[14:15]
.LBB1_8735:
	s_getpc_b64 s[14:15]
.Lpost_getpc271:
	s_add_u32 s14, s14, (.LBB1_1088-.Lpost_getpc271)&4294967295
	s_addc_u32 s15, s15, (.LBB1_1088-.Lpost_getpc271)>>32
	s_setpc_b64 s[14:15]
.LBB1_5185:
	s_movk_i32 s4, 0x80
	v_cmp_eq_u16_sdwa s[12:13], v18, s4 src0_sel:BYTE_0 src1_sel:DWORD
	s_mov_b64 s[4:5], -1
                                        ; implicit-def: $sgpr10
	s_and_saveexec_b64 s[8:9], s[12:13]
; %bb.5186:
	s_mov_b32 s10, 0x7f800001
	s_xor_b64 s[4:5], exec, -1
; %bb.5187:
	s_or_b64 exec, exec, s[8:9]
	s_and_b64 s[4:5], s[4:5], exec
	s_or_saveexec_b64 s[6:7], s[6:7]
	v_mov_b32_e32 v13, s10
	s_xor_b64 exec, exec, s[6:7]
	s_cbranch_execnz .LBB1_5188
; %bb.13371:
	s_getpc_b64 s[14:15]
.Lpost_getpc2589:
	s_add_u32 s14, s14, (.LBB1_1090-.Lpost_getpc2589)&4294967295
	s_addc_u32 s15, s15, (.LBB1_1090-.Lpost_getpc2589)>>32
	s_setpc_b64 s[14:15]
.LBB1_5188:
	v_mov_b32_e32 v13, 0
	v_cmp_ne_u16_sdwa s[8:9], v18, v13 src0_sel:BYTE_0 src1_sel:DWORD
	s_andn2_b64 s[4:5], s[4:5], exec
	s_and_b64 s[8:9], s[8:9], exec
	s_or_b64 s[4:5], s[4:5], s[8:9]
	s_or_b64 exec, exec, s[6:7]
	s_and_saveexec_b64 s[6:7], s[4:5]
	s_cbranch_execz .LBB1_8737
; %bb.13373:
	s_getpc_b64 s[14:15]
.Lpost_getpc2590:
	s_add_u32 s14, s14, (.LBB1_1091-.Lpost_getpc2590)&4294967295
	s_addc_u32 s15, s15, (.LBB1_1091-.Lpost_getpc2590)>>32
	s_setpc_b64 s[14:15]
.LBB1_8737:
	s_getpc_b64 s[14:15]
.Lpost_getpc272:
	s_add_u32 s14, s14, (.LBB1_1092-.Lpost_getpc272)&4294967295
	s_addc_u32 s15, s15, (.LBB1_1092-.Lpost_getpc272)>>32
	s_setpc_b64 s[14:15]
.LBB1_5189:
	s_movk_i32 s4, 0x80
	v_cmp_eq_u16_sdwa s[12:13], v16, s4 src0_sel:BYTE_0 src1_sel:DWORD
	s_mov_b64 s[4:5], -1
                                        ; implicit-def: $sgpr10
	s_and_saveexec_b64 s[8:9], s[12:13]
; %bb.5190:
	s_mov_b32 s10, 0x7f800001
	s_xor_b64 s[4:5], exec, -1
; %bb.5191:
	s_or_b64 exec, exec, s[8:9]
	s_and_b64 s[4:5], s[4:5], exec
	s_or_saveexec_b64 s[6:7], s[6:7]
	v_mov_b32_e32 v14, s10
	s_xor_b64 exec, exec, s[6:7]
	s_cbranch_execnz .LBB1_5192
; %bb.13375:
	s_getpc_b64 s[14:15]
.Lpost_getpc2591:
	s_add_u32 s14, s14, (.LBB1_1094-.Lpost_getpc2591)&4294967295
	s_addc_u32 s15, s15, (.LBB1_1094-.Lpost_getpc2591)>>32
	s_setpc_b64 s[14:15]
.LBB1_5192:
	v_mov_b32_e32 v14, 0
	v_cmp_ne_u16_sdwa s[8:9], v16, v14 src0_sel:BYTE_0 src1_sel:DWORD
	s_andn2_b64 s[4:5], s[4:5], exec
	s_and_b64 s[8:9], s[8:9], exec
	s_or_b64 s[4:5], s[4:5], s[8:9]
	s_or_b64 exec, exec, s[6:7]
	v_or_b32_sdwa v12, v16, v12 dst_sel:DWORD dst_unused:UNUSED_PAD src0_sel:WORD_0 src1_sel:DWORD
	s_and_saveexec_b64 s[6:7], s[4:5]
	s_cbranch_execz .LBB1_8739
; %bb.13377:
	s_getpc_b64 s[14:15]
.Lpost_getpc2592:
	s_add_u32 s14, s14, (.LBB1_1095-.Lpost_getpc2592)&4294967295
	s_addc_u32 s15, s15, (.LBB1_1095-.Lpost_getpc2592)>>32
	s_setpc_b64 s[14:15]
.LBB1_8739:
	s_getpc_b64 s[14:15]
.Lpost_getpc273:
	s_add_u32 s14, s14, (.LBB1_1096-.Lpost_getpc273)&4294967295
	s_addc_u32 s15, s15, (.LBB1_1096-.Lpost_getpc273)>>32
	s_setpc_b64 s[14:15]
.LBB1_5193:
	s_movk_i32 s4, 0x80
	v_cmp_eq_u16_sdwa s[12:13], v14, s4 src0_sel:BYTE_0 src1_sel:DWORD
	s_mov_b64 s[4:5], -1
                                        ; implicit-def: $sgpr10
	s_and_saveexec_b64 s[8:9], s[12:13]
; %bb.5194:
	s_mov_b32 s10, 0x7f800001
	s_xor_b64 s[4:5], exec, -1
; %bb.5195:
	s_or_b64 exec, exec, s[8:9]
	s_and_b64 s[4:5], s[4:5], exec
	s_or_saveexec_b64 s[6:7], s[6:7]
	v_mov_b32_e32 v13, s10
	s_xor_b64 exec, exec, s[6:7]
	s_cbranch_execnz .LBB1_5196
; %bb.13379:
	s_getpc_b64 s[14:15]
.Lpost_getpc2593:
	s_add_u32 s14, s14, (.LBB1_1098-.Lpost_getpc2593)&4294967295
	s_addc_u32 s15, s15, (.LBB1_1098-.Lpost_getpc2593)>>32
	s_setpc_b64 s[14:15]
.LBB1_5196:
	v_mov_b32_e32 v13, 0
	v_cmp_ne_u16_sdwa s[8:9], v14, v13 src0_sel:BYTE_0 src1_sel:DWORD
	s_andn2_b64 s[4:5], s[4:5], exec
	s_and_b64 s[8:9], s[8:9], exec
	s_or_b64 s[4:5], s[4:5], s[8:9]
	s_or_b64 exec, exec, s[6:7]
	s_and_saveexec_b64 s[6:7], s[4:5]
	s_cbranch_execz .LBB1_8741
; %bb.13381:
	s_getpc_b64 s[14:15]
.Lpost_getpc2594:
	s_add_u32 s14, s14, (.LBB1_1099-.Lpost_getpc2594)&4294967295
	s_addc_u32 s15, s15, (.LBB1_1099-.Lpost_getpc2594)>>32
	s_setpc_b64 s[14:15]
.LBB1_8741:
	s_getpc_b64 s[14:15]
.Lpost_getpc274:
	s_add_u32 s14, s14, (.LBB1_1100-.Lpost_getpc274)&4294967295
	s_addc_u32 s15, s15, (.LBB1_1100-.Lpost_getpc274)>>32
	s_setpc_b64 s[14:15]
.LBB1_5197:
	s_movk_i32 s4, 0x80
	v_cmp_eq_u16_sdwa s[12:13], v14, s4 src0_sel:BYTE_0 src1_sel:DWORD
	s_mov_b64 s[4:5], -1
                                        ; implicit-def: $sgpr10
	s_and_saveexec_b64 s[8:9], s[12:13]
; %bb.5198:
	s_mov_b32 s10, 0x7f800001
	s_xor_b64 s[4:5], exec, -1
; %bb.5199:
	s_or_b64 exec, exec, s[8:9]
	s_and_b64 s[4:5], s[4:5], exec
	s_or_saveexec_b64 s[6:7], s[6:7]
	v_mov_b32_e32 v16, s10
	s_xor_b64 exec, exec, s[6:7]
	s_cbranch_execnz .LBB1_5200
; %bb.13383:
	s_getpc_b64 s[14:15]
.Lpost_getpc2595:
	s_add_u32 s14, s14, (.LBB1_1102-.Lpost_getpc2595)&4294967295
	s_addc_u32 s15, s15, (.LBB1_1102-.Lpost_getpc2595)>>32
	s_setpc_b64 s[14:15]
.LBB1_5200:
	v_mov_b32_e32 v16, 0
	v_cmp_ne_u16_sdwa s[8:9], v14, v16 src0_sel:BYTE_0 src1_sel:DWORD
	s_andn2_b64 s[4:5], s[4:5], exec
	s_and_b64 s[8:9], s[8:9], exec
	s_or_b64 s[4:5], s[4:5], s[8:9]
	s_or_b64 exec, exec, s[6:7]
	s_and_saveexec_b64 s[6:7], s[4:5]
	s_cbranch_execz .LBB1_8743
; %bb.13385:
	s_getpc_b64 s[14:15]
.Lpost_getpc2596:
	s_add_u32 s14, s14, (.LBB1_1103-.Lpost_getpc2596)&4294967295
	s_addc_u32 s15, s15, (.LBB1_1103-.Lpost_getpc2596)>>32
	s_setpc_b64 s[14:15]
.LBB1_8743:
	s_getpc_b64 s[14:15]
.Lpost_getpc275:
	s_add_u32 s14, s14, (.LBB1_1104-.Lpost_getpc275)&4294967295
	s_addc_u32 s15, s15, (.LBB1_1104-.Lpost_getpc275)>>32
	s_setpc_b64 s[14:15]
.LBB1_5201:
	s_movk_i32 s4, 0x80
	v_cmp_eq_u16_e32 vcc, s4, v14
	s_mov_b64 s[4:5], -1
                                        ; implicit-def: $sgpr10
	s_and_saveexec_b64 s[8:9], vcc
; %bb.5202:
	s_mov_b32 s10, 0x7f800001
	s_xor_b64 s[4:5], exec, -1
; %bb.5203:
	s_or_b64 exec, exec, s[8:9]
	s_and_b64 s[4:5], s[4:5], exec
                                        ; implicit-def: $vgpr14
	s_or_saveexec_b64 s[6:7], s[6:7]
	v_mov_b32_e32 v13, s10
	s_xor_b64 exec, exec, s[6:7]
	s_cbranch_execnz .LBB1_5204
; %bb.13387:
	s_getpc_b64 s[14:15]
.Lpost_getpc2597:
	s_add_u32 s14, s14, (.LBB1_1106-.Lpost_getpc2597)&4294967295
	s_addc_u32 s15, s15, (.LBB1_1106-.Lpost_getpc2597)>>32
	s_setpc_b64 s[14:15]
.LBB1_5204:
	v_cmp_ne_u16_e32 vcc, 0, v14
	s_andn2_b64 s[4:5], s[4:5], exec
	s_and_b64 s[8:9], vcc, exec
	v_mov_b32_e32 v13, 0
	s_or_b64 s[4:5], s[4:5], s[8:9]
	s_or_b64 exec, exec, s[6:7]
	s_and_saveexec_b64 s[6:7], s[4:5]
	s_cbranch_execz .LBB1_8745
; %bb.13389:
	s_getpc_b64 s[14:15]
.Lpost_getpc2598:
	s_add_u32 s14, s14, (.LBB1_1107-.Lpost_getpc2598)&4294967295
	s_addc_u32 s15, s15, (.LBB1_1107-.Lpost_getpc2598)>>32
	s_setpc_b64 s[14:15]
.LBB1_8745:
	s_getpc_b64 s[14:15]
.Lpost_getpc276:
	s_add_u32 s14, s14, (.LBB1_1108-.Lpost_getpc276)&4294967295
	s_addc_u32 s15, s15, (.LBB1_1108-.Lpost_getpc276)>>32
	s_setpc_b64 s[14:15]
.LBB1_5205:
	s_movk_i32 s4, 0x80
	v_cmp_eq_u16_e32 vcc, s4, v14
	s_mov_b64 s[4:5], -1
                                        ; implicit-def: $sgpr10
	s_and_saveexec_b64 s[8:9], vcc
; %bb.5206:
	s_mov_b32 s10, 0x7f800001
	s_xor_b64 s[4:5], exec, -1
; %bb.5207:
	s_or_b64 exec, exec, s[8:9]
	s_and_b64 s[4:5], s[4:5], exec
                                        ; implicit-def: $vgpr14
	s_or_saveexec_b64 s[6:7], s[6:7]
	v_mov_b32_e32 v16, s10
	s_xor_b64 exec, exec, s[6:7]
	s_cbranch_execnz .LBB1_5208
; %bb.13391:
	s_getpc_b64 s[14:15]
.Lpost_getpc2599:
	s_add_u32 s14, s14, (.LBB1_1110-.Lpost_getpc2599)&4294967295
	s_addc_u32 s15, s15, (.LBB1_1110-.Lpost_getpc2599)>>32
	s_setpc_b64 s[14:15]
.LBB1_5208:
	v_cmp_ne_u16_e32 vcc, 0, v14
	s_andn2_b64 s[4:5], s[4:5], exec
	s_and_b64 s[8:9], vcc, exec
	v_mov_b32_e32 v16, 0
	s_or_b64 s[4:5], s[4:5], s[8:9]
	s_or_b64 exec, exec, s[6:7]
	s_and_saveexec_b64 s[6:7], s[4:5]
	s_cbranch_execz .LBB1_8747
; %bb.13393:
	s_getpc_b64 s[14:15]
.Lpost_getpc2600:
	s_add_u32 s14, s14, (.LBB1_1111-.Lpost_getpc2600)&4294967295
	s_addc_u32 s15, s15, (.LBB1_1111-.Lpost_getpc2600)>>32
	s_setpc_b64 s[14:15]
.LBB1_8747:
	s_getpc_b64 s[14:15]
.Lpost_getpc277:
	s_add_u32 s14, s14, (.LBB1_1112-.Lpost_getpc277)&4294967295
	s_addc_u32 s15, s15, (.LBB1_1112-.Lpost_getpc277)>>32
	s_setpc_b64 s[14:15]
.LBB1_5209:
	s_movk_i32 s4, 0x80
	v_cmp_eq_u16_sdwa s[12:13], v18, s4 src0_sel:BYTE_3 src1_sel:DWORD
	s_mov_b64 s[4:5], -1
                                        ; implicit-def: $sgpr10
	s_and_saveexec_b64 s[8:9], s[12:13]
; %bb.5210:
	s_mov_b32 s10, 0x7f800001
	s_xor_b64 s[4:5], exec, -1
; %bb.5211:
	s_or_b64 exec, exec, s[8:9]
	s_and_b64 s[4:5], s[4:5], exec
	s_or_saveexec_b64 s[6:7], s[6:7]
	v_mov_b32_e32 v13, s10
	s_xor_b64 exec, exec, s[6:7]
	s_cbranch_execnz .LBB1_5212
; %bb.13395:
	s_getpc_b64 s[14:15]
.Lpost_getpc2601:
	s_add_u32 s14, s14, (.LBB1_1114-.Lpost_getpc2601)&4294967295
	s_addc_u32 s15, s15, (.LBB1_1114-.Lpost_getpc2601)>>32
	s_setpc_b64 s[14:15]
.LBB1_5212:
	v_mov_b32_e32 v13, 0
	v_cmp_ne_u16_sdwa s[8:9], v18, v13 src0_sel:BYTE_3 src1_sel:DWORD
	s_andn2_b64 s[4:5], s[4:5], exec
	s_and_b64 s[8:9], s[8:9], exec
	s_or_b64 s[4:5], s[4:5], s[8:9]
	s_or_b64 exec, exec, s[6:7]
	s_and_saveexec_b64 s[6:7], s[4:5]
	s_cbranch_execz .LBB1_8749
; %bb.13397:
	s_getpc_b64 s[14:15]
.Lpost_getpc2602:
	s_add_u32 s14, s14, (.LBB1_1115-.Lpost_getpc2602)&4294967295
	s_addc_u32 s15, s15, (.LBB1_1115-.Lpost_getpc2602)>>32
	s_setpc_b64 s[14:15]
.LBB1_8749:
	s_getpc_b64 s[14:15]
.Lpost_getpc278:
	s_add_u32 s14, s14, (.LBB1_1116-.Lpost_getpc278)&4294967295
	s_addc_u32 s15, s15, (.LBB1_1116-.Lpost_getpc278)>>32
	s_setpc_b64 s[14:15]
.LBB1_5213:
	s_movk_i32 s4, 0x80
	v_cmp_eq_u16_sdwa s[12:13], v12, s4 src0_sel:BYTE_3 src1_sel:DWORD
	s_mov_b64 s[4:5], -1
                                        ; implicit-def: $sgpr10
	s_and_saveexec_b64 s[8:9], s[12:13]
; %bb.5214:
	s_mov_b32 s10, 0x7f800001
	s_xor_b64 s[4:5], exec, -1
; %bb.5215:
	s_or_b64 exec, exec, s[8:9]
	s_and_b64 s[4:5], s[4:5], exec
	s_or_saveexec_b64 s[6:7], s[6:7]
	v_mov_b32_e32 v14, s10
	s_xor_b64 exec, exec, s[6:7]
	s_cbranch_execnz .LBB1_5216
; %bb.13399:
	s_getpc_b64 s[14:15]
.Lpost_getpc2603:
	s_add_u32 s14, s14, (.LBB1_1118-.Lpost_getpc2603)&4294967295
	s_addc_u32 s15, s15, (.LBB1_1118-.Lpost_getpc2603)>>32
	s_setpc_b64 s[14:15]
.LBB1_5216:
	v_mov_b32_e32 v14, 0
	v_cmp_ne_u16_sdwa s[8:9], v12, v14 src0_sel:BYTE_3 src1_sel:DWORD
	s_andn2_b64 s[4:5], s[4:5], exec
	s_and_b64 s[8:9], s[8:9], exec
	s_or_b64 s[4:5], s[4:5], s[8:9]
	s_or_b64 exec, exec, s[6:7]
	s_and_saveexec_b64 s[6:7], s[4:5]
	s_cbranch_execz .LBB1_8751
; %bb.13401:
	s_getpc_b64 s[14:15]
.Lpost_getpc2604:
	s_add_u32 s14, s14, (.LBB1_1119-.Lpost_getpc2604)&4294967295
	s_addc_u32 s15, s15, (.LBB1_1119-.Lpost_getpc2604)>>32
	s_setpc_b64 s[14:15]
.LBB1_8751:
	s_getpc_b64 s[14:15]
.Lpost_getpc279:
	s_add_u32 s14, s14, (.LBB1_1120-.Lpost_getpc279)&4294967295
	s_addc_u32 s15, s15, (.LBB1_1120-.Lpost_getpc279)>>32
	s_setpc_b64 s[14:15]
.LBB1_5217:
	s_movk_i32 s4, 0x80
	v_cmp_eq_u16_sdwa s[12:13], v19, s4 src0_sel:BYTE_0 src1_sel:DWORD
	s_mov_b64 s[4:5], -1
                                        ; implicit-def: $sgpr10
	s_and_saveexec_b64 s[8:9], s[12:13]
; %bb.5218:
	s_mov_b32 s10, 0x7f800001
	s_xor_b64 s[4:5], exec, -1
; %bb.5219:
	s_or_b64 exec, exec, s[8:9]
	s_and_b64 s[4:5], s[4:5], exec
	s_or_saveexec_b64 s[6:7], s[6:7]
	v_mov_b32_e32 v12, s10
	s_xor_b64 exec, exec, s[6:7]
	s_cbranch_execnz .LBB1_5220
; %bb.13403:
	s_getpc_b64 s[14:15]
.Lpost_getpc2605:
	s_add_u32 s14, s14, (.LBB1_1122-.Lpost_getpc2605)&4294967295
	s_addc_u32 s15, s15, (.LBB1_1122-.Lpost_getpc2605)>>32
	s_setpc_b64 s[14:15]
.LBB1_5220:
	v_mov_b32_e32 v12, 0
	v_cmp_ne_u16_sdwa s[8:9], v19, v12 src0_sel:BYTE_0 src1_sel:DWORD
	s_andn2_b64 s[4:5], s[4:5], exec
	s_and_b64 s[8:9], s[8:9], exec
	s_or_b64 s[4:5], s[4:5], s[8:9]
	s_or_b64 exec, exec, s[6:7]
	s_and_saveexec_b64 s[6:7], s[4:5]
	s_cbranch_execz .LBB1_8753
; %bb.13405:
	s_getpc_b64 s[14:15]
.Lpost_getpc2606:
	s_add_u32 s14, s14, (.LBB1_1123-.Lpost_getpc2606)&4294967295
	s_addc_u32 s15, s15, (.LBB1_1123-.Lpost_getpc2606)>>32
	s_setpc_b64 s[14:15]
.LBB1_8753:
	s_getpc_b64 s[14:15]
.Lpost_getpc280:
	s_add_u32 s14, s14, (.LBB1_1124-.Lpost_getpc280)&4294967295
	s_addc_u32 s15, s15, (.LBB1_1124-.Lpost_getpc280)>>32
	s_setpc_b64 s[14:15]
.LBB1_5221:
	s_movk_i32 s4, 0x80
	v_cmp_eq_u16_sdwa s[12:13], v15, s4 src0_sel:BYTE_0 src1_sel:DWORD
	s_mov_b64 s[4:5], -1
                                        ; implicit-def: $sgpr10
	s_and_saveexec_b64 s[8:9], s[12:13]
; %bb.5222:
	s_mov_b32 s10, 0x7f800001
	s_xor_b64 s[4:5], exec, -1
; %bb.5223:
	s_or_b64 exec, exec, s[8:9]
	s_and_b64 s[4:5], s[4:5], exec
	s_or_saveexec_b64 s[6:7], s[6:7]
	v_mov_b32_e32 v13, s10
	s_xor_b64 exec, exec, s[6:7]
	s_cbranch_execnz .LBB1_5224
; %bb.13407:
	s_getpc_b64 s[14:15]
.Lpost_getpc2607:
	s_add_u32 s14, s14, (.LBB1_1126-.Lpost_getpc2607)&4294967295
	s_addc_u32 s15, s15, (.LBB1_1126-.Lpost_getpc2607)>>32
	s_setpc_b64 s[14:15]
.LBB1_5224:
	v_mov_b32_e32 v13, 0
	v_cmp_ne_u16_sdwa s[8:9], v15, v13 src0_sel:BYTE_0 src1_sel:DWORD
	s_andn2_b64 s[4:5], s[4:5], exec
	s_and_b64 s[8:9], s[8:9], exec
	s_or_b64 s[4:5], s[4:5], s[8:9]
	s_or_b64 exec, exec, s[6:7]
	s_and_saveexec_b64 s[6:7], s[4:5]
	s_cbranch_execz .LBB1_8755
; %bb.13409:
	s_getpc_b64 s[14:15]
.Lpost_getpc2608:
	s_add_u32 s14, s14, (.LBB1_1127-.Lpost_getpc2608)&4294967295
	s_addc_u32 s15, s15, (.LBB1_1127-.Lpost_getpc2608)>>32
	s_setpc_b64 s[14:15]
.LBB1_8755:
	s_getpc_b64 s[14:15]
.Lpost_getpc281:
	s_add_u32 s14, s14, (.LBB1_1128-.Lpost_getpc281)&4294967295
	s_addc_u32 s15, s15, (.LBB1_1128-.Lpost_getpc281)>>32
	s_setpc_b64 s[14:15]
.LBB1_5225:
	s_movk_i32 s4, 0x80
	v_cmp_eq_u16_sdwa s[12:13], v13, s4 src0_sel:BYTE_0 src1_sel:DWORD
	s_mov_b64 s[4:5], -1
                                        ; implicit-def: $sgpr10
	s_and_saveexec_b64 s[8:9], s[12:13]
; %bb.5226:
	s_mov_b32 s10, 0x7f800001
	s_xor_b64 s[4:5], exec, -1
; %bb.5227:
	s_or_b64 exec, exec, s[8:9]
	s_and_b64 s[4:5], s[4:5], exec
	s_or_saveexec_b64 s[6:7], s[6:7]
	v_mov_b32_e32 v12, s10
	s_xor_b64 exec, exec, s[6:7]
	s_cbranch_execnz .LBB1_5228
; %bb.13411:
	s_getpc_b64 s[14:15]
.Lpost_getpc2609:
	s_add_u32 s14, s14, (.LBB1_1130-.Lpost_getpc2609)&4294967295
	s_addc_u32 s15, s15, (.LBB1_1130-.Lpost_getpc2609)>>32
	s_setpc_b64 s[14:15]
.LBB1_5228:
	v_mov_b32_e32 v12, 0
	v_cmp_ne_u16_sdwa s[8:9], v13, v12 src0_sel:BYTE_0 src1_sel:DWORD
	s_andn2_b64 s[4:5], s[4:5], exec
	s_and_b64 s[8:9], s[8:9], exec
	s_or_b64 s[4:5], s[4:5], s[8:9]
	s_or_b64 exec, exec, s[6:7]
	s_and_saveexec_b64 s[6:7], s[4:5]
	s_cbranch_execz .LBB1_8757
; %bb.13413:
	s_getpc_b64 s[14:15]
.Lpost_getpc2610:
	s_add_u32 s14, s14, (.LBB1_1131-.Lpost_getpc2610)&4294967295
	s_addc_u32 s15, s15, (.LBB1_1131-.Lpost_getpc2610)>>32
	s_setpc_b64 s[14:15]
.LBB1_8757:
	s_getpc_b64 s[14:15]
.Lpost_getpc282:
	s_add_u32 s14, s14, (.LBB1_1132-.Lpost_getpc282)&4294967295
	s_addc_u32 s15, s15, (.LBB1_1132-.Lpost_getpc282)>>32
	s_setpc_b64 s[14:15]
.LBB1_5229:
	s_movk_i32 s4, 0x80
	v_cmp_eq_u16_sdwa s[12:13], v13, s4 src0_sel:BYTE_0 src1_sel:DWORD
	s_mov_b64 s[4:5], -1
                                        ; implicit-def: $sgpr10
	s_and_saveexec_b64 s[8:9], s[12:13]
; %bb.5230:
	s_mov_b32 s10, 0x7f800001
	s_xor_b64 s[4:5], exec, -1
; %bb.5231:
	s_or_b64 exec, exec, s[8:9]
	s_and_b64 s[4:5], s[4:5], exec
	s_or_saveexec_b64 s[6:7], s[6:7]
	v_mov_b32_e32 v14, s10
	s_xor_b64 exec, exec, s[6:7]
	s_cbranch_execnz .LBB1_5232
; %bb.13415:
	s_getpc_b64 s[14:15]
.Lpost_getpc2611:
	s_add_u32 s14, s14, (.LBB1_1134-.Lpost_getpc2611)&4294967295
	s_addc_u32 s15, s15, (.LBB1_1134-.Lpost_getpc2611)>>32
	s_setpc_b64 s[14:15]
.LBB1_5232:
	v_mov_b32_e32 v14, 0
	v_cmp_ne_u16_sdwa s[8:9], v13, v14 src0_sel:BYTE_0 src1_sel:DWORD
	s_andn2_b64 s[4:5], s[4:5], exec
	s_and_b64 s[8:9], s[8:9], exec
	s_or_b64 s[4:5], s[4:5], s[8:9]
	s_or_b64 exec, exec, s[6:7]
	s_and_saveexec_b64 s[6:7], s[4:5]
	s_cbranch_execz .LBB1_8759
; %bb.13417:
	s_getpc_b64 s[14:15]
.Lpost_getpc2612:
	s_add_u32 s14, s14, (.LBB1_1135-.Lpost_getpc2612)&4294967295
	s_addc_u32 s15, s15, (.LBB1_1135-.Lpost_getpc2612)>>32
	s_setpc_b64 s[14:15]
.LBB1_8759:
	s_getpc_b64 s[14:15]
.Lpost_getpc283:
	s_add_u32 s14, s14, (.LBB1_1136-.Lpost_getpc283)&4294967295
	s_addc_u32 s15, s15, (.LBB1_1136-.Lpost_getpc283)>>32
	s_setpc_b64 s[14:15]
.LBB1_5233:
	s_movk_i32 s4, 0x80
	v_cmp_eq_u16_e32 vcc, s4, v13
	s_mov_b64 s[4:5], -1
                                        ; implicit-def: $sgpr10
	s_and_saveexec_b64 s[8:9], vcc
; %bb.5234:
	s_mov_b32 s10, 0x7f800001
	s_xor_b64 s[4:5], exec, -1
; %bb.5235:
	s_or_b64 exec, exec, s[8:9]
	s_and_b64 s[4:5], s[4:5], exec
                                        ; implicit-def: $vgpr13
	s_or_saveexec_b64 s[6:7], s[6:7]
	v_mov_b32_e32 v12, s10
	s_xor_b64 exec, exec, s[6:7]
	s_cbranch_execnz .LBB1_5236
; %bb.13419:
	s_getpc_b64 s[14:15]
.Lpost_getpc2613:
	s_add_u32 s14, s14, (.LBB1_1138-.Lpost_getpc2613)&4294967295
	s_addc_u32 s15, s15, (.LBB1_1138-.Lpost_getpc2613)>>32
	s_setpc_b64 s[14:15]
.LBB1_5236:
	v_cmp_ne_u16_e32 vcc, 0, v13
	s_andn2_b64 s[4:5], s[4:5], exec
	s_and_b64 s[8:9], vcc, exec
	v_mov_b32_e32 v12, 0
	s_or_b64 s[4:5], s[4:5], s[8:9]
	s_or_b64 exec, exec, s[6:7]
	s_and_saveexec_b64 s[6:7], s[4:5]
	s_cbranch_execz .LBB1_8761
; %bb.13421:
	s_getpc_b64 s[14:15]
.Lpost_getpc2614:
	s_add_u32 s14, s14, (.LBB1_1139-.Lpost_getpc2614)&4294967295
	s_addc_u32 s15, s15, (.LBB1_1139-.Lpost_getpc2614)>>32
	s_setpc_b64 s[14:15]
.LBB1_8761:
	s_getpc_b64 s[14:15]
.Lpost_getpc284:
	s_add_u32 s14, s14, (.LBB1_1140-.Lpost_getpc284)&4294967295
	s_addc_u32 s15, s15, (.LBB1_1140-.Lpost_getpc284)>>32
	s_setpc_b64 s[14:15]
.LBB1_5237:
	s_movk_i32 s4, 0x80
	v_cmp_eq_u16_e32 vcc, s4, v13
	s_mov_b64 s[4:5], -1
                                        ; implicit-def: $sgpr10
	s_and_saveexec_b64 s[8:9], vcc
; %bb.5238:
	s_mov_b32 s10, 0x7f800001
	s_xor_b64 s[4:5], exec, -1
; %bb.5239:
	s_or_b64 exec, exec, s[8:9]
	s_and_b64 s[4:5], s[4:5], exec
                                        ; implicit-def: $vgpr13
	s_or_saveexec_b64 s[6:7], s[6:7]
	v_mov_b32_e32 v14, s10
	s_xor_b64 exec, exec, s[6:7]
	s_cbranch_execnz .LBB1_5240
; %bb.13423:
	s_getpc_b64 s[14:15]
.Lpost_getpc2615:
	s_add_u32 s14, s14, (.LBB1_1142-.Lpost_getpc2615)&4294967295
	s_addc_u32 s15, s15, (.LBB1_1142-.Lpost_getpc2615)>>32
	s_setpc_b64 s[14:15]
.LBB1_5240:
	v_cmp_ne_u16_e32 vcc, 0, v13
	s_andn2_b64 s[4:5], s[4:5], exec
	s_and_b64 s[8:9], vcc, exec
	v_mov_b32_e32 v14, 0
	s_or_b64 s[4:5], s[4:5], s[8:9]
	s_or_b64 exec, exec, s[6:7]
	s_and_saveexec_b64 s[6:7], s[4:5]
	s_cbranch_execz .LBB1_8763
; %bb.13425:
	s_getpc_b64 s[14:15]
.Lpost_getpc2616:
	s_add_u32 s14, s14, (.LBB1_1143-.Lpost_getpc2616)&4294967295
	s_addc_u32 s15, s15, (.LBB1_1143-.Lpost_getpc2616)>>32
	s_setpc_b64 s[14:15]
.LBB1_8763:
	s_getpc_b64 s[14:15]
.Lpost_getpc285:
	s_add_u32 s14, s14, (.LBB1_1144-.Lpost_getpc285)&4294967295
	s_addc_u32 s15, s15, (.LBB1_1144-.Lpost_getpc285)>>32
	s_setpc_b64 s[14:15]
.LBB1_5241:
	s_movk_i32 s4, 0x80
	v_cmp_eq_u16_sdwa s[12:13], v19, s4 src0_sel:BYTE_3 src1_sel:DWORD
	s_mov_b64 s[4:5], -1
                                        ; implicit-def: $sgpr10
	s_and_saveexec_b64 s[8:9], s[12:13]
; %bb.5242:
	s_mov_b32 s10, 0x7f800001
	s_xor_b64 s[4:5], exec, -1
; %bb.5243:
	s_or_b64 exec, exec, s[8:9]
	s_and_b64 s[4:5], s[4:5], exec
	s_or_saveexec_b64 s[6:7], s[6:7]
	v_mov_b32_e32 v12, s10
	s_xor_b64 exec, exec, s[6:7]
	s_cbranch_execnz .LBB1_5244
; %bb.13427:
	s_getpc_b64 s[14:15]
.Lpost_getpc2617:
	s_add_u32 s14, s14, (.LBB1_1146-.Lpost_getpc2617)&4294967295
	s_addc_u32 s15, s15, (.LBB1_1146-.Lpost_getpc2617)>>32
	s_setpc_b64 s[14:15]
.LBB1_5244:
	v_mov_b32_e32 v12, 0
	v_cmp_ne_u16_sdwa s[8:9], v19, v12 src0_sel:BYTE_3 src1_sel:DWORD
	s_andn2_b64 s[4:5], s[4:5], exec
	s_and_b64 s[8:9], s[8:9], exec
	s_or_b64 s[4:5], s[4:5], s[8:9]
	s_or_b64 exec, exec, s[6:7]
	s_and_saveexec_b64 s[6:7], s[4:5]
	s_cbranch_execz .LBB1_8765
; %bb.13429:
	s_getpc_b64 s[14:15]
.Lpost_getpc2618:
	s_add_u32 s14, s14, (.LBB1_1147-.Lpost_getpc2618)&4294967295
	s_addc_u32 s15, s15, (.LBB1_1147-.Lpost_getpc2618)>>32
	s_setpc_b64 s[14:15]
.LBB1_8765:
	s_getpc_b64 s[14:15]
.Lpost_getpc286:
	s_add_u32 s14, s14, (.LBB1_1148-.Lpost_getpc286)&4294967295
	s_addc_u32 s15, s15, (.LBB1_1148-.Lpost_getpc286)>>32
	s_setpc_b64 s[14:15]
.LBB1_5245:
	s_movk_i32 s4, 0x80
	v_cmp_eq_u16_sdwa s[12:13], v15, s4 src0_sel:BYTE_3 src1_sel:DWORD
	s_mov_b64 s[4:5], -1
                                        ; implicit-def: $sgpr10
	s_and_saveexec_b64 s[8:9], s[12:13]
; %bb.5246:
	s_mov_b32 s10, 0x7f800001
	s_xor_b64 s[4:5], exec, -1
; %bb.5247:
	s_or_b64 exec, exec, s[8:9]
	s_and_b64 s[4:5], s[4:5], exec
	s_or_saveexec_b64 s[6:7], s[6:7]
	v_mov_b32_e32 v13, s10
	s_xor_b64 exec, exec, s[6:7]
	s_cbranch_execnz .LBB1_5248
; %bb.13431:
	s_getpc_b64 s[14:15]
.Lpost_getpc2619:
	s_add_u32 s14, s14, (.LBB1_1150-.Lpost_getpc2619)&4294967295
	s_addc_u32 s15, s15, (.LBB1_1150-.Lpost_getpc2619)>>32
	s_setpc_b64 s[14:15]
.LBB1_5248:
	v_mov_b32_e32 v13, 0
	v_cmp_ne_u16_sdwa s[8:9], v15, v13 src0_sel:BYTE_3 src1_sel:DWORD
	s_andn2_b64 s[4:5], s[4:5], exec
	s_and_b64 s[8:9], s[8:9], exec
	s_or_b64 s[4:5], s[4:5], s[8:9]
	s_or_b64 exec, exec, s[6:7]
	s_and_saveexec_b64 s[6:7], s[4:5]
	s_cbranch_execz .LBB1_8767
; %bb.13433:
	s_getpc_b64 s[14:15]
.Lpost_getpc2620:
	s_add_u32 s14, s14, (.LBB1_1151-.Lpost_getpc2620)&4294967295
	s_addc_u32 s15, s15, (.LBB1_1151-.Lpost_getpc2620)>>32
	s_setpc_b64 s[14:15]
.LBB1_8767:
	s_getpc_b64 s[14:15]
.Lpost_getpc287:
	s_add_u32 s14, s14, (.LBB1_1152-.Lpost_getpc287)&4294967295
	s_addc_u32 s15, s15, (.LBB1_1152-.Lpost_getpc287)>>32
	s_setpc_b64 s[14:15]
.LBB1_5249:
	s_movk_i32 s4, 0x80
	v_cmp_eq_u16_sdwa s[12:13], v16, s4 src0_sel:BYTE_0 src1_sel:DWORD
	s_mov_b64 s[4:5], -1
                                        ; implicit-def: $sgpr10
	s_and_saveexec_b64 s[8:9], s[12:13]
; %bb.5250:
	s_mov_b32 s10, 0x7f800001
	s_xor_b64 s[4:5], exec, -1
; %bb.5251:
	s_or_b64 exec, exec, s[8:9]
	s_and_b64 s[4:5], s[4:5], exec
	s_or_saveexec_b64 s[6:7], s[6:7]
	v_mov_b32_e32 v21, s10
	s_xor_b64 exec, exec, s[6:7]
	s_cbranch_execnz .LBB1_5252
; %bb.13435:
	s_getpc_b64 s[14:15]
.Lpost_getpc2621:
	s_add_u32 s14, s14, (.LBB1_1154-.Lpost_getpc2621)&4294967295
	s_addc_u32 s15, s15, (.LBB1_1154-.Lpost_getpc2621)>>32
	s_setpc_b64 s[14:15]
.LBB1_5252:
	v_mov_b32_e32 v21, 0
	v_cmp_ne_u16_sdwa s[8:9], v16, v21 src0_sel:BYTE_0 src1_sel:DWORD
	s_andn2_b64 s[4:5], s[4:5], exec
	s_and_b64 s[8:9], s[8:9], exec
	s_or_b64 s[4:5], s[4:5], s[8:9]
	s_or_b64 exec, exec, s[6:7]
	s_and_saveexec_b64 s[6:7], s[4:5]
	s_cbranch_execz .LBB1_8769
; %bb.13437:
	s_getpc_b64 s[14:15]
.Lpost_getpc2622:
	s_add_u32 s14, s14, (.LBB1_1155-.Lpost_getpc2622)&4294967295
	s_addc_u32 s15, s15, (.LBB1_1155-.Lpost_getpc2622)>>32
	s_setpc_b64 s[14:15]
.LBB1_8769:
	s_getpc_b64 s[14:15]
.Lpost_getpc288:
	s_add_u32 s14, s14, (.LBB1_1156-.Lpost_getpc288)&4294967295
	s_addc_u32 s15, s15, (.LBB1_1156-.Lpost_getpc288)>>32
	s_setpc_b64 s[14:15]
.LBB1_5253:
	s_movk_i32 s4, 0x80
	v_cmp_eq_u16_sdwa s[12:13], v12, s4 src0_sel:BYTE_0 src1_sel:DWORD
	s_mov_b64 s[4:5], -1
                                        ; implicit-def: $sgpr10
	s_and_saveexec_b64 s[8:9], s[12:13]
; %bb.5254:
	s_mov_b32 s10, 0x7f800001
	s_xor_b64 s[4:5], exec, -1
; %bb.5255:
	s_or_b64 exec, exec, s[8:9]
	s_and_b64 s[4:5], s[4:5], exec
	s_or_saveexec_b64 s[6:7], s[6:7]
	v_mov_b32_e32 v22, s10
	s_xor_b64 exec, exec, s[6:7]
	s_cbranch_execnz .LBB1_5256
; %bb.13439:
	s_getpc_b64 s[14:15]
.Lpost_getpc2623:
	s_add_u32 s14, s14, (.LBB1_1158-.Lpost_getpc2623)&4294967295
	s_addc_u32 s15, s15, (.LBB1_1158-.Lpost_getpc2623)>>32
	s_setpc_b64 s[14:15]
.LBB1_5256:
	v_mov_b32_e32 v22, 0
	v_cmp_ne_u16_sdwa s[8:9], v12, v22 src0_sel:BYTE_0 src1_sel:DWORD
	s_andn2_b64 s[4:5], s[4:5], exec
	s_and_b64 s[8:9], s[8:9], exec
	s_or_b64 s[4:5], s[4:5], s[8:9]
	s_or_b64 exec, exec, s[6:7]
	s_and_saveexec_b64 s[6:7], s[4:5]
	s_cbranch_execz .LBB1_8771
; %bb.13441:
	s_getpc_b64 s[14:15]
.Lpost_getpc2624:
	s_add_u32 s14, s14, (.LBB1_1159-.Lpost_getpc2624)&4294967295
	s_addc_u32 s15, s15, (.LBB1_1159-.Lpost_getpc2624)>>32
	s_setpc_b64 s[14:15]
.LBB1_8771:
	s_getpc_b64 s[14:15]
.Lpost_getpc289:
	s_add_u32 s14, s14, (.LBB1_1160-.Lpost_getpc289)&4294967295
	s_addc_u32 s15, s15, (.LBB1_1160-.Lpost_getpc289)>>32
	s_setpc_b64 s[14:15]
.LBB1_5257:
	s_movk_i32 s4, 0x80
	v_cmp_eq_u16_sdwa s[12:13], v22, s4 src0_sel:BYTE_0 src1_sel:DWORD
	s_mov_b64 s[4:5], -1
                                        ; implicit-def: $sgpr10
	s_and_saveexec_b64 s[8:9], s[12:13]
; %bb.5258:
	s_mov_b32 s10, 0x7f800001
	s_xor_b64 s[4:5], exec, -1
; %bb.5259:
	s_or_b64 exec, exec, s[8:9]
	s_and_b64 s[4:5], s[4:5], exec
	s_or_saveexec_b64 s[6:7], s[6:7]
	v_mov_b32_e32 v21, s10
	s_xor_b64 exec, exec, s[6:7]
	s_cbranch_execnz .LBB1_5260
; %bb.13443:
	s_getpc_b64 s[14:15]
.Lpost_getpc2625:
	s_add_u32 s14, s14, (.LBB1_1162-.Lpost_getpc2625)&4294967295
	s_addc_u32 s15, s15, (.LBB1_1162-.Lpost_getpc2625)>>32
	s_setpc_b64 s[14:15]
.LBB1_5260:
	v_mov_b32_e32 v21, 0
	v_cmp_ne_u16_sdwa s[8:9], v22, v21 src0_sel:BYTE_0 src1_sel:DWORD
	s_andn2_b64 s[4:5], s[4:5], exec
	s_and_b64 s[8:9], s[8:9], exec
	s_or_b64 s[4:5], s[4:5], s[8:9]
	s_or_b64 exec, exec, s[6:7]
	s_and_saveexec_b64 s[6:7], s[4:5]
	s_cbranch_execz .LBB1_8773
; %bb.13445:
	s_getpc_b64 s[14:15]
.Lpost_getpc2626:
	s_add_u32 s14, s14, (.LBB1_1163-.Lpost_getpc2626)&4294967295
	s_addc_u32 s15, s15, (.LBB1_1163-.Lpost_getpc2626)>>32
	s_setpc_b64 s[14:15]
.LBB1_8773:
	s_getpc_b64 s[14:15]
.Lpost_getpc290:
	s_add_u32 s14, s14, (.LBB1_1164-.Lpost_getpc290)&4294967295
	s_addc_u32 s15, s15, (.LBB1_1164-.Lpost_getpc290)>>32
	s_setpc_b64 s[14:15]
.LBB1_5261:
	s_movk_i32 s4, 0x80
	v_cmp_eq_u16_sdwa s[12:13], v22, s4 src0_sel:BYTE_0 src1_sel:DWORD
	s_mov_b64 s[4:5], -1
                                        ; implicit-def: $sgpr10
	s_and_saveexec_b64 s[8:9], s[12:13]
; %bb.5262:
	s_mov_b32 s10, 0x7f800001
	s_xor_b64 s[4:5], exec, -1
; %bb.5263:
	s_or_b64 exec, exec, s[8:9]
	s_and_b64 s[4:5], s[4:5], exec
	s_or_saveexec_b64 s[6:7], s[6:7]
	v_mov_b32_e32 v23, s10
	s_xor_b64 exec, exec, s[6:7]
	s_cbranch_execnz .LBB1_5264
; %bb.13447:
	s_getpc_b64 s[14:15]
.Lpost_getpc2627:
	s_add_u32 s14, s14, (.LBB1_1166-.Lpost_getpc2627)&4294967295
	s_addc_u32 s15, s15, (.LBB1_1166-.Lpost_getpc2627)>>32
	s_setpc_b64 s[14:15]
.LBB1_5264:
	v_mov_b32_e32 v23, 0
	v_cmp_ne_u16_sdwa s[8:9], v22, v23 src0_sel:BYTE_0 src1_sel:DWORD
	s_andn2_b64 s[4:5], s[4:5], exec
	s_and_b64 s[8:9], s[8:9], exec
	s_or_b64 s[4:5], s[4:5], s[8:9]
	s_or_b64 exec, exec, s[6:7]
	s_and_saveexec_b64 s[6:7], s[4:5]
	s_cbranch_execz .LBB1_8775
; %bb.13449:
	s_getpc_b64 s[14:15]
.Lpost_getpc2628:
	s_add_u32 s14, s14, (.LBB1_1167-.Lpost_getpc2628)&4294967295
	s_addc_u32 s15, s15, (.LBB1_1167-.Lpost_getpc2628)>>32
	s_setpc_b64 s[14:15]
.LBB1_8775:
	s_getpc_b64 s[14:15]
.Lpost_getpc291:
	s_add_u32 s14, s14, (.LBB1_1168-.Lpost_getpc291)&4294967295
	s_addc_u32 s15, s15, (.LBB1_1168-.Lpost_getpc291)>>32
	s_setpc_b64 s[14:15]
.LBB1_5265:
	s_movk_i32 s4, 0x80
	v_cmp_eq_u16_e32 vcc, s4, v22
	s_mov_b64 s[4:5], -1
                                        ; implicit-def: $sgpr10
	s_and_saveexec_b64 s[8:9], vcc
; %bb.5266:
	s_mov_b32 s10, 0x7f800001
	s_xor_b64 s[4:5], exec, -1
; %bb.5267:
	s_or_b64 exec, exec, s[8:9]
	s_and_b64 s[4:5], s[4:5], exec
                                        ; implicit-def: $vgpr22
	s_or_saveexec_b64 s[6:7], s[6:7]
	v_mov_b32_e32 v21, s10
	s_xor_b64 exec, exec, s[6:7]
	s_cbranch_execnz .LBB1_5268
; %bb.13451:
	s_getpc_b64 s[14:15]
.Lpost_getpc2629:
	s_add_u32 s14, s14, (.LBB1_1170-.Lpost_getpc2629)&4294967295
	s_addc_u32 s15, s15, (.LBB1_1170-.Lpost_getpc2629)>>32
	s_setpc_b64 s[14:15]
.LBB1_5268:
	v_cmp_ne_u16_e32 vcc, 0, v22
	s_andn2_b64 s[4:5], s[4:5], exec
	s_and_b64 s[8:9], vcc, exec
	v_mov_b32_e32 v21, 0
	s_or_b64 s[4:5], s[4:5], s[8:9]
	s_or_b64 exec, exec, s[6:7]
	s_and_saveexec_b64 s[6:7], s[4:5]
	s_cbranch_execz .LBB1_8777
; %bb.13453:
	s_getpc_b64 s[14:15]
.Lpost_getpc2630:
	s_add_u32 s14, s14, (.LBB1_1171-.Lpost_getpc2630)&4294967295
	s_addc_u32 s15, s15, (.LBB1_1171-.Lpost_getpc2630)>>32
	s_setpc_b64 s[14:15]
.LBB1_8777:
	s_getpc_b64 s[14:15]
.Lpost_getpc292:
	s_add_u32 s14, s14, (.LBB1_1172-.Lpost_getpc292)&4294967295
	s_addc_u32 s15, s15, (.LBB1_1172-.Lpost_getpc292)>>32
	s_setpc_b64 s[14:15]
.LBB1_5269:
	s_movk_i32 s4, 0x80
	v_cmp_eq_u16_e32 vcc, s4, v22
	s_mov_b64 s[4:5], -1
                                        ; implicit-def: $sgpr10
	s_and_saveexec_b64 s[8:9], vcc
; %bb.5270:
	s_mov_b32 s10, 0x7f800001
	s_xor_b64 s[4:5], exec, -1
; %bb.5271:
	s_or_b64 exec, exec, s[8:9]
	s_and_b64 s[4:5], s[4:5], exec
                                        ; implicit-def: $vgpr22
	s_or_saveexec_b64 s[6:7], s[6:7]
	v_mov_b32_e32 v23, s10
	s_xor_b64 exec, exec, s[6:7]
	s_cbranch_execnz .LBB1_5272
; %bb.13455:
	s_getpc_b64 s[14:15]
.Lpost_getpc2631:
	s_add_u32 s14, s14, (.LBB1_1174-.Lpost_getpc2631)&4294967295
	s_addc_u32 s15, s15, (.LBB1_1174-.Lpost_getpc2631)>>32
	s_setpc_b64 s[14:15]
.LBB1_5272:
	v_cmp_ne_u16_e32 vcc, 0, v22
	s_andn2_b64 s[4:5], s[4:5], exec
	s_and_b64 s[8:9], vcc, exec
	v_mov_b32_e32 v23, 0
	s_or_b64 s[4:5], s[4:5], s[8:9]
	s_or_b64 exec, exec, s[6:7]
	s_and_saveexec_b64 s[6:7], s[4:5]
	s_cbranch_execz .LBB1_8779
; %bb.13457:
	s_getpc_b64 s[14:15]
.Lpost_getpc2632:
	s_add_u32 s14, s14, (.LBB1_1175-.Lpost_getpc2632)&4294967295
	s_addc_u32 s15, s15, (.LBB1_1175-.Lpost_getpc2632)>>32
	s_setpc_b64 s[14:15]
.LBB1_8779:
	s_getpc_b64 s[14:15]
.Lpost_getpc293:
	s_add_u32 s14, s14, (.LBB1_1176-.Lpost_getpc293)&4294967295
	s_addc_u32 s15, s15, (.LBB1_1176-.Lpost_getpc293)>>32
	s_setpc_b64 s[14:15]
.LBB1_5273:
	s_movk_i32 s4, 0x80
	v_cmp_eq_u16_sdwa s[12:13], v16, s4 src0_sel:BYTE_3 src1_sel:DWORD
	s_mov_b64 s[4:5], -1
                                        ; implicit-def: $sgpr10
	s_and_saveexec_b64 s[8:9], s[12:13]
; %bb.5274:
	s_mov_b32 s10, 0x7f800001
	s_xor_b64 s[4:5], exec, -1
; %bb.5275:
	s_or_b64 exec, exec, s[8:9]
	s_and_b64 s[4:5], s[4:5], exec
	s_or_saveexec_b64 s[6:7], s[6:7]
	v_mov_b32_e32 v21, s10
	s_xor_b64 exec, exec, s[6:7]
	s_cbranch_execnz .LBB1_5276
; %bb.13459:
	s_getpc_b64 s[14:15]
.Lpost_getpc2633:
	s_add_u32 s14, s14, (.LBB1_1178-.Lpost_getpc2633)&4294967295
	s_addc_u32 s15, s15, (.LBB1_1178-.Lpost_getpc2633)>>32
	s_setpc_b64 s[14:15]
.LBB1_5276:
	v_mov_b32_e32 v21, 0
	v_cmp_ne_u16_sdwa s[8:9], v16, v21 src0_sel:BYTE_3 src1_sel:DWORD
	s_andn2_b64 s[4:5], s[4:5], exec
	s_and_b64 s[8:9], s[8:9], exec
	s_or_b64 s[4:5], s[4:5], s[8:9]
	s_or_b64 exec, exec, s[6:7]
	s_and_saveexec_b64 s[6:7], s[4:5]
	s_cbranch_execz .LBB1_8781
; %bb.13461:
	s_getpc_b64 s[14:15]
.Lpost_getpc2634:
	s_add_u32 s14, s14, (.LBB1_1179-.Lpost_getpc2634)&4294967295
	s_addc_u32 s15, s15, (.LBB1_1179-.Lpost_getpc2634)>>32
	s_setpc_b64 s[14:15]
.LBB1_8781:
	s_getpc_b64 s[14:15]
.Lpost_getpc294:
	s_add_u32 s14, s14, (.LBB1_1180-.Lpost_getpc294)&4294967295
	s_addc_u32 s15, s15, (.LBB1_1180-.Lpost_getpc294)>>32
	s_setpc_b64 s[14:15]
.LBB1_5277:
	s_movk_i32 s4, 0x80
	v_cmp_eq_u16_sdwa s[12:13], v12, s4 src0_sel:BYTE_3 src1_sel:DWORD
	s_mov_b64 s[4:5], -1
                                        ; implicit-def: $sgpr10
	s_and_saveexec_b64 s[8:9], s[12:13]
; %bb.5278:
	s_mov_b32 s10, 0x7f800001
	s_xor_b64 s[4:5], exec, -1
; %bb.5279:
	s_or_b64 exec, exec, s[8:9]
	s_and_b64 s[4:5], s[4:5], exec
	s_or_saveexec_b64 s[6:7], s[6:7]
	v_mov_b32_e32 v16, s10
	s_xor_b64 exec, exec, s[6:7]
	s_cbranch_execnz .LBB1_5280
; %bb.13463:
	s_getpc_b64 s[14:15]
.Lpost_getpc2635:
	s_add_u32 s14, s14, (.LBB1_1182-.Lpost_getpc2635)&4294967295
	s_addc_u32 s15, s15, (.LBB1_1182-.Lpost_getpc2635)>>32
	s_setpc_b64 s[14:15]
.LBB1_5280:
	v_mov_b32_e32 v16, 0
	v_cmp_ne_u16_sdwa s[8:9], v12, v16 src0_sel:BYTE_3 src1_sel:DWORD
	s_andn2_b64 s[4:5], s[4:5], exec
	s_and_b64 s[8:9], s[8:9], exec
	s_or_b64 s[4:5], s[4:5], s[8:9]
	s_or_b64 exec, exec, s[6:7]
	s_and_saveexec_b64 s[6:7], s[4:5]
	s_cbranch_execz .LBB1_8783
; %bb.13465:
	s_getpc_b64 s[14:15]
.Lpost_getpc2636:
	s_add_u32 s14, s14, (.LBB1_1183-.Lpost_getpc2636)&4294967295
	s_addc_u32 s15, s15, (.LBB1_1183-.Lpost_getpc2636)>>32
	s_setpc_b64 s[14:15]
.LBB1_8783:
	s_getpc_b64 s[14:15]
.Lpost_getpc295:
	s_add_u32 s14, s14, (.LBB1_1184-.Lpost_getpc295)&4294967295
	s_addc_u32 s15, s15, (.LBB1_1184-.Lpost_getpc295)>>32
	s_setpc_b64 s[14:15]
.LBB1_5281:
	s_movk_i32 s4, 0x80
	v_cmp_eq_u16_sdwa s[12:13], v17, s4 src0_sel:BYTE_0 src1_sel:DWORD
	s_mov_b64 s[4:5], -1
                                        ; implicit-def: $sgpr10
	s_and_saveexec_b64 s[8:9], s[12:13]
; %bb.5282:
	s_mov_b32 s10, 0x7f800001
	s_xor_b64 s[4:5], exec, -1
; %bb.5283:
	s_or_b64 exec, exec, s[8:9]
	s_and_b64 s[4:5], s[4:5], exec
	s_or_saveexec_b64 s[6:7], s[6:7]
	v_mov_b32_e32 v12, s10
	s_xor_b64 exec, exec, s[6:7]
	s_cbranch_execnz .LBB1_5284
; %bb.13467:
	s_getpc_b64 s[14:15]
.Lpost_getpc2637:
	s_add_u32 s14, s14, (.LBB1_1186-.Lpost_getpc2637)&4294967295
	s_addc_u32 s15, s15, (.LBB1_1186-.Lpost_getpc2637)>>32
	s_setpc_b64 s[14:15]
.LBB1_5284:
	v_mov_b32_e32 v12, 0
	v_cmp_ne_u16_sdwa s[8:9], v17, v12 src0_sel:BYTE_0 src1_sel:DWORD
	s_andn2_b64 s[4:5], s[4:5], exec
	s_and_b64 s[8:9], s[8:9], exec
	s_or_b64 s[4:5], s[4:5], s[8:9]
	s_or_b64 exec, exec, s[6:7]
	s_and_saveexec_b64 s[6:7], s[4:5]
	s_cbranch_execz .LBB1_8785
; %bb.13469:
	s_getpc_b64 s[14:15]
.Lpost_getpc2638:
	s_add_u32 s14, s14, (.LBB1_1187-.Lpost_getpc2638)&4294967295
	s_addc_u32 s15, s15, (.LBB1_1187-.Lpost_getpc2638)>>32
	s_setpc_b64 s[14:15]
.LBB1_8785:
	s_getpc_b64 s[14:15]
.Lpost_getpc296:
	s_add_u32 s14, s14, (.LBB1_1188-.Lpost_getpc296)&4294967295
	s_addc_u32 s15, s15, (.LBB1_1188-.Lpost_getpc296)>>32
	s_setpc_b64 s[14:15]
.LBB1_5285:
	s_movk_i32 s4, 0x80
	v_cmp_eq_u16_sdwa s[12:13], v13, s4 src0_sel:BYTE_0 src1_sel:DWORD
	s_mov_b64 s[4:5], -1
                                        ; implicit-def: $sgpr10
	s_and_saveexec_b64 s[8:9], s[12:13]
; %bb.5286:
	s_mov_b32 s10, 0x7f800001
	s_xor_b64 s[4:5], exec, -1
; %bb.5287:
	s_or_b64 exec, exec, s[8:9]
	s_and_b64 s[4:5], s[4:5], exec
	s_or_saveexec_b64 s[6:7], s[6:7]
	v_mov_b32_e32 v16, s10
	s_xor_b64 exec, exec, s[6:7]
	s_cbranch_execnz .LBB1_5288
; %bb.13471:
	s_getpc_b64 s[14:15]
.Lpost_getpc2639:
	s_add_u32 s14, s14, (.LBB1_1190-.Lpost_getpc2639)&4294967295
	s_addc_u32 s15, s15, (.LBB1_1190-.Lpost_getpc2639)>>32
	s_setpc_b64 s[14:15]
.LBB1_5288:
	v_mov_b32_e32 v16, 0
	v_cmp_ne_u16_sdwa s[8:9], v13, v16 src0_sel:BYTE_0 src1_sel:DWORD
	s_andn2_b64 s[4:5], s[4:5], exec
	s_and_b64 s[8:9], s[8:9], exec
	s_or_b64 s[4:5], s[4:5], s[8:9]
	s_or_b64 exec, exec, s[6:7]
	s_and_saveexec_b64 s[6:7], s[4:5]
	s_cbranch_execz .LBB1_8787
; %bb.13473:
	s_getpc_b64 s[14:15]
.Lpost_getpc2640:
	s_add_u32 s14, s14, (.LBB1_1191-.Lpost_getpc2640)&4294967295
	s_addc_u32 s15, s15, (.LBB1_1191-.Lpost_getpc2640)>>32
	s_setpc_b64 s[14:15]
.LBB1_8787:
	s_getpc_b64 s[14:15]
.Lpost_getpc297:
	s_add_u32 s14, s14, (.LBB1_1192-.Lpost_getpc297)&4294967295
	s_addc_u32 s15, s15, (.LBB1_1192-.Lpost_getpc297)>>32
	s_setpc_b64 s[14:15]
.LBB1_5289:
	s_movk_i32 s4, 0x80
	v_cmp_eq_u16_sdwa s[12:13], v16, s4 src0_sel:BYTE_0 src1_sel:DWORD
	s_mov_b64 s[4:5], -1
                                        ; implicit-def: $sgpr10
	s_and_saveexec_b64 s[8:9], s[12:13]
; %bb.5290:
	s_mov_b32 s10, 0x7f800001
	s_xor_b64 s[4:5], exec, -1
; %bb.5291:
	s_or_b64 exec, exec, s[8:9]
	s_and_b64 s[4:5], s[4:5], exec
	s_or_saveexec_b64 s[6:7], s[6:7]
	v_mov_b32_e32 v12, s10
	s_xor_b64 exec, exec, s[6:7]
	s_cbranch_execnz .LBB1_5292
; %bb.13475:
	s_getpc_b64 s[14:15]
.Lpost_getpc2641:
	s_add_u32 s14, s14, (.LBB1_1194-.Lpost_getpc2641)&4294967295
	s_addc_u32 s15, s15, (.LBB1_1194-.Lpost_getpc2641)>>32
	s_setpc_b64 s[14:15]
.LBB1_5292:
	v_mov_b32_e32 v12, 0
	v_cmp_ne_u16_sdwa s[8:9], v16, v12 src0_sel:BYTE_0 src1_sel:DWORD
	s_andn2_b64 s[4:5], s[4:5], exec
	s_and_b64 s[8:9], s[8:9], exec
	s_or_b64 s[4:5], s[4:5], s[8:9]
	s_or_b64 exec, exec, s[6:7]
	s_and_saveexec_b64 s[6:7], s[4:5]
	s_cbranch_execz .LBB1_8789
; %bb.13477:
	s_getpc_b64 s[14:15]
.Lpost_getpc2642:
	s_add_u32 s14, s14, (.LBB1_1195-.Lpost_getpc2642)&4294967295
	s_addc_u32 s15, s15, (.LBB1_1195-.Lpost_getpc2642)>>32
	s_setpc_b64 s[14:15]
.LBB1_8789:
	s_getpc_b64 s[14:15]
.Lpost_getpc298:
	s_add_u32 s14, s14, (.LBB1_1196-.Lpost_getpc298)&4294967295
	s_addc_u32 s15, s15, (.LBB1_1196-.Lpost_getpc298)>>32
	s_setpc_b64 s[14:15]
.LBB1_5293:
	s_movk_i32 s4, 0x80
	v_cmp_eq_u16_sdwa s[12:13], v16, s4 src0_sel:BYTE_0 src1_sel:DWORD
	s_mov_b64 s[4:5], -1
                                        ; implicit-def: $sgpr10
	s_and_saveexec_b64 s[8:9], s[12:13]
; %bb.5294:
	s_mov_b32 s10, 0x7f800001
	s_xor_b64 s[4:5], exec, -1
; %bb.5295:
	s_or_b64 exec, exec, s[8:9]
	s_and_b64 s[4:5], s[4:5], exec
	s_or_saveexec_b64 s[6:7], s[6:7]
	v_mov_b32_e32 v21, s10
	s_xor_b64 exec, exec, s[6:7]
	s_cbranch_execnz .LBB1_5296
; %bb.13479:
	s_getpc_b64 s[14:15]
.Lpost_getpc2643:
	s_add_u32 s14, s14, (.LBB1_1198-.Lpost_getpc2643)&4294967295
	s_addc_u32 s15, s15, (.LBB1_1198-.Lpost_getpc2643)>>32
	s_setpc_b64 s[14:15]
.LBB1_5296:
	v_mov_b32_e32 v21, 0
	v_cmp_ne_u16_sdwa s[8:9], v16, v21 src0_sel:BYTE_0 src1_sel:DWORD
	s_andn2_b64 s[4:5], s[4:5], exec
	s_and_b64 s[8:9], s[8:9], exec
	s_or_b64 s[4:5], s[4:5], s[8:9]
	s_or_b64 exec, exec, s[6:7]
	s_and_saveexec_b64 s[6:7], s[4:5]
	s_cbranch_execz .LBB1_8791
; %bb.13481:
	s_getpc_b64 s[14:15]
.Lpost_getpc2644:
	s_add_u32 s14, s14, (.LBB1_1199-.Lpost_getpc2644)&4294967295
	s_addc_u32 s15, s15, (.LBB1_1199-.Lpost_getpc2644)>>32
	s_setpc_b64 s[14:15]
.LBB1_8791:
	s_getpc_b64 s[14:15]
.Lpost_getpc299:
	s_add_u32 s14, s14, (.LBB1_1200-.Lpost_getpc299)&4294967295
	s_addc_u32 s15, s15, (.LBB1_1200-.Lpost_getpc299)>>32
	s_setpc_b64 s[14:15]
.LBB1_5297:
	s_movk_i32 s4, 0x80
	v_cmp_eq_u16_e32 vcc, s4, v16
	s_mov_b64 s[4:5], -1
                                        ; implicit-def: $sgpr10
	s_and_saveexec_b64 s[8:9], vcc
; %bb.5298:
	s_mov_b32 s10, 0x7f800001
	s_xor_b64 s[4:5], exec, -1
; %bb.5299:
	s_or_b64 exec, exec, s[8:9]
	s_and_b64 s[4:5], s[4:5], exec
                                        ; implicit-def: $vgpr16
	s_or_saveexec_b64 s[6:7], s[6:7]
	v_mov_b32_e32 v12, s10
	s_xor_b64 exec, exec, s[6:7]
	s_cbranch_execnz .LBB1_5300
; %bb.13483:
	s_getpc_b64 s[14:15]
.Lpost_getpc2645:
	s_add_u32 s14, s14, (.LBB1_1202-.Lpost_getpc2645)&4294967295
	s_addc_u32 s15, s15, (.LBB1_1202-.Lpost_getpc2645)>>32
	s_setpc_b64 s[14:15]
.LBB1_5300:
	v_cmp_ne_u16_e32 vcc, 0, v16
	s_andn2_b64 s[4:5], s[4:5], exec
	s_and_b64 s[8:9], vcc, exec
	v_mov_b32_e32 v12, 0
	s_or_b64 s[4:5], s[4:5], s[8:9]
	s_or_b64 exec, exec, s[6:7]
	s_and_saveexec_b64 s[6:7], s[4:5]
	s_cbranch_execz .LBB1_8793
; %bb.13485:
	s_getpc_b64 s[14:15]
.Lpost_getpc2646:
	s_add_u32 s14, s14, (.LBB1_1203-.Lpost_getpc2646)&4294967295
	s_addc_u32 s15, s15, (.LBB1_1203-.Lpost_getpc2646)>>32
	s_setpc_b64 s[14:15]
.LBB1_8793:
	s_getpc_b64 s[14:15]
.Lpost_getpc300:
	s_add_u32 s14, s14, (.LBB1_1204-.Lpost_getpc300)&4294967295
	s_addc_u32 s15, s15, (.LBB1_1204-.Lpost_getpc300)>>32
	s_setpc_b64 s[14:15]
.LBB1_5301:
	s_movk_i32 s4, 0x80
	v_cmp_eq_u16_e32 vcc, s4, v16
	s_mov_b64 s[4:5], -1
                                        ; implicit-def: $sgpr10
	s_and_saveexec_b64 s[8:9], vcc
; %bb.5302:
	s_mov_b32 s10, 0x7f800001
	s_xor_b64 s[4:5], exec, -1
; %bb.5303:
	s_or_b64 exec, exec, s[8:9]
	s_and_b64 s[4:5], s[4:5], exec
                                        ; implicit-def: $vgpr16
	s_or_saveexec_b64 s[6:7], s[6:7]
	v_mov_b32_e32 v21, s10
	s_xor_b64 exec, exec, s[6:7]
	s_cbranch_execnz .LBB1_5304
; %bb.13487:
	s_getpc_b64 s[14:15]
.Lpost_getpc2647:
	s_add_u32 s14, s14, (.LBB1_1206-.Lpost_getpc2647)&4294967295
	s_addc_u32 s15, s15, (.LBB1_1206-.Lpost_getpc2647)>>32
	s_setpc_b64 s[14:15]
.LBB1_5304:
	v_cmp_ne_u16_e32 vcc, 0, v16
	s_andn2_b64 s[4:5], s[4:5], exec
	s_and_b64 s[8:9], vcc, exec
	v_mov_b32_e32 v21, 0
	s_or_b64 s[4:5], s[4:5], s[8:9]
	s_or_b64 exec, exec, s[6:7]
	s_and_saveexec_b64 s[6:7], s[4:5]
	s_cbranch_execz .LBB1_8795
; %bb.13489:
	s_getpc_b64 s[14:15]
.Lpost_getpc2648:
	s_add_u32 s14, s14, (.LBB1_1207-.Lpost_getpc2648)&4294967295
	s_addc_u32 s15, s15, (.LBB1_1207-.Lpost_getpc2648)>>32
	s_setpc_b64 s[14:15]
.LBB1_8795:
	s_getpc_b64 s[14:15]
.Lpost_getpc301:
	s_add_u32 s14, s14, (.LBB1_1208-.Lpost_getpc301)&4294967295
	s_addc_u32 s15, s15, (.LBB1_1208-.Lpost_getpc301)>>32
	s_setpc_b64 s[14:15]
.LBB1_5305:
	s_movk_i32 s4, 0x80
	v_cmp_eq_u16_sdwa s[12:13], v17, s4 src0_sel:BYTE_3 src1_sel:DWORD
	s_mov_b64 s[4:5], -1
                                        ; implicit-def: $sgpr10
	s_and_saveexec_b64 s[8:9], s[12:13]
; %bb.5306:
	s_mov_b32 s10, 0x7f800001
	s_xor_b64 s[4:5], exec, -1
; %bb.5307:
	s_or_b64 exec, exec, s[8:9]
	s_and_b64 s[4:5], s[4:5], exec
	s_or_saveexec_b64 s[6:7], s[6:7]
	v_mov_b32_e32 v12, s10
	s_xor_b64 exec, exec, s[6:7]
	s_cbranch_execnz .LBB1_5308
; %bb.13491:
	s_getpc_b64 s[14:15]
.Lpost_getpc2649:
	s_add_u32 s14, s14, (.LBB1_1210-.Lpost_getpc2649)&4294967295
	s_addc_u32 s15, s15, (.LBB1_1210-.Lpost_getpc2649)>>32
	s_setpc_b64 s[14:15]
.LBB1_5308:
	v_mov_b32_e32 v12, 0
	v_cmp_ne_u16_sdwa s[8:9], v17, v12 src0_sel:BYTE_3 src1_sel:DWORD
	s_andn2_b64 s[4:5], s[4:5], exec
	s_and_b64 s[8:9], s[8:9], exec
	s_or_b64 s[4:5], s[4:5], s[8:9]
	s_or_b64 exec, exec, s[6:7]
	s_and_saveexec_b64 s[6:7], s[4:5]
	s_cbranch_execz .LBB1_8797
; %bb.13493:
	s_getpc_b64 s[14:15]
.Lpost_getpc2650:
	s_add_u32 s14, s14, (.LBB1_1211-.Lpost_getpc2650)&4294967295
	s_addc_u32 s15, s15, (.LBB1_1211-.Lpost_getpc2650)>>32
	s_setpc_b64 s[14:15]
.LBB1_8797:
	s_getpc_b64 s[14:15]
.Lpost_getpc302:
	s_add_u32 s14, s14, (.LBB1_1212-.Lpost_getpc302)&4294967295
	s_addc_u32 s15, s15, (.LBB1_1212-.Lpost_getpc302)>>32
	s_setpc_b64 s[14:15]
.LBB1_5309:
	s_movk_i32 s4, 0x80
	v_cmp_eq_u16_sdwa s[12:13], v13, s4 src0_sel:BYTE_3 src1_sel:DWORD
	s_mov_b64 s[4:5], -1
                                        ; implicit-def: $sgpr10
	s_and_saveexec_b64 s[8:9], s[12:13]
; %bb.5310:
	s_mov_b32 s10, 0x7f800001
	s_xor_b64 s[4:5], exec, -1
; %bb.5311:
	s_or_b64 exec, exec, s[8:9]
	s_and_b64 s[4:5], s[4:5], exec
	s_or_saveexec_b64 s[6:7], s[6:7]
	v_mov_b32_e32 v16, s10
	s_xor_b64 exec, exec, s[6:7]
	s_cbranch_execnz .LBB1_5312
; %bb.13495:
	s_getpc_b64 s[14:15]
.Lpost_getpc2651:
	s_add_u32 s14, s14, (.LBB1_1214-.Lpost_getpc2651)&4294967295
	s_addc_u32 s15, s15, (.LBB1_1214-.Lpost_getpc2651)>>32
	s_setpc_b64 s[14:15]
.LBB1_5312:
	v_mov_b32_e32 v16, 0
	v_cmp_ne_u16_sdwa s[8:9], v13, v16 src0_sel:BYTE_3 src1_sel:DWORD
	s_andn2_b64 s[4:5], s[4:5], exec
	s_and_b64 s[8:9], s[8:9], exec
	s_or_b64 s[4:5], s[4:5], s[8:9]
	s_or_b64 exec, exec, s[6:7]
	s_and_saveexec_b64 s[6:7], s[4:5]
	s_cbranch_execz .LBB1_8799
; %bb.13497:
	s_getpc_b64 s[14:15]
.Lpost_getpc2652:
	s_add_u32 s14, s14, (.LBB1_1215-.Lpost_getpc2652)&4294967295
	s_addc_u32 s15, s15, (.LBB1_1215-.Lpost_getpc2652)>>32
	s_setpc_b64 s[14:15]
.LBB1_8799:
	s_getpc_b64 s[14:15]
.Lpost_getpc303:
	s_add_u32 s14, s14, (.LBB1_1216-.Lpost_getpc303)&4294967295
	s_addc_u32 s15, s15, (.LBB1_1216-.Lpost_getpc303)>>32
	s_setpc_b64 s[14:15]
.LBB1_5313:
	s_movk_i32 s4, 0x80
	v_cmp_eq_u16_sdwa s[12:13], v18, s4 src0_sel:BYTE_0 src1_sel:DWORD
	s_mov_b64 s[4:5], -1
                                        ; implicit-def: $sgpr10
	s_and_saveexec_b64 s[8:9], s[12:13]
; %bb.5314:
	s_mov_b32 s10, 0x7f800001
	s_xor_b64 s[4:5], exec, -1
; %bb.5315:
	s_or_b64 exec, exec, s[8:9]
	s_and_b64 s[4:5], s[4:5], exec
	s_or_saveexec_b64 s[6:7], s[6:7]
	v_mov_b32_e32 v13, s10
	s_xor_b64 exec, exec, s[6:7]
	s_cbranch_execnz .LBB1_5316
; %bb.13499:
	s_getpc_b64 s[14:15]
.Lpost_getpc2653:
	s_add_u32 s14, s14, (.LBB1_1218-.Lpost_getpc2653)&4294967295
	s_addc_u32 s15, s15, (.LBB1_1218-.Lpost_getpc2653)>>32
	s_setpc_b64 s[14:15]
.LBB1_5316:
	v_mov_b32_e32 v13, 0
	v_cmp_ne_u16_sdwa s[8:9], v18, v13 src0_sel:BYTE_0 src1_sel:DWORD
	s_andn2_b64 s[4:5], s[4:5], exec
	s_and_b64 s[8:9], s[8:9], exec
	s_or_b64 s[4:5], s[4:5], s[8:9]
	s_or_b64 exec, exec, s[6:7]
	s_and_saveexec_b64 s[6:7], s[4:5]
	s_cbranch_execz .LBB1_8801
; %bb.13501:
	s_getpc_b64 s[14:15]
.Lpost_getpc2654:
	s_add_u32 s14, s14, (.LBB1_1219-.Lpost_getpc2654)&4294967295
	s_addc_u32 s15, s15, (.LBB1_1219-.Lpost_getpc2654)>>32
	s_setpc_b64 s[14:15]
.LBB1_8801:
	s_getpc_b64 s[14:15]
.Lpost_getpc304:
	s_add_u32 s14, s14, (.LBB1_1220-.Lpost_getpc304)&4294967295
	s_addc_u32 s15, s15, (.LBB1_1220-.Lpost_getpc304)>>32
	s_setpc_b64 s[14:15]
.LBB1_5317:
	s_movk_i32 s4, 0x80
	v_cmp_eq_u16_sdwa s[12:13], v16, s4 src0_sel:BYTE_0 src1_sel:DWORD
	s_mov_b64 s[4:5], -1
                                        ; implicit-def: $sgpr10
	s_and_saveexec_b64 s[8:9], s[12:13]
; %bb.5318:
	s_mov_b32 s10, 0x7f800001
	s_xor_b64 s[4:5], exec, -1
; %bb.5319:
	s_or_b64 exec, exec, s[8:9]
	s_and_b64 s[4:5], s[4:5], exec
	s_or_saveexec_b64 s[6:7], s[6:7]
	v_mov_b32_e32 v14, s10
	s_xor_b64 exec, exec, s[6:7]
	s_cbranch_execnz .LBB1_5320
; %bb.13503:
	s_getpc_b64 s[14:15]
.Lpost_getpc2655:
	s_add_u32 s14, s14, (.LBB1_1222-.Lpost_getpc2655)&4294967295
	s_addc_u32 s15, s15, (.LBB1_1222-.Lpost_getpc2655)>>32
	s_setpc_b64 s[14:15]
.LBB1_5320:
	v_mov_b32_e32 v14, 0
	v_cmp_ne_u16_sdwa s[8:9], v16, v14 src0_sel:BYTE_0 src1_sel:DWORD
	s_andn2_b64 s[4:5], s[4:5], exec
	s_and_b64 s[8:9], s[8:9], exec
	s_or_b64 s[4:5], s[4:5], s[8:9]
	s_or_b64 exec, exec, s[6:7]
	v_or_b32_sdwa v12, v16, v12 dst_sel:DWORD dst_unused:UNUSED_PAD src0_sel:WORD_0 src1_sel:DWORD
	s_and_saveexec_b64 s[6:7], s[4:5]
	s_cbranch_execz .LBB1_8803
; %bb.13505:
	s_getpc_b64 s[14:15]
.Lpost_getpc2656:
	s_add_u32 s14, s14, (.LBB1_1223-.Lpost_getpc2656)&4294967295
	s_addc_u32 s15, s15, (.LBB1_1223-.Lpost_getpc2656)>>32
	s_setpc_b64 s[14:15]
.LBB1_8803:
	s_getpc_b64 s[14:15]
.Lpost_getpc305:
	s_add_u32 s14, s14, (.LBB1_1224-.Lpost_getpc305)&4294967295
	s_addc_u32 s15, s15, (.LBB1_1224-.Lpost_getpc305)>>32
	s_setpc_b64 s[14:15]
.LBB1_5321:
	s_movk_i32 s4, 0x80
	v_cmp_eq_u16_sdwa s[12:13], v14, s4 src0_sel:BYTE_0 src1_sel:DWORD
	s_mov_b64 s[4:5], -1
                                        ; implicit-def: $sgpr10
	s_and_saveexec_b64 s[8:9], s[12:13]
; %bb.5322:
	s_mov_b32 s10, 0x7f800001
	s_xor_b64 s[4:5], exec, -1
; %bb.5323:
	s_or_b64 exec, exec, s[8:9]
	s_and_b64 s[4:5], s[4:5], exec
	s_or_saveexec_b64 s[6:7], s[6:7]
	v_mov_b32_e32 v13, s10
	s_xor_b64 exec, exec, s[6:7]
	s_cbranch_execnz .LBB1_5324
; %bb.13507:
	s_getpc_b64 s[14:15]
.Lpost_getpc2657:
	s_add_u32 s14, s14, (.LBB1_1226-.Lpost_getpc2657)&4294967295
	s_addc_u32 s15, s15, (.LBB1_1226-.Lpost_getpc2657)>>32
	s_setpc_b64 s[14:15]
.LBB1_5324:
	v_mov_b32_e32 v13, 0
	v_cmp_ne_u16_sdwa s[8:9], v14, v13 src0_sel:BYTE_0 src1_sel:DWORD
	s_andn2_b64 s[4:5], s[4:5], exec
	s_and_b64 s[8:9], s[8:9], exec
	s_or_b64 s[4:5], s[4:5], s[8:9]
	s_or_b64 exec, exec, s[6:7]
	s_and_saveexec_b64 s[6:7], s[4:5]
	s_cbranch_execz .LBB1_8805
; %bb.13509:
	s_getpc_b64 s[14:15]
.Lpost_getpc2658:
	s_add_u32 s14, s14, (.LBB1_1227-.Lpost_getpc2658)&4294967295
	s_addc_u32 s15, s15, (.LBB1_1227-.Lpost_getpc2658)>>32
	s_setpc_b64 s[14:15]
.LBB1_8805:
	s_getpc_b64 s[14:15]
.Lpost_getpc306:
	s_add_u32 s14, s14, (.LBB1_1228-.Lpost_getpc306)&4294967295
	s_addc_u32 s15, s15, (.LBB1_1228-.Lpost_getpc306)>>32
	s_setpc_b64 s[14:15]
.LBB1_5325:
	s_movk_i32 s4, 0x80
	v_cmp_eq_u16_sdwa s[12:13], v14, s4 src0_sel:BYTE_0 src1_sel:DWORD
	s_mov_b64 s[4:5], -1
                                        ; implicit-def: $sgpr10
	s_and_saveexec_b64 s[8:9], s[12:13]
; %bb.5326:
	s_mov_b32 s10, 0x7f800001
	s_xor_b64 s[4:5], exec, -1
; %bb.5327:
	s_or_b64 exec, exec, s[8:9]
	s_and_b64 s[4:5], s[4:5], exec
	s_or_saveexec_b64 s[6:7], s[6:7]
	v_mov_b32_e32 v16, s10
	s_xor_b64 exec, exec, s[6:7]
	s_cbranch_execnz .LBB1_5328
; %bb.13511:
	s_getpc_b64 s[14:15]
.Lpost_getpc2659:
	s_add_u32 s14, s14, (.LBB1_1230-.Lpost_getpc2659)&4294967295
	s_addc_u32 s15, s15, (.LBB1_1230-.Lpost_getpc2659)>>32
	s_setpc_b64 s[14:15]
.LBB1_5328:
	v_mov_b32_e32 v16, 0
	v_cmp_ne_u16_sdwa s[8:9], v14, v16 src0_sel:BYTE_0 src1_sel:DWORD
	s_andn2_b64 s[4:5], s[4:5], exec
	s_and_b64 s[8:9], s[8:9], exec
	s_or_b64 s[4:5], s[4:5], s[8:9]
	s_or_b64 exec, exec, s[6:7]
	s_and_saveexec_b64 s[6:7], s[4:5]
	s_cbranch_execz .LBB1_8807
; %bb.13513:
	s_getpc_b64 s[14:15]
.Lpost_getpc2660:
	s_add_u32 s14, s14, (.LBB1_1231-.Lpost_getpc2660)&4294967295
	s_addc_u32 s15, s15, (.LBB1_1231-.Lpost_getpc2660)>>32
	s_setpc_b64 s[14:15]
.LBB1_8807:
	s_getpc_b64 s[14:15]
.Lpost_getpc307:
	s_add_u32 s14, s14, (.LBB1_1232-.Lpost_getpc307)&4294967295
	s_addc_u32 s15, s15, (.LBB1_1232-.Lpost_getpc307)>>32
	s_setpc_b64 s[14:15]
.LBB1_5329:
	s_movk_i32 s4, 0x80
	v_cmp_eq_u16_e32 vcc, s4, v14
	s_mov_b64 s[4:5], -1
                                        ; implicit-def: $sgpr10
	s_and_saveexec_b64 s[8:9], vcc
; %bb.5330:
	s_mov_b32 s10, 0x7f800001
	s_xor_b64 s[4:5], exec, -1
; %bb.5331:
	s_or_b64 exec, exec, s[8:9]
	s_and_b64 s[4:5], s[4:5], exec
                                        ; implicit-def: $vgpr14
	s_or_saveexec_b64 s[6:7], s[6:7]
	v_mov_b32_e32 v13, s10
	s_xor_b64 exec, exec, s[6:7]
	s_cbranch_execnz .LBB1_5332
; %bb.13515:
	s_getpc_b64 s[14:15]
.Lpost_getpc2661:
	s_add_u32 s14, s14, (.LBB1_1234-.Lpost_getpc2661)&4294967295
	s_addc_u32 s15, s15, (.LBB1_1234-.Lpost_getpc2661)>>32
	s_setpc_b64 s[14:15]
.LBB1_5332:
	v_cmp_ne_u16_e32 vcc, 0, v14
	s_andn2_b64 s[4:5], s[4:5], exec
	s_and_b64 s[8:9], vcc, exec
	v_mov_b32_e32 v13, 0
	s_or_b64 s[4:5], s[4:5], s[8:9]
	s_or_b64 exec, exec, s[6:7]
	s_and_saveexec_b64 s[6:7], s[4:5]
	s_cbranch_execz .LBB1_8809
; %bb.13517:
	s_getpc_b64 s[14:15]
.Lpost_getpc2662:
	s_add_u32 s14, s14, (.LBB1_1235-.Lpost_getpc2662)&4294967295
	s_addc_u32 s15, s15, (.LBB1_1235-.Lpost_getpc2662)>>32
	s_setpc_b64 s[14:15]
.LBB1_8809:
	s_getpc_b64 s[14:15]
.Lpost_getpc308:
	s_add_u32 s14, s14, (.LBB1_1236-.Lpost_getpc308)&4294967295
	s_addc_u32 s15, s15, (.LBB1_1236-.Lpost_getpc308)>>32
	s_setpc_b64 s[14:15]
.LBB1_5333:
	s_movk_i32 s4, 0x80
	v_cmp_eq_u16_e32 vcc, s4, v14
	s_mov_b64 s[4:5], -1
                                        ; implicit-def: $sgpr10
	s_and_saveexec_b64 s[8:9], vcc
; %bb.5334:
	s_mov_b32 s10, 0x7f800001
	s_xor_b64 s[4:5], exec, -1
; %bb.5335:
	s_or_b64 exec, exec, s[8:9]
	s_and_b64 s[4:5], s[4:5], exec
                                        ; implicit-def: $vgpr14
	s_or_saveexec_b64 s[6:7], s[6:7]
	v_mov_b32_e32 v16, s10
	s_xor_b64 exec, exec, s[6:7]
	s_cbranch_execnz .LBB1_5336
; %bb.13519:
	s_getpc_b64 s[14:15]
.Lpost_getpc2663:
	s_add_u32 s14, s14, (.LBB1_1238-.Lpost_getpc2663)&4294967295
	s_addc_u32 s15, s15, (.LBB1_1238-.Lpost_getpc2663)>>32
	s_setpc_b64 s[14:15]
.LBB1_5336:
	v_cmp_ne_u16_e32 vcc, 0, v14
	s_andn2_b64 s[4:5], s[4:5], exec
	s_and_b64 s[8:9], vcc, exec
	v_mov_b32_e32 v16, 0
	s_or_b64 s[4:5], s[4:5], s[8:9]
	s_or_b64 exec, exec, s[6:7]
	s_and_saveexec_b64 s[6:7], s[4:5]
	s_cbranch_execz .LBB1_8811
; %bb.13521:
	s_getpc_b64 s[14:15]
.Lpost_getpc2664:
	s_add_u32 s14, s14, (.LBB1_1239-.Lpost_getpc2664)&4294967295
	s_addc_u32 s15, s15, (.LBB1_1239-.Lpost_getpc2664)>>32
	s_setpc_b64 s[14:15]
.LBB1_8811:
	s_getpc_b64 s[14:15]
.Lpost_getpc309:
	s_add_u32 s14, s14, (.LBB1_1240-.Lpost_getpc309)&4294967295
	s_addc_u32 s15, s15, (.LBB1_1240-.Lpost_getpc309)>>32
	s_setpc_b64 s[14:15]
.LBB1_5337:
	s_movk_i32 s4, 0x80
	v_cmp_eq_u16_sdwa s[12:13], v18, s4 src0_sel:BYTE_3 src1_sel:DWORD
	s_mov_b64 s[4:5], -1
                                        ; implicit-def: $sgpr10
	s_and_saveexec_b64 s[8:9], s[12:13]
; %bb.5338:
	s_mov_b32 s10, 0x7f800001
	s_xor_b64 s[4:5], exec, -1
; %bb.5339:
	s_or_b64 exec, exec, s[8:9]
	s_and_b64 s[4:5], s[4:5], exec
	s_or_saveexec_b64 s[6:7], s[6:7]
	v_mov_b32_e32 v13, s10
	s_xor_b64 exec, exec, s[6:7]
	s_cbranch_execnz .LBB1_5340
; %bb.13523:
	s_getpc_b64 s[14:15]
.Lpost_getpc2665:
	s_add_u32 s14, s14, (.LBB1_1242-.Lpost_getpc2665)&4294967295
	s_addc_u32 s15, s15, (.LBB1_1242-.Lpost_getpc2665)>>32
	s_setpc_b64 s[14:15]
.LBB1_5340:
	v_mov_b32_e32 v13, 0
	v_cmp_ne_u16_sdwa s[8:9], v18, v13 src0_sel:BYTE_3 src1_sel:DWORD
	s_andn2_b64 s[4:5], s[4:5], exec
	s_and_b64 s[8:9], s[8:9], exec
	s_or_b64 s[4:5], s[4:5], s[8:9]
	s_or_b64 exec, exec, s[6:7]
	s_and_saveexec_b64 s[6:7], s[4:5]
	s_cbranch_execz .LBB1_8813
; %bb.13525:
	s_getpc_b64 s[14:15]
.Lpost_getpc2666:
	s_add_u32 s14, s14, (.LBB1_1243-.Lpost_getpc2666)&4294967295
	s_addc_u32 s15, s15, (.LBB1_1243-.Lpost_getpc2666)>>32
	s_setpc_b64 s[14:15]
.LBB1_8813:
	s_getpc_b64 s[14:15]
.Lpost_getpc310:
	s_add_u32 s14, s14, (.LBB1_1244-.Lpost_getpc310)&4294967295
	s_addc_u32 s15, s15, (.LBB1_1244-.Lpost_getpc310)>>32
	s_setpc_b64 s[14:15]
.LBB1_5341:
	s_movk_i32 s4, 0x80
	v_cmp_eq_u16_sdwa s[12:13], v12, s4 src0_sel:BYTE_3 src1_sel:DWORD
	s_mov_b64 s[4:5], -1
                                        ; implicit-def: $sgpr10
	s_and_saveexec_b64 s[8:9], s[12:13]
; %bb.5342:
	s_mov_b32 s10, 0x7f800001
	s_xor_b64 s[4:5], exec, -1
; %bb.5343:
	s_or_b64 exec, exec, s[8:9]
	s_and_b64 s[4:5], s[4:5], exec
	s_or_saveexec_b64 s[6:7], s[6:7]
	v_mov_b32_e32 v14, s10
	s_xor_b64 exec, exec, s[6:7]
	s_cbranch_execnz .LBB1_5344
; %bb.13527:
	s_getpc_b64 s[14:15]
.Lpost_getpc2667:
	s_add_u32 s14, s14, (.LBB1_1246-.Lpost_getpc2667)&4294967295
	s_addc_u32 s15, s15, (.LBB1_1246-.Lpost_getpc2667)>>32
	s_setpc_b64 s[14:15]
.LBB1_5344:
	v_mov_b32_e32 v14, 0
	v_cmp_ne_u16_sdwa s[8:9], v12, v14 src0_sel:BYTE_3 src1_sel:DWORD
	s_andn2_b64 s[4:5], s[4:5], exec
	s_and_b64 s[8:9], s[8:9], exec
	s_or_b64 s[4:5], s[4:5], s[8:9]
	s_or_b64 exec, exec, s[6:7]
	s_and_saveexec_b64 s[6:7], s[4:5]
	s_cbranch_execz .LBB1_8815
; %bb.13529:
	s_getpc_b64 s[14:15]
.Lpost_getpc2668:
	s_add_u32 s14, s14, (.LBB1_1247-.Lpost_getpc2668)&4294967295
	s_addc_u32 s15, s15, (.LBB1_1247-.Lpost_getpc2668)>>32
	s_setpc_b64 s[14:15]
.LBB1_8815:
	s_getpc_b64 s[14:15]
.Lpost_getpc311:
	s_add_u32 s14, s14, (.LBB1_1248-.Lpost_getpc311)&4294967295
	s_addc_u32 s15, s15, (.LBB1_1248-.Lpost_getpc311)>>32
	s_setpc_b64 s[14:15]
.LBB1_5345:
	s_movk_i32 s4, 0x80
	v_cmp_eq_u16_sdwa s[12:13], v19, s4 src0_sel:BYTE_0 src1_sel:DWORD
	s_mov_b64 s[4:5], -1
                                        ; implicit-def: $sgpr10
	s_and_saveexec_b64 s[8:9], s[12:13]
; %bb.5346:
	s_mov_b32 s10, 0x7f800001
	s_xor_b64 s[4:5], exec, -1
; %bb.5347:
	s_or_b64 exec, exec, s[8:9]
	s_and_b64 s[4:5], s[4:5], exec
	s_or_saveexec_b64 s[6:7], s[6:7]
	v_mov_b32_e32 v12, s10
	s_xor_b64 exec, exec, s[6:7]
	s_cbranch_execnz .LBB1_5348
; %bb.13531:
	s_getpc_b64 s[14:15]
.Lpost_getpc2669:
	s_add_u32 s14, s14, (.LBB1_1250-.Lpost_getpc2669)&4294967295
	s_addc_u32 s15, s15, (.LBB1_1250-.Lpost_getpc2669)>>32
	s_setpc_b64 s[14:15]
.LBB1_5348:
	v_mov_b32_e32 v12, 0
	v_cmp_ne_u16_sdwa s[8:9], v19, v12 src0_sel:BYTE_0 src1_sel:DWORD
	s_andn2_b64 s[4:5], s[4:5], exec
	s_and_b64 s[8:9], s[8:9], exec
	s_or_b64 s[4:5], s[4:5], s[8:9]
	s_or_b64 exec, exec, s[6:7]
	s_and_saveexec_b64 s[6:7], s[4:5]
	s_cbranch_execz .LBB1_8817
; %bb.13533:
	s_getpc_b64 s[14:15]
.Lpost_getpc2670:
	s_add_u32 s14, s14, (.LBB1_1251-.Lpost_getpc2670)&4294967295
	s_addc_u32 s15, s15, (.LBB1_1251-.Lpost_getpc2670)>>32
	s_setpc_b64 s[14:15]
.LBB1_8817:
	s_getpc_b64 s[14:15]
.Lpost_getpc312:
	s_add_u32 s14, s14, (.LBB1_1252-.Lpost_getpc312)&4294967295
	s_addc_u32 s15, s15, (.LBB1_1252-.Lpost_getpc312)>>32
	s_setpc_b64 s[14:15]
.LBB1_5349:
	s_movk_i32 s4, 0x80
	v_cmp_eq_u16_sdwa s[12:13], v15, s4 src0_sel:BYTE_0 src1_sel:DWORD
	s_mov_b64 s[4:5], -1
                                        ; implicit-def: $sgpr10
	s_and_saveexec_b64 s[8:9], s[12:13]
; %bb.5350:
	s_mov_b32 s10, 0x7f800001
	s_xor_b64 s[4:5], exec, -1
; %bb.5351:
	s_or_b64 exec, exec, s[8:9]
	s_and_b64 s[4:5], s[4:5], exec
	s_or_saveexec_b64 s[6:7], s[6:7]
	v_mov_b32_e32 v13, s10
	s_xor_b64 exec, exec, s[6:7]
	s_cbranch_execnz .LBB1_5352
; %bb.13535:
	s_getpc_b64 s[14:15]
.Lpost_getpc2671:
	s_add_u32 s14, s14, (.LBB1_1254-.Lpost_getpc2671)&4294967295
	s_addc_u32 s15, s15, (.LBB1_1254-.Lpost_getpc2671)>>32
	s_setpc_b64 s[14:15]
.LBB1_5352:
	v_mov_b32_e32 v13, 0
	v_cmp_ne_u16_sdwa s[8:9], v15, v13 src0_sel:BYTE_0 src1_sel:DWORD
	s_andn2_b64 s[4:5], s[4:5], exec
	s_and_b64 s[8:9], s[8:9], exec
	s_or_b64 s[4:5], s[4:5], s[8:9]
	s_or_b64 exec, exec, s[6:7]
	s_and_saveexec_b64 s[6:7], s[4:5]
	s_cbranch_execz .LBB1_8819
; %bb.13537:
	s_getpc_b64 s[14:15]
.Lpost_getpc2672:
	s_add_u32 s14, s14, (.LBB1_1255-.Lpost_getpc2672)&4294967295
	s_addc_u32 s15, s15, (.LBB1_1255-.Lpost_getpc2672)>>32
	s_setpc_b64 s[14:15]
.LBB1_8819:
	s_getpc_b64 s[14:15]
.Lpost_getpc313:
	s_add_u32 s14, s14, (.LBB1_1256-.Lpost_getpc313)&4294967295
	s_addc_u32 s15, s15, (.LBB1_1256-.Lpost_getpc313)>>32
	s_setpc_b64 s[14:15]
.LBB1_5353:
	s_movk_i32 s4, 0x80
	v_cmp_eq_u16_sdwa s[12:13], v13, s4 src0_sel:BYTE_0 src1_sel:DWORD
	s_mov_b64 s[4:5], -1
                                        ; implicit-def: $sgpr10
	s_and_saveexec_b64 s[8:9], s[12:13]
; %bb.5354:
	s_mov_b32 s10, 0x7f800001
	s_xor_b64 s[4:5], exec, -1
; %bb.5355:
	s_or_b64 exec, exec, s[8:9]
	s_and_b64 s[4:5], s[4:5], exec
	s_or_saveexec_b64 s[6:7], s[6:7]
	v_mov_b32_e32 v12, s10
	s_xor_b64 exec, exec, s[6:7]
	s_cbranch_execnz .LBB1_5356
; %bb.13539:
	s_getpc_b64 s[14:15]
.Lpost_getpc2673:
	s_add_u32 s14, s14, (.LBB1_1258-.Lpost_getpc2673)&4294967295
	s_addc_u32 s15, s15, (.LBB1_1258-.Lpost_getpc2673)>>32
	s_setpc_b64 s[14:15]
.LBB1_5356:
	v_mov_b32_e32 v12, 0
	v_cmp_ne_u16_sdwa s[8:9], v13, v12 src0_sel:BYTE_0 src1_sel:DWORD
	s_andn2_b64 s[4:5], s[4:5], exec
	s_and_b64 s[8:9], s[8:9], exec
	s_or_b64 s[4:5], s[4:5], s[8:9]
	s_or_b64 exec, exec, s[6:7]
	s_and_saveexec_b64 s[6:7], s[4:5]
	s_cbranch_execz .LBB1_8821
; %bb.13541:
	s_getpc_b64 s[14:15]
.Lpost_getpc2674:
	s_add_u32 s14, s14, (.LBB1_1259-.Lpost_getpc2674)&4294967295
	s_addc_u32 s15, s15, (.LBB1_1259-.Lpost_getpc2674)>>32
	s_setpc_b64 s[14:15]
.LBB1_8821:
	s_getpc_b64 s[14:15]
.Lpost_getpc314:
	s_add_u32 s14, s14, (.LBB1_1260-.Lpost_getpc314)&4294967295
	s_addc_u32 s15, s15, (.LBB1_1260-.Lpost_getpc314)>>32
	s_setpc_b64 s[14:15]
.LBB1_5357:
	s_movk_i32 s4, 0x80
	v_cmp_eq_u16_sdwa s[12:13], v13, s4 src0_sel:BYTE_0 src1_sel:DWORD
	s_mov_b64 s[4:5], -1
                                        ; implicit-def: $sgpr10
	s_and_saveexec_b64 s[8:9], s[12:13]
; %bb.5358:
	s_mov_b32 s10, 0x7f800001
	s_xor_b64 s[4:5], exec, -1
; %bb.5359:
	s_or_b64 exec, exec, s[8:9]
	s_and_b64 s[4:5], s[4:5], exec
	s_or_saveexec_b64 s[6:7], s[6:7]
	v_mov_b32_e32 v14, s10
	s_xor_b64 exec, exec, s[6:7]
	s_cbranch_execnz .LBB1_5360
; %bb.13543:
	s_getpc_b64 s[14:15]
.Lpost_getpc2675:
	s_add_u32 s14, s14, (.LBB1_1262-.Lpost_getpc2675)&4294967295
	s_addc_u32 s15, s15, (.LBB1_1262-.Lpost_getpc2675)>>32
	s_setpc_b64 s[14:15]
.LBB1_5360:
	v_mov_b32_e32 v14, 0
	v_cmp_ne_u16_sdwa s[8:9], v13, v14 src0_sel:BYTE_0 src1_sel:DWORD
	s_andn2_b64 s[4:5], s[4:5], exec
	s_and_b64 s[8:9], s[8:9], exec
	s_or_b64 s[4:5], s[4:5], s[8:9]
	s_or_b64 exec, exec, s[6:7]
	s_and_saveexec_b64 s[6:7], s[4:5]
	s_cbranch_execz .LBB1_8823
; %bb.13545:
	s_getpc_b64 s[14:15]
.Lpost_getpc2676:
	s_add_u32 s14, s14, (.LBB1_1263-.Lpost_getpc2676)&4294967295
	s_addc_u32 s15, s15, (.LBB1_1263-.Lpost_getpc2676)>>32
	s_setpc_b64 s[14:15]
.LBB1_8823:
	s_getpc_b64 s[14:15]
.Lpost_getpc315:
	s_add_u32 s14, s14, (.LBB1_1264-.Lpost_getpc315)&4294967295
	s_addc_u32 s15, s15, (.LBB1_1264-.Lpost_getpc315)>>32
	s_setpc_b64 s[14:15]
.LBB1_5361:
	s_movk_i32 s4, 0x80
	v_cmp_eq_u16_e32 vcc, s4, v13
	s_mov_b64 s[4:5], -1
                                        ; implicit-def: $sgpr10
	s_and_saveexec_b64 s[8:9], vcc
; %bb.5362:
	s_mov_b32 s10, 0x7f800001
	s_xor_b64 s[4:5], exec, -1
; %bb.5363:
	s_or_b64 exec, exec, s[8:9]
	s_and_b64 s[4:5], s[4:5], exec
                                        ; implicit-def: $vgpr13
	s_or_saveexec_b64 s[6:7], s[6:7]
	v_mov_b32_e32 v12, s10
	s_xor_b64 exec, exec, s[6:7]
	s_cbranch_execnz .LBB1_5364
; %bb.13547:
	s_getpc_b64 s[14:15]
.Lpost_getpc2677:
	s_add_u32 s14, s14, (.LBB1_1266-.Lpost_getpc2677)&4294967295
	s_addc_u32 s15, s15, (.LBB1_1266-.Lpost_getpc2677)>>32
	s_setpc_b64 s[14:15]
.LBB1_5364:
	v_cmp_ne_u16_e32 vcc, 0, v13
	s_andn2_b64 s[4:5], s[4:5], exec
	s_and_b64 s[8:9], vcc, exec
	v_mov_b32_e32 v12, 0
	s_or_b64 s[4:5], s[4:5], s[8:9]
	s_or_b64 exec, exec, s[6:7]
	s_and_saveexec_b64 s[6:7], s[4:5]
	s_cbranch_execz .LBB1_8825
; %bb.13549:
	s_getpc_b64 s[14:15]
.Lpost_getpc2678:
	s_add_u32 s14, s14, (.LBB1_1267-.Lpost_getpc2678)&4294967295
	s_addc_u32 s15, s15, (.LBB1_1267-.Lpost_getpc2678)>>32
	s_setpc_b64 s[14:15]
.LBB1_8825:
	s_getpc_b64 s[14:15]
.Lpost_getpc316:
	s_add_u32 s14, s14, (.LBB1_1268-.Lpost_getpc316)&4294967295
	s_addc_u32 s15, s15, (.LBB1_1268-.Lpost_getpc316)>>32
	s_setpc_b64 s[14:15]
.LBB1_5365:
	s_movk_i32 s4, 0x80
	v_cmp_eq_u16_e32 vcc, s4, v13
	s_mov_b64 s[4:5], -1
                                        ; implicit-def: $sgpr10
	s_and_saveexec_b64 s[8:9], vcc
; %bb.5366:
	s_mov_b32 s10, 0x7f800001
	s_xor_b64 s[4:5], exec, -1
; %bb.5367:
	s_or_b64 exec, exec, s[8:9]
	s_and_b64 s[4:5], s[4:5], exec
                                        ; implicit-def: $vgpr13
	s_or_saveexec_b64 s[6:7], s[6:7]
	v_mov_b32_e32 v14, s10
	s_xor_b64 exec, exec, s[6:7]
	s_cbranch_execnz .LBB1_5368
; %bb.13551:
	s_getpc_b64 s[14:15]
.Lpost_getpc2679:
	s_add_u32 s14, s14, (.LBB1_1270-.Lpost_getpc2679)&4294967295
	s_addc_u32 s15, s15, (.LBB1_1270-.Lpost_getpc2679)>>32
	s_setpc_b64 s[14:15]
.LBB1_5368:
	v_cmp_ne_u16_e32 vcc, 0, v13
	s_andn2_b64 s[4:5], s[4:5], exec
	s_and_b64 s[8:9], vcc, exec
	v_mov_b32_e32 v14, 0
	s_or_b64 s[4:5], s[4:5], s[8:9]
	s_or_b64 exec, exec, s[6:7]
	s_and_saveexec_b64 s[6:7], s[4:5]
	s_cbranch_execz .LBB1_8827
; %bb.13553:
	s_getpc_b64 s[14:15]
.Lpost_getpc2680:
	s_add_u32 s14, s14, (.LBB1_1271-.Lpost_getpc2680)&4294967295
	s_addc_u32 s15, s15, (.LBB1_1271-.Lpost_getpc2680)>>32
	s_setpc_b64 s[14:15]
.LBB1_8827:
	s_getpc_b64 s[14:15]
.Lpost_getpc317:
	s_add_u32 s14, s14, (.LBB1_1272-.Lpost_getpc317)&4294967295
	s_addc_u32 s15, s15, (.LBB1_1272-.Lpost_getpc317)>>32
	s_setpc_b64 s[14:15]
.LBB1_5369:
	s_movk_i32 s4, 0x80
	v_cmp_eq_u16_sdwa s[12:13], v19, s4 src0_sel:BYTE_3 src1_sel:DWORD
	s_mov_b64 s[4:5], -1
                                        ; implicit-def: $sgpr10
	s_and_saveexec_b64 s[8:9], s[12:13]
; %bb.5370:
	s_mov_b32 s10, 0x7f800001
	s_xor_b64 s[4:5], exec, -1
; %bb.5371:
	s_or_b64 exec, exec, s[8:9]
	s_and_b64 s[4:5], s[4:5], exec
	s_or_saveexec_b64 s[6:7], s[6:7]
	v_mov_b32_e32 v12, s10
	s_xor_b64 exec, exec, s[6:7]
	s_cbranch_execnz .LBB1_5372
; %bb.13555:
	s_getpc_b64 s[14:15]
.Lpost_getpc2681:
	s_add_u32 s14, s14, (.LBB1_1274-.Lpost_getpc2681)&4294967295
	s_addc_u32 s15, s15, (.LBB1_1274-.Lpost_getpc2681)>>32
	s_setpc_b64 s[14:15]
.LBB1_5372:
	v_mov_b32_e32 v12, 0
	v_cmp_ne_u16_sdwa s[8:9], v19, v12 src0_sel:BYTE_3 src1_sel:DWORD
	s_andn2_b64 s[4:5], s[4:5], exec
	s_and_b64 s[8:9], s[8:9], exec
	s_or_b64 s[4:5], s[4:5], s[8:9]
	s_or_b64 exec, exec, s[6:7]
	s_and_saveexec_b64 s[6:7], s[4:5]
	s_cbranch_execz .LBB1_8829
; %bb.13557:
	s_getpc_b64 s[14:15]
.Lpost_getpc2682:
	s_add_u32 s14, s14, (.LBB1_1275-.Lpost_getpc2682)&4294967295
	s_addc_u32 s15, s15, (.LBB1_1275-.Lpost_getpc2682)>>32
	s_setpc_b64 s[14:15]
.LBB1_8829:
	s_getpc_b64 s[14:15]
.Lpost_getpc318:
	s_add_u32 s14, s14, (.LBB1_1276-.Lpost_getpc318)&4294967295
	s_addc_u32 s15, s15, (.LBB1_1276-.Lpost_getpc318)>>32
	s_setpc_b64 s[14:15]
.LBB1_5373:
	s_movk_i32 s4, 0x80
	v_cmp_eq_u16_sdwa s[12:13], v15, s4 src0_sel:BYTE_3 src1_sel:DWORD
	s_mov_b64 s[4:5], -1
                                        ; implicit-def: $sgpr10
	s_and_saveexec_b64 s[8:9], s[12:13]
; %bb.5374:
	s_mov_b32 s10, 0x7f800001
	s_xor_b64 s[4:5], exec, -1
; %bb.5375:
	s_or_b64 exec, exec, s[8:9]
	s_and_b64 s[4:5], s[4:5], exec
	s_or_saveexec_b64 s[6:7], s[6:7]
	v_mov_b32_e32 v13, s10
	s_xor_b64 exec, exec, s[6:7]
	s_cbranch_execnz .LBB1_5376
; %bb.13559:
	s_getpc_b64 s[14:15]
.Lpost_getpc2683:
	s_add_u32 s14, s14, (.LBB1_1278-.Lpost_getpc2683)&4294967295
	s_addc_u32 s15, s15, (.LBB1_1278-.Lpost_getpc2683)>>32
	s_setpc_b64 s[14:15]
.LBB1_5376:
	v_mov_b32_e32 v13, 0
	v_cmp_ne_u16_sdwa s[8:9], v15, v13 src0_sel:BYTE_3 src1_sel:DWORD
	s_andn2_b64 s[4:5], s[4:5], exec
	s_and_b64 s[8:9], s[8:9], exec
	s_or_b64 s[4:5], s[4:5], s[8:9]
	s_or_b64 exec, exec, s[6:7]
	s_and_saveexec_b64 s[6:7], s[4:5]
	s_cbranch_execz .LBB1_8831
; %bb.13561:
	s_getpc_b64 s[14:15]
.Lpost_getpc2684:
	s_add_u32 s14, s14, (.LBB1_1279-.Lpost_getpc2684)&4294967295
	s_addc_u32 s15, s15, (.LBB1_1279-.Lpost_getpc2684)>>32
	s_setpc_b64 s[14:15]
.LBB1_8831:
	s_getpc_b64 s[14:15]
.Lpost_getpc319:
	s_add_u32 s14, s14, (.LBB1_1280-.Lpost_getpc319)&4294967295
	s_addc_u32 s15, s15, (.LBB1_1280-.Lpost_getpc319)>>32
	s_setpc_b64 s[14:15]
.LBB1_5377:
	s_movk_i32 s4, 0x80
	v_cmp_eq_u16_sdwa s[12:13], v16, s4 src0_sel:BYTE_0 src1_sel:DWORD
	s_mov_b64 s[4:5], -1
                                        ; implicit-def: $sgpr10
	s_and_saveexec_b64 s[8:9], s[12:13]
; %bb.5378:
	s_mov_b32 s10, 0x7f800001
	s_xor_b64 s[4:5], exec, -1
; %bb.5379:
	s_or_b64 exec, exec, s[8:9]
	s_and_b64 s[4:5], s[4:5], exec
	s_or_saveexec_b64 s[6:7], s[6:7]
	v_mov_b32_e32 v21, s10
	s_xor_b64 exec, exec, s[6:7]
	s_cbranch_execnz .LBB1_5380
; %bb.13563:
	s_getpc_b64 s[14:15]
.Lpost_getpc2685:
	s_add_u32 s14, s14, (.LBB1_1282-.Lpost_getpc2685)&4294967295
	s_addc_u32 s15, s15, (.LBB1_1282-.Lpost_getpc2685)>>32
	s_setpc_b64 s[14:15]
.LBB1_5380:
	v_mov_b32_e32 v21, 0
	v_cmp_ne_u16_sdwa s[8:9], v16, v21 src0_sel:BYTE_0 src1_sel:DWORD
	s_andn2_b64 s[4:5], s[4:5], exec
	s_and_b64 s[8:9], s[8:9], exec
	s_or_b64 s[4:5], s[4:5], s[8:9]
	s_or_b64 exec, exec, s[6:7]
	s_and_saveexec_b64 s[6:7], s[4:5]
	s_cbranch_execz .LBB1_8833
; %bb.13565:
	s_getpc_b64 s[14:15]
.Lpost_getpc2686:
	s_add_u32 s14, s14, (.LBB1_1283-.Lpost_getpc2686)&4294967295
	s_addc_u32 s15, s15, (.LBB1_1283-.Lpost_getpc2686)>>32
	s_setpc_b64 s[14:15]
.LBB1_8833:
	s_getpc_b64 s[14:15]
.Lpost_getpc320:
	s_add_u32 s14, s14, (.LBB1_1284-.Lpost_getpc320)&4294967295
	s_addc_u32 s15, s15, (.LBB1_1284-.Lpost_getpc320)>>32
	s_setpc_b64 s[14:15]
.LBB1_5381:
	s_movk_i32 s4, 0x80
	v_cmp_eq_u16_sdwa s[12:13], v12, s4 src0_sel:BYTE_0 src1_sel:DWORD
	s_mov_b64 s[4:5], -1
                                        ; implicit-def: $sgpr10
	s_and_saveexec_b64 s[8:9], s[12:13]
; %bb.5382:
	s_mov_b32 s10, 0x7f800001
	s_xor_b64 s[4:5], exec, -1
; %bb.5383:
	s_or_b64 exec, exec, s[8:9]
	s_and_b64 s[4:5], s[4:5], exec
	s_or_saveexec_b64 s[6:7], s[6:7]
	v_mov_b32_e32 v22, s10
	s_xor_b64 exec, exec, s[6:7]
	s_cbranch_execnz .LBB1_5384
; %bb.13567:
	s_getpc_b64 s[14:15]
.Lpost_getpc2687:
	s_add_u32 s14, s14, (.LBB1_1286-.Lpost_getpc2687)&4294967295
	s_addc_u32 s15, s15, (.LBB1_1286-.Lpost_getpc2687)>>32
	s_setpc_b64 s[14:15]
.LBB1_5384:
	v_mov_b32_e32 v22, 0
	v_cmp_ne_u16_sdwa s[8:9], v12, v22 src0_sel:BYTE_0 src1_sel:DWORD
	s_andn2_b64 s[4:5], s[4:5], exec
	s_and_b64 s[8:9], s[8:9], exec
	s_or_b64 s[4:5], s[4:5], s[8:9]
	s_or_b64 exec, exec, s[6:7]
	s_and_saveexec_b64 s[6:7], s[4:5]
	s_cbranch_execz .LBB1_8835
; %bb.13569:
	s_getpc_b64 s[14:15]
.Lpost_getpc2688:
	s_add_u32 s14, s14, (.LBB1_1287-.Lpost_getpc2688)&4294967295
	s_addc_u32 s15, s15, (.LBB1_1287-.Lpost_getpc2688)>>32
	s_setpc_b64 s[14:15]
.LBB1_8835:
	s_getpc_b64 s[14:15]
.Lpost_getpc321:
	s_add_u32 s14, s14, (.LBB1_1288-.Lpost_getpc321)&4294967295
	s_addc_u32 s15, s15, (.LBB1_1288-.Lpost_getpc321)>>32
	s_setpc_b64 s[14:15]
.LBB1_5385:
	s_movk_i32 s4, 0x80
	v_cmp_eq_u16_sdwa s[12:13], v22, s4 src0_sel:BYTE_0 src1_sel:DWORD
	s_mov_b64 s[4:5], -1
                                        ; implicit-def: $sgpr10
	s_and_saveexec_b64 s[8:9], s[12:13]
; %bb.5386:
	s_mov_b32 s10, 0x7f800001
	s_xor_b64 s[4:5], exec, -1
; %bb.5387:
	s_or_b64 exec, exec, s[8:9]
	s_and_b64 s[4:5], s[4:5], exec
	s_or_saveexec_b64 s[6:7], s[6:7]
	v_mov_b32_e32 v21, s10
	s_xor_b64 exec, exec, s[6:7]
	s_cbranch_execnz .LBB1_5388
; %bb.13571:
	s_getpc_b64 s[14:15]
.Lpost_getpc2689:
	s_add_u32 s14, s14, (.LBB1_1290-.Lpost_getpc2689)&4294967295
	s_addc_u32 s15, s15, (.LBB1_1290-.Lpost_getpc2689)>>32
	s_setpc_b64 s[14:15]
.LBB1_5388:
	v_mov_b32_e32 v21, 0
	v_cmp_ne_u16_sdwa s[8:9], v22, v21 src0_sel:BYTE_0 src1_sel:DWORD
	s_andn2_b64 s[4:5], s[4:5], exec
	s_and_b64 s[8:9], s[8:9], exec
	s_or_b64 s[4:5], s[4:5], s[8:9]
	s_or_b64 exec, exec, s[6:7]
	s_and_saveexec_b64 s[6:7], s[4:5]
	s_cbranch_execz .LBB1_8837
; %bb.13573:
	s_getpc_b64 s[14:15]
.Lpost_getpc2690:
	s_add_u32 s14, s14, (.LBB1_1291-.Lpost_getpc2690)&4294967295
	s_addc_u32 s15, s15, (.LBB1_1291-.Lpost_getpc2690)>>32
	s_setpc_b64 s[14:15]
.LBB1_8837:
	s_getpc_b64 s[14:15]
.Lpost_getpc322:
	s_add_u32 s14, s14, (.LBB1_1292-.Lpost_getpc322)&4294967295
	s_addc_u32 s15, s15, (.LBB1_1292-.Lpost_getpc322)>>32
	s_setpc_b64 s[14:15]
.LBB1_5389:
	s_movk_i32 s4, 0x80
	v_cmp_eq_u16_sdwa s[12:13], v22, s4 src0_sel:BYTE_0 src1_sel:DWORD
	s_mov_b64 s[4:5], -1
                                        ; implicit-def: $sgpr10
	s_and_saveexec_b64 s[8:9], s[12:13]
; %bb.5390:
	s_mov_b32 s10, 0x7f800001
	s_xor_b64 s[4:5], exec, -1
; %bb.5391:
	s_or_b64 exec, exec, s[8:9]
	s_and_b64 s[4:5], s[4:5], exec
	s_or_saveexec_b64 s[6:7], s[6:7]
	v_mov_b32_e32 v23, s10
	s_xor_b64 exec, exec, s[6:7]
	s_cbranch_execnz .LBB1_5392
; %bb.13575:
	s_getpc_b64 s[14:15]
.Lpost_getpc2691:
	s_add_u32 s14, s14, (.LBB1_1294-.Lpost_getpc2691)&4294967295
	s_addc_u32 s15, s15, (.LBB1_1294-.Lpost_getpc2691)>>32
	s_setpc_b64 s[14:15]
.LBB1_5392:
	v_mov_b32_e32 v23, 0
	v_cmp_ne_u16_sdwa s[8:9], v22, v23 src0_sel:BYTE_0 src1_sel:DWORD
	s_andn2_b64 s[4:5], s[4:5], exec
	s_and_b64 s[8:9], s[8:9], exec
	s_or_b64 s[4:5], s[4:5], s[8:9]
	s_or_b64 exec, exec, s[6:7]
	s_and_saveexec_b64 s[6:7], s[4:5]
	s_cbranch_execz .LBB1_8839
; %bb.13577:
	s_getpc_b64 s[14:15]
.Lpost_getpc2692:
	s_add_u32 s14, s14, (.LBB1_1295-.Lpost_getpc2692)&4294967295
	s_addc_u32 s15, s15, (.LBB1_1295-.Lpost_getpc2692)>>32
	s_setpc_b64 s[14:15]
.LBB1_8839:
	s_getpc_b64 s[14:15]
.Lpost_getpc323:
	s_add_u32 s14, s14, (.LBB1_1296-.Lpost_getpc323)&4294967295
	s_addc_u32 s15, s15, (.LBB1_1296-.Lpost_getpc323)>>32
	s_setpc_b64 s[14:15]
.LBB1_5393:
	s_movk_i32 s4, 0x80
	v_cmp_eq_u16_e32 vcc, s4, v22
	s_mov_b64 s[4:5], -1
                                        ; implicit-def: $sgpr10
	s_and_saveexec_b64 s[8:9], vcc
; %bb.5394:
	s_mov_b32 s10, 0x7f800001
	s_xor_b64 s[4:5], exec, -1
; %bb.5395:
	s_or_b64 exec, exec, s[8:9]
	s_and_b64 s[4:5], s[4:5], exec
                                        ; implicit-def: $vgpr22
	s_or_saveexec_b64 s[6:7], s[6:7]
	v_mov_b32_e32 v21, s10
	s_xor_b64 exec, exec, s[6:7]
	s_cbranch_execnz .LBB1_5396
; %bb.13579:
	s_getpc_b64 s[14:15]
.Lpost_getpc2693:
	s_add_u32 s14, s14, (.LBB1_1298-.Lpost_getpc2693)&4294967295
	s_addc_u32 s15, s15, (.LBB1_1298-.Lpost_getpc2693)>>32
	s_setpc_b64 s[14:15]
.LBB1_5396:
	v_cmp_ne_u16_e32 vcc, 0, v22
	s_andn2_b64 s[4:5], s[4:5], exec
	s_and_b64 s[8:9], vcc, exec
	v_mov_b32_e32 v21, 0
	s_or_b64 s[4:5], s[4:5], s[8:9]
	s_or_b64 exec, exec, s[6:7]
	s_and_saveexec_b64 s[6:7], s[4:5]
	s_cbranch_execz .LBB1_8841
; %bb.13581:
	s_getpc_b64 s[14:15]
.Lpost_getpc2694:
	s_add_u32 s14, s14, (.LBB1_1299-.Lpost_getpc2694)&4294967295
	s_addc_u32 s15, s15, (.LBB1_1299-.Lpost_getpc2694)>>32
	s_setpc_b64 s[14:15]
.LBB1_8841:
	s_getpc_b64 s[14:15]
.Lpost_getpc324:
	s_add_u32 s14, s14, (.LBB1_1300-.Lpost_getpc324)&4294967295
	s_addc_u32 s15, s15, (.LBB1_1300-.Lpost_getpc324)>>32
	s_setpc_b64 s[14:15]
.LBB1_5397:
	s_movk_i32 s4, 0x80
	v_cmp_eq_u16_e32 vcc, s4, v22
	s_mov_b64 s[4:5], -1
                                        ; implicit-def: $sgpr10
	s_and_saveexec_b64 s[8:9], vcc
; %bb.5398:
	s_mov_b32 s10, 0x7f800001
	s_xor_b64 s[4:5], exec, -1
; %bb.5399:
	s_or_b64 exec, exec, s[8:9]
	s_and_b64 s[4:5], s[4:5], exec
                                        ; implicit-def: $vgpr22
	s_or_saveexec_b64 s[6:7], s[6:7]
	v_mov_b32_e32 v23, s10
	s_xor_b64 exec, exec, s[6:7]
	s_cbranch_execnz .LBB1_5400
; %bb.13583:
	s_getpc_b64 s[14:15]
.Lpost_getpc2695:
	s_add_u32 s14, s14, (.LBB1_1302-.Lpost_getpc2695)&4294967295
	s_addc_u32 s15, s15, (.LBB1_1302-.Lpost_getpc2695)>>32
	s_setpc_b64 s[14:15]
.LBB1_5400:
	v_cmp_ne_u16_e32 vcc, 0, v22
	s_andn2_b64 s[4:5], s[4:5], exec
	s_and_b64 s[8:9], vcc, exec
	v_mov_b32_e32 v23, 0
	s_or_b64 s[4:5], s[4:5], s[8:9]
	s_or_b64 exec, exec, s[6:7]
	s_and_saveexec_b64 s[6:7], s[4:5]
	s_cbranch_execz .LBB1_8843
; %bb.13585:
	s_getpc_b64 s[14:15]
.Lpost_getpc2696:
	s_add_u32 s14, s14, (.LBB1_1303-.Lpost_getpc2696)&4294967295
	s_addc_u32 s15, s15, (.LBB1_1303-.Lpost_getpc2696)>>32
	s_setpc_b64 s[14:15]
.LBB1_8843:
	s_getpc_b64 s[14:15]
.Lpost_getpc325:
	s_add_u32 s14, s14, (.LBB1_1304-.Lpost_getpc325)&4294967295
	s_addc_u32 s15, s15, (.LBB1_1304-.Lpost_getpc325)>>32
	s_setpc_b64 s[14:15]
.LBB1_5401:
	s_movk_i32 s4, 0x80
	v_cmp_eq_u16_sdwa s[12:13], v16, s4 src0_sel:BYTE_3 src1_sel:DWORD
	s_mov_b64 s[4:5], -1
                                        ; implicit-def: $sgpr10
	s_and_saveexec_b64 s[8:9], s[12:13]
; %bb.5402:
	s_mov_b32 s10, 0x7f800001
	s_xor_b64 s[4:5], exec, -1
; %bb.5403:
	s_or_b64 exec, exec, s[8:9]
	s_and_b64 s[4:5], s[4:5], exec
	s_or_saveexec_b64 s[6:7], s[6:7]
	v_mov_b32_e32 v21, s10
	s_xor_b64 exec, exec, s[6:7]
	s_cbranch_execnz .LBB1_5404
; %bb.13587:
	s_getpc_b64 s[14:15]
.Lpost_getpc2697:
	s_add_u32 s14, s14, (.LBB1_1306-.Lpost_getpc2697)&4294967295
	s_addc_u32 s15, s15, (.LBB1_1306-.Lpost_getpc2697)>>32
	s_setpc_b64 s[14:15]
.LBB1_5404:
	v_mov_b32_e32 v21, 0
	v_cmp_ne_u16_sdwa s[8:9], v16, v21 src0_sel:BYTE_3 src1_sel:DWORD
	s_andn2_b64 s[4:5], s[4:5], exec
	s_and_b64 s[8:9], s[8:9], exec
	s_or_b64 s[4:5], s[4:5], s[8:9]
	s_or_b64 exec, exec, s[6:7]
	s_and_saveexec_b64 s[6:7], s[4:5]
	s_cbranch_execz .LBB1_8845
; %bb.13589:
	s_getpc_b64 s[14:15]
.Lpost_getpc2698:
	s_add_u32 s14, s14, (.LBB1_1307-.Lpost_getpc2698)&4294967295
	s_addc_u32 s15, s15, (.LBB1_1307-.Lpost_getpc2698)>>32
	s_setpc_b64 s[14:15]
.LBB1_8845:
	s_getpc_b64 s[14:15]
.Lpost_getpc326:
	s_add_u32 s14, s14, (.LBB1_1308-.Lpost_getpc326)&4294967295
	s_addc_u32 s15, s15, (.LBB1_1308-.Lpost_getpc326)>>32
	s_setpc_b64 s[14:15]
.LBB1_5405:
	s_movk_i32 s4, 0x80
	v_cmp_eq_u16_sdwa s[12:13], v12, s4 src0_sel:BYTE_3 src1_sel:DWORD
	s_mov_b64 s[4:5], -1
                                        ; implicit-def: $sgpr10
	s_and_saveexec_b64 s[8:9], s[12:13]
; %bb.5406:
	s_mov_b32 s10, 0x7f800001
	s_xor_b64 s[4:5], exec, -1
; %bb.5407:
	s_or_b64 exec, exec, s[8:9]
	s_and_b64 s[4:5], s[4:5], exec
	s_or_saveexec_b64 s[6:7], s[6:7]
	v_mov_b32_e32 v16, s10
	s_xor_b64 exec, exec, s[6:7]
	s_cbranch_execnz .LBB1_5408
; %bb.13591:
	s_getpc_b64 s[14:15]
.Lpost_getpc2699:
	s_add_u32 s14, s14, (.LBB1_1310-.Lpost_getpc2699)&4294967295
	s_addc_u32 s15, s15, (.LBB1_1310-.Lpost_getpc2699)>>32
	s_setpc_b64 s[14:15]
.LBB1_5408:
	v_mov_b32_e32 v16, 0
	v_cmp_ne_u16_sdwa s[8:9], v12, v16 src0_sel:BYTE_3 src1_sel:DWORD
	s_andn2_b64 s[4:5], s[4:5], exec
	s_and_b64 s[8:9], s[8:9], exec
	s_or_b64 s[4:5], s[4:5], s[8:9]
	s_or_b64 exec, exec, s[6:7]
	s_and_saveexec_b64 s[6:7], s[4:5]
	s_cbranch_execz .LBB1_8847
; %bb.13593:
	s_getpc_b64 s[14:15]
.Lpost_getpc2700:
	s_add_u32 s14, s14, (.LBB1_1311-.Lpost_getpc2700)&4294967295
	s_addc_u32 s15, s15, (.LBB1_1311-.Lpost_getpc2700)>>32
	s_setpc_b64 s[14:15]
.LBB1_8847:
	s_getpc_b64 s[14:15]
.Lpost_getpc327:
	s_add_u32 s14, s14, (.LBB1_1312-.Lpost_getpc327)&4294967295
	s_addc_u32 s15, s15, (.LBB1_1312-.Lpost_getpc327)>>32
	s_setpc_b64 s[14:15]
.LBB1_5409:
	s_movk_i32 s4, 0x80
	v_cmp_eq_u16_sdwa s[12:13], v17, s4 src0_sel:BYTE_0 src1_sel:DWORD
	s_mov_b64 s[4:5], -1
                                        ; implicit-def: $sgpr10
	s_and_saveexec_b64 s[8:9], s[12:13]
; %bb.5410:
	s_mov_b32 s10, 0x7f800001
	s_xor_b64 s[4:5], exec, -1
; %bb.5411:
	s_or_b64 exec, exec, s[8:9]
	s_and_b64 s[4:5], s[4:5], exec
	s_or_saveexec_b64 s[6:7], s[6:7]
	v_mov_b32_e32 v12, s10
	s_xor_b64 exec, exec, s[6:7]
	s_cbranch_execnz .LBB1_5412
; %bb.13595:
	s_getpc_b64 s[14:15]
.Lpost_getpc2701:
	s_add_u32 s14, s14, (.LBB1_1314-.Lpost_getpc2701)&4294967295
	s_addc_u32 s15, s15, (.LBB1_1314-.Lpost_getpc2701)>>32
	s_setpc_b64 s[14:15]
.LBB1_5412:
	v_mov_b32_e32 v12, 0
	v_cmp_ne_u16_sdwa s[8:9], v17, v12 src0_sel:BYTE_0 src1_sel:DWORD
	s_andn2_b64 s[4:5], s[4:5], exec
	s_and_b64 s[8:9], s[8:9], exec
	s_or_b64 s[4:5], s[4:5], s[8:9]
	s_or_b64 exec, exec, s[6:7]
	s_and_saveexec_b64 s[6:7], s[4:5]
	s_cbranch_execz .LBB1_8849
; %bb.13597:
	s_getpc_b64 s[14:15]
.Lpost_getpc2702:
	s_add_u32 s14, s14, (.LBB1_1315-.Lpost_getpc2702)&4294967295
	s_addc_u32 s15, s15, (.LBB1_1315-.Lpost_getpc2702)>>32
	s_setpc_b64 s[14:15]
.LBB1_8849:
	s_getpc_b64 s[14:15]
.Lpost_getpc328:
	s_add_u32 s14, s14, (.LBB1_1316-.Lpost_getpc328)&4294967295
	s_addc_u32 s15, s15, (.LBB1_1316-.Lpost_getpc328)>>32
	s_setpc_b64 s[14:15]
.LBB1_5413:
	s_movk_i32 s4, 0x80
	v_cmp_eq_u16_sdwa s[12:13], v13, s4 src0_sel:BYTE_0 src1_sel:DWORD
	s_mov_b64 s[4:5], -1
                                        ; implicit-def: $sgpr10
	s_and_saveexec_b64 s[8:9], s[12:13]
; %bb.5414:
	s_mov_b32 s10, 0x7f800001
	s_xor_b64 s[4:5], exec, -1
; %bb.5415:
	s_or_b64 exec, exec, s[8:9]
	s_and_b64 s[4:5], s[4:5], exec
	s_or_saveexec_b64 s[6:7], s[6:7]
	v_mov_b32_e32 v16, s10
	s_xor_b64 exec, exec, s[6:7]
	s_cbranch_execnz .LBB1_5416
; %bb.13599:
	s_getpc_b64 s[14:15]
.Lpost_getpc2703:
	s_add_u32 s14, s14, (.LBB1_1318-.Lpost_getpc2703)&4294967295
	s_addc_u32 s15, s15, (.LBB1_1318-.Lpost_getpc2703)>>32
	s_setpc_b64 s[14:15]
.LBB1_5416:
	v_mov_b32_e32 v16, 0
	v_cmp_ne_u16_sdwa s[8:9], v13, v16 src0_sel:BYTE_0 src1_sel:DWORD
	s_andn2_b64 s[4:5], s[4:5], exec
	s_and_b64 s[8:9], s[8:9], exec
	s_or_b64 s[4:5], s[4:5], s[8:9]
	s_or_b64 exec, exec, s[6:7]
	s_and_saveexec_b64 s[6:7], s[4:5]
	s_cbranch_execz .LBB1_8851
; %bb.13601:
	s_getpc_b64 s[14:15]
.Lpost_getpc2704:
	s_add_u32 s14, s14, (.LBB1_1319-.Lpost_getpc2704)&4294967295
	s_addc_u32 s15, s15, (.LBB1_1319-.Lpost_getpc2704)>>32
	s_setpc_b64 s[14:15]
.LBB1_8851:
	s_getpc_b64 s[14:15]
.Lpost_getpc329:
	s_add_u32 s14, s14, (.LBB1_1320-.Lpost_getpc329)&4294967295
	s_addc_u32 s15, s15, (.LBB1_1320-.Lpost_getpc329)>>32
	s_setpc_b64 s[14:15]
.LBB1_5417:
	s_movk_i32 s4, 0x80
	v_cmp_eq_u16_sdwa s[12:13], v16, s4 src0_sel:BYTE_0 src1_sel:DWORD
	s_mov_b64 s[4:5], -1
                                        ; implicit-def: $sgpr10
	s_and_saveexec_b64 s[8:9], s[12:13]
; %bb.5418:
	s_mov_b32 s10, 0x7f800001
	s_xor_b64 s[4:5], exec, -1
; %bb.5419:
	s_or_b64 exec, exec, s[8:9]
	s_and_b64 s[4:5], s[4:5], exec
	s_or_saveexec_b64 s[6:7], s[6:7]
	v_mov_b32_e32 v12, s10
	s_xor_b64 exec, exec, s[6:7]
	s_cbranch_execnz .LBB1_5420
; %bb.13603:
	s_getpc_b64 s[14:15]
.Lpost_getpc2705:
	s_add_u32 s14, s14, (.LBB1_1322-.Lpost_getpc2705)&4294967295
	s_addc_u32 s15, s15, (.LBB1_1322-.Lpost_getpc2705)>>32
	s_setpc_b64 s[14:15]
.LBB1_5420:
	v_mov_b32_e32 v12, 0
	v_cmp_ne_u16_sdwa s[8:9], v16, v12 src0_sel:BYTE_0 src1_sel:DWORD
	s_andn2_b64 s[4:5], s[4:5], exec
	s_and_b64 s[8:9], s[8:9], exec
	s_or_b64 s[4:5], s[4:5], s[8:9]
	s_or_b64 exec, exec, s[6:7]
	s_and_saveexec_b64 s[6:7], s[4:5]
	s_cbranch_execz .LBB1_8853
; %bb.13605:
	s_getpc_b64 s[14:15]
.Lpost_getpc2706:
	s_add_u32 s14, s14, (.LBB1_1323-.Lpost_getpc2706)&4294967295
	s_addc_u32 s15, s15, (.LBB1_1323-.Lpost_getpc2706)>>32
	s_setpc_b64 s[14:15]
.LBB1_8853:
	s_getpc_b64 s[14:15]
.Lpost_getpc330:
	s_add_u32 s14, s14, (.LBB1_1324-.Lpost_getpc330)&4294967295
	s_addc_u32 s15, s15, (.LBB1_1324-.Lpost_getpc330)>>32
	s_setpc_b64 s[14:15]
.LBB1_5421:
	s_movk_i32 s4, 0x80
	v_cmp_eq_u16_sdwa s[12:13], v16, s4 src0_sel:BYTE_0 src1_sel:DWORD
	s_mov_b64 s[4:5], -1
                                        ; implicit-def: $sgpr10
	s_and_saveexec_b64 s[8:9], s[12:13]
; %bb.5422:
	s_mov_b32 s10, 0x7f800001
	s_xor_b64 s[4:5], exec, -1
; %bb.5423:
	s_or_b64 exec, exec, s[8:9]
	s_and_b64 s[4:5], s[4:5], exec
	s_or_saveexec_b64 s[6:7], s[6:7]
	v_mov_b32_e32 v21, s10
	s_xor_b64 exec, exec, s[6:7]
	s_cbranch_execnz .LBB1_5424
; %bb.13607:
	s_getpc_b64 s[14:15]
.Lpost_getpc2707:
	s_add_u32 s14, s14, (.LBB1_1326-.Lpost_getpc2707)&4294967295
	s_addc_u32 s15, s15, (.LBB1_1326-.Lpost_getpc2707)>>32
	s_setpc_b64 s[14:15]
.LBB1_5424:
	v_mov_b32_e32 v21, 0
	v_cmp_ne_u16_sdwa s[8:9], v16, v21 src0_sel:BYTE_0 src1_sel:DWORD
	s_andn2_b64 s[4:5], s[4:5], exec
	s_and_b64 s[8:9], s[8:9], exec
	s_or_b64 s[4:5], s[4:5], s[8:9]
	s_or_b64 exec, exec, s[6:7]
	s_and_saveexec_b64 s[6:7], s[4:5]
	s_cbranch_execz .LBB1_8855
; %bb.13609:
	s_getpc_b64 s[14:15]
.Lpost_getpc2708:
	s_add_u32 s14, s14, (.LBB1_1327-.Lpost_getpc2708)&4294967295
	s_addc_u32 s15, s15, (.LBB1_1327-.Lpost_getpc2708)>>32
	s_setpc_b64 s[14:15]
.LBB1_8855:
	s_getpc_b64 s[14:15]
.Lpost_getpc331:
	s_add_u32 s14, s14, (.LBB1_1328-.Lpost_getpc331)&4294967295
	s_addc_u32 s15, s15, (.LBB1_1328-.Lpost_getpc331)>>32
	s_setpc_b64 s[14:15]
.LBB1_5425:
	s_movk_i32 s4, 0x80
	v_cmp_eq_u16_e32 vcc, s4, v16
	s_mov_b64 s[4:5], -1
                                        ; implicit-def: $sgpr10
	s_and_saveexec_b64 s[8:9], vcc
; %bb.5426:
	s_mov_b32 s10, 0x7f800001
	s_xor_b64 s[4:5], exec, -1
; %bb.5427:
	s_or_b64 exec, exec, s[8:9]
	s_and_b64 s[4:5], s[4:5], exec
                                        ; implicit-def: $vgpr16
	s_or_saveexec_b64 s[6:7], s[6:7]
	v_mov_b32_e32 v12, s10
	s_xor_b64 exec, exec, s[6:7]
	s_cbranch_execnz .LBB1_5428
; %bb.13611:
	s_getpc_b64 s[14:15]
.Lpost_getpc2709:
	s_add_u32 s14, s14, (.LBB1_1330-.Lpost_getpc2709)&4294967295
	s_addc_u32 s15, s15, (.LBB1_1330-.Lpost_getpc2709)>>32
	s_setpc_b64 s[14:15]
.LBB1_5428:
	v_cmp_ne_u16_e32 vcc, 0, v16
	s_andn2_b64 s[4:5], s[4:5], exec
	s_and_b64 s[8:9], vcc, exec
	v_mov_b32_e32 v12, 0
	s_or_b64 s[4:5], s[4:5], s[8:9]
	s_or_b64 exec, exec, s[6:7]
	s_and_saveexec_b64 s[6:7], s[4:5]
	s_cbranch_execz .LBB1_8857
; %bb.13613:
	s_getpc_b64 s[14:15]
.Lpost_getpc2710:
	s_add_u32 s14, s14, (.LBB1_1331-.Lpost_getpc2710)&4294967295
	s_addc_u32 s15, s15, (.LBB1_1331-.Lpost_getpc2710)>>32
	s_setpc_b64 s[14:15]
.LBB1_8857:
	s_getpc_b64 s[14:15]
.Lpost_getpc332:
	s_add_u32 s14, s14, (.LBB1_1332-.Lpost_getpc332)&4294967295
	s_addc_u32 s15, s15, (.LBB1_1332-.Lpost_getpc332)>>32
	s_setpc_b64 s[14:15]
.LBB1_5429:
	s_movk_i32 s4, 0x80
	v_cmp_eq_u16_e32 vcc, s4, v16
	s_mov_b64 s[4:5], -1
                                        ; implicit-def: $sgpr10
	s_and_saveexec_b64 s[8:9], vcc
; %bb.5430:
	s_mov_b32 s10, 0x7f800001
	s_xor_b64 s[4:5], exec, -1
; %bb.5431:
	s_or_b64 exec, exec, s[8:9]
	s_and_b64 s[4:5], s[4:5], exec
                                        ; implicit-def: $vgpr16
	s_or_saveexec_b64 s[6:7], s[6:7]
	v_mov_b32_e32 v21, s10
	s_xor_b64 exec, exec, s[6:7]
	s_cbranch_execnz .LBB1_5432
; %bb.13615:
	s_getpc_b64 s[14:15]
.Lpost_getpc2711:
	s_add_u32 s14, s14, (.LBB1_1334-.Lpost_getpc2711)&4294967295
	s_addc_u32 s15, s15, (.LBB1_1334-.Lpost_getpc2711)>>32
	s_setpc_b64 s[14:15]
.LBB1_5432:
	v_cmp_ne_u16_e32 vcc, 0, v16
	s_andn2_b64 s[4:5], s[4:5], exec
	s_and_b64 s[8:9], vcc, exec
	v_mov_b32_e32 v21, 0
	s_or_b64 s[4:5], s[4:5], s[8:9]
	s_or_b64 exec, exec, s[6:7]
	s_and_saveexec_b64 s[6:7], s[4:5]
	s_cbranch_execz .LBB1_8859
; %bb.13617:
	s_getpc_b64 s[14:15]
.Lpost_getpc2712:
	s_add_u32 s14, s14, (.LBB1_1335-.Lpost_getpc2712)&4294967295
	s_addc_u32 s15, s15, (.LBB1_1335-.Lpost_getpc2712)>>32
	s_setpc_b64 s[14:15]
.LBB1_8859:
	s_getpc_b64 s[14:15]
.Lpost_getpc333:
	s_add_u32 s14, s14, (.LBB1_1336-.Lpost_getpc333)&4294967295
	s_addc_u32 s15, s15, (.LBB1_1336-.Lpost_getpc333)>>32
	s_setpc_b64 s[14:15]
.LBB1_5433:
	s_movk_i32 s4, 0x80
	v_cmp_eq_u16_sdwa s[12:13], v17, s4 src0_sel:BYTE_3 src1_sel:DWORD
	s_mov_b64 s[4:5], -1
                                        ; implicit-def: $sgpr10
	s_and_saveexec_b64 s[8:9], s[12:13]
; %bb.5434:
	s_mov_b32 s10, 0x7f800001
	s_xor_b64 s[4:5], exec, -1
; %bb.5435:
	s_or_b64 exec, exec, s[8:9]
	s_and_b64 s[4:5], s[4:5], exec
	s_or_saveexec_b64 s[6:7], s[6:7]
	v_mov_b32_e32 v12, s10
	s_xor_b64 exec, exec, s[6:7]
	s_cbranch_execnz .LBB1_5436
; %bb.13619:
	s_getpc_b64 s[14:15]
.Lpost_getpc2713:
	s_add_u32 s14, s14, (.LBB1_1338-.Lpost_getpc2713)&4294967295
	s_addc_u32 s15, s15, (.LBB1_1338-.Lpost_getpc2713)>>32
	s_setpc_b64 s[14:15]
.LBB1_5436:
	v_mov_b32_e32 v12, 0
	v_cmp_ne_u16_sdwa s[8:9], v17, v12 src0_sel:BYTE_3 src1_sel:DWORD
	s_andn2_b64 s[4:5], s[4:5], exec
	s_and_b64 s[8:9], s[8:9], exec
	s_or_b64 s[4:5], s[4:5], s[8:9]
	s_or_b64 exec, exec, s[6:7]
	s_and_saveexec_b64 s[6:7], s[4:5]
	s_cbranch_execz .LBB1_8861
; %bb.13621:
	s_getpc_b64 s[14:15]
.Lpost_getpc2714:
	s_add_u32 s14, s14, (.LBB1_1339-.Lpost_getpc2714)&4294967295
	s_addc_u32 s15, s15, (.LBB1_1339-.Lpost_getpc2714)>>32
	s_setpc_b64 s[14:15]
.LBB1_8861:
	s_getpc_b64 s[14:15]
.Lpost_getpc334:
	s_add_u32 s14, s14, (.LBB1_1340-.Lpost_getpc334)&4294967295
	s_addc_u32 s15, s15, (.LBB1_1340-.Lpost_getpc334)>>32
	s_setpc_b64 s[14:15]
.LBB1_5437:
	s_movk_i32 s4, 0x80
	v_cmp_eq_u16_sdwa s[12:13], v13, s4 src0_sel:BYTE_3 src1_sel:DWORD
	s_mov_b64 s[4:5], -1
                                        ; implicit-def: $sgpr10
	s_and_saveexec_b64 s[8:9], s[12:13]
; %bb.5438:
	s_mov_b32 s10, 0x7f800001
	s_xor_b64 s[4:5], exec, -1
; %bb.5439:
	s_or_b64 exec, exec, s[8:9]
	s_and_b64 s[4:5], s[4:5], exec
	s_or_saveexec_b64 s[6:7], s[6:7]
	v_mov_b32_e32 v16, s10
	s_xor_b64 exec, exec, s[6:7]
	s_cbranch_execnz .LBB1_5440
; %bb.13623:
	s_getpc_b64 s[14:15]
.Lpost_getpc2715:
	s_add_u32 s14, s14, (.LBB1_1342-.Lpost_getpc2715)&4294967295
	s_addc_u32 s15, s15, (.LBB1_1342-.Lpost_getpc2715)>>32
	s_setpc_b64 s[14:15]
.LBB1_5440:
	v_mov_b32_e32 v16, 0
	v_cmp_ne_u16_sdwa s[8:9], v13, v16 src0_sel:BYTE_3 src1_sel:DWORD
	s_andn2_b64 s[4:5], s[4:5], exec
	s_and_b64 s[8:9], s[8:9], exec
	s_or_b64 s[4:5], s[4:5], s[8:9]
	s_or_b64 exec, exec, s[6:7]
	s_and_saveexec_b64 s[6:7], s[4:5]
	s_cbranch_execz .LBB1_8863
; %bb.13625:
	s_getpc_b64 s[14:15]
.Lpost_getpc2716:
	s_add_u32 s14, s14, (.LBB1_1343-.Lpost_getpc2716)&4294967295
	s_addc_u32 s15, s15, (.LBB1_1343-.Lpost_getpc2716)>>32
	s_setpc_b64 s[14:15]
.LBB1_8863:
	s_getpc_b64 s[14:15]
.Lpost_getpc335:
	s_add_u32 s14, s14, (.LBB1_1344-.Lpost_getpc335)&4294967295
	s_addc_u32 s15, s15, (.LBB1_1344-.Lpost_getpc335)>>32
	s_setpc_b64 s[14:15]
.LBB1_5441:
	s_movk_i32 s4, 0x80
	v_cmp_eq_u16_sdwa s[12:13], v18, s4 src0_sel:BYTE_0 src1_sel:DWORD
	s_mov_b64 s[4:5], -1
                                        ; implicit-def: $sgpr10
	s_and_saveexec_b64 s[8:9], s[12:13]
; %bb.5442:
	s_mov_b32 s10, 0x7f800001
	s_xor_b64 s[4:5], exec, -1
; %bb.5443:
	s_or_b64 exec, exec, s[8:9]
	s_and_b64 s[4:5], s[4:5], exec
	s_or_saveexec_b64 s[6:7], s[6:7]
	v_mov_b32_e32 v13, s10
	s_xor_b64 exec, exec, s[6:7]
	s_cbranch_execnz .LBB1_5444
; %bb.13627:
	s_getpc_b64 s[14:15]
.Lpost_getpc2717:
	s_add_u32 s14, s14, (.LBB1_1346-.Lpost_getpc2717)&4294967295
	s_addc_u32 s15, s15, (.LBB1_1346-.Lpost_getpc2717)>>32
	s_setpc_b64 s[14:15]
.LBB1_5444:
	v_mov_b32_e32 v13, 0
	v_cmp_ne_u16_sdwa s[8:9], v18, v13 src0_sel:BYTE_0 src1_sel:DWORD
	s_andn2_b64 s[4:5], s[4:5], exec
	s_and_b64 s[8:9], s[8:9], exec
	s_or_b64 s[4:5], s[4:5], s[8:9]
	s_or_b64 exec, exec, s[6:7]
	s_and_saveexec_b64 s[6:7], s[4:5]
	s_cbranch_execz .LBB1_8865
; %bb.13629:
	s_getpc_b64 s[14:15]
.Lpost_getpc2718:
	s_add_u32 s14, s14, (.LBB1_1347-.Lpost_getpc2718)&4294967295
	s_addc_u32 s15, s15, (.LBB1_1347-.Lpost_getpc2718)>>32
	s_setpc_b64 s[14:15]
.LBB1_8865:
	s_getpc_b64 s[14:15]
.Lpost_getpc336:
	s_add_u32 s14, s14, (.LBB1_1348-.Lpost_getpc336)&4294967295
	s_addc_u32 s15, s15, (.LBB1_1348-.Lpost_getpc336)>>32
	s_setpc_b64 s[14:15]
.LBB1_5445:
	s_movk_i32 s4, 0x80
	v_cmp_eq_u16_sdwa s[12:13], v16, s4 src0_sel:BYTE_0 src1_sel:DWORD
	s_mov_b64 s[4:5], -1
                                        ; implicit-def: $sgpr10
	s_and_saveexec_b64 s[8:9], s[12:13]
; %bb.5446:
	s_mov_b32 s10, 0x7f800001
	s_xor_b64 s[4:5], exec, -1
; %bb.5447:
	s_or_b64 exec, exec, s[8:9]
	s_and_b64 s[4:5], s[4:5], exec
	s_or_saveexec_b64 s[6:7], s[6:7]
	v_mov_b32_e32 v14, s10
	s_xor_b64 exec, exec, s[6:7]
	s_cbranch_execnz .LBB1_5448
; %bb.13631:
	s_getpc_b64 s[14:15]
.Lpost_getpc2719:
	s_add_u32 s14, s14, (.LBB1_1350-.Lpost_getpc2719)&4294967295
	s_addc_u32 s15, s15, (.LBB1_1350-.Lpost_getpc2719)>>32
	s_setpc_b64 s[14:15]
.LBB1_5448:
	v_mov_b32_e32 v14, 0
	v_cmp_ne_u16_sdwa s[8:9], v16, v14 src0_sel:BYTE_0 src1_sel:DWORD
	s_andn2_b64 s[4:5], s[4:5], exec
	s_and_b64 s[8:9], s[8:9], exec
	s_or_b64 s[4:5], s[4:5], s[8:9]
	s_or_b64 exec, exec, s[6:7]
	v_or_b32_sdwa v12, v16, v12 dst_sel:DWORD dst_unused:UNUSED_PAD src0_sel:WORD_0 src1_sel:DWORD
	s_and_saveexec_b64 s[6:7], s[4:5]
	s_cbranch_execz .LBB1_8867
; %bb.13633:
	s_getpc_b64 s[14:15]
.Lpost_getpc2720:
	s_add_u32 s14, s14, (.LBB1_1351-.Lpost_getpc2720)&4294967295
	s_addc_u32 s15, s15, (.LBB1_1351-.Lpost_getpc2720)>>32
	s_setpc_b64 s[14:15]
.LBB1_8867:
	s_getpc_b64 s[14:15]
.Lpost_getpc337:
	s_add_u32 s14, s14, (.LBB1_1352-.Lpost_getpc337)&4294967295
	s_addc_u32 s15, s15, (.LBB1_1352-.Lpost_getpc337)>>32
	s_setpc_b64 s[14:15]
.LBB1_5449:
	s_movk_i32 s4, 0x80
	v_cmp_eq_u16_sdwa s[12:13], v14, s4 src0_sel:BYTE_0 src1_sel:DWORD
	s_mov_b64 s[4:5], -1
                                        ; implicit-def: $sgpr10
	s_and_saveexec_b64 s[8:9], s[12:13]
; %bb.5450:
	s_mov_b32 s10, 0x7f800001
	s_xor_b64 s[4:5], exec, -1
; %bb.5451:
	s_or_b64 exec, exec, s[8:9]
	s_and_b64 s[4:5], s[4:5], exec
	s_or_saveexec_b64 s[6:7], s[6:7]
	v_mov_b32_e32 v13, s10
	s_xor_b64 exec, exec, s[6:7]
	s_cbranch_execnz .LBB1_5452
; %bb.13635:
	s_getpc_b64 s[14:15]
.Lpost_getpc2721:
	s_add_u32 s14, s14, (.LBB1_1354-.Lpost_getpc2721)&4294967295
	s_addc_u32 s15, s15, (.LBB1_1354-.Lpost_getpc2721)>>32
	s_setpc_b64 s[14:15]
.LBB1_5452:
	v_mov_b32_e32 v13, 0
	v_cmp_ne_u16_sdwa s[8:9], v14, v13 src0_sel:BYTE_0 src1_sel:DWORD
	s_andn2_b64 s[4:5], s[4:5], exec
	s_and_b64 s[8:9], s[8:9], exec
	s_or_b64 s[4:5], s[4:5], s[8:9]
	s_or_b64 exec, exec, s[6:7]
	s_and_saveexec_b64 s[6:7], s[4:5]
	s_cbranch_execz .LBB1_8869
; %bb.13637:
	s_getpc_b64 s[14:15]
.Lpost_getpc2722:
	s_add_u32 s14, s14, (.LBB1_1355-.Lpost_getpc2722)&4294967295
	s_addc_u32 s15, s15, (.LBB1_1355-.Lpost_getpc2722)>>32
	s_setpc_b64 s[14:15]
.LBB1_8869:
	s_getpc_b64 s[14:15]
.Lpost_getpc338:
	s_add_u32 s14, s14, (.LBB1_1356-.Lpost_getpc338)&4294967295
	s_addc_u32 s15, s15, (.LBB1_1356-.Lpost_getpc338)>>32
	s_setpc_b64 s[14:15]
.LBB1_5453:
	s_movk_i32 s4, 0x80
	v_cmp_eq_u16_sdwa s[12:13], v14, s4 src0_sel:BYTE_0 src1_sel:DWORD
	s_mov_b64 s[4:5], -1
                                        ; implicit-def: $sgpr10
	s_and_saveexec_b64 s[8:9], s[12:13]
; %bb.5454:
	s_mov_b32 s10, 0x7f800001
	s_xor_b64 s[4:5], exec, -1
; %bb.5455:
	s_or_b64 exec, exec, s[8:9]
	s_and_b64 s[4:5], s[4:5], exec
	s_or_saveexec_b64 s[6:7], s[6:7]
	v_mov_b32_e32 v16, s10
	s_xor_b64 exec, exec, s[6:7]
	s_cbranch_execnz .LBB1_5456
; %bb.13639:
	s_getpc_b64 s[14:15]
.Lpost_getpc2723:
	s_add_u32 s14, s14, (.LBB1_1358-.Lpost_getpc2723)&4294967295
	s_addc_u32 s15, s15, (.LBB1_1358-.Lpost_getpc2723)>>32
	s_setpc_b64 s[14:15]
.LBB1_5456:
	v_mov_b32_e32 v16, 0
	v_cmp_ne_u16_sdwa s[8:9], v14, v16 src0_sel:BYTE_0 src1_sel:DWORD
	s_andn2_b64 s[4:5], s[4:5], exec
	s_and_b64 s[8:9], s[8:9], exec
	s_or_b64 s[4:5], s[4:5], s[8:9]
	s_or_b64 exec, exec, s[6:7]
	s_and_saveexec_b64 s[6:7], s[4:5]
	s_cbranch_execz .LBB1_8871
; %bb.13641:
	s_getpc_b64 s[14:15]
.Lpost_getpc2724:
	s_add_u32 s14, s14, (.LBB1_1359-.Lpost_getpc2724)&4294967295
	s_addc_u32 s15, s15, (.LBB1_1359-.Lpost_getpc2724)>>32
	s_setpc_b64 s[14:15]
.LBB1_8871:
	s_getpc_b64 s[14:15]
.Lpost_getpc339:
	s_add_u32 s14, s14, (.LBB1_1360-.Lpost_getpc339)&4294967295
	s_addc_u32 s15, s15, (.LBB1_1360-.Lpost_getpc339)>>32
	s_setpc_b64 s[14:15]
.LBB1_5457:
	s_movk_i32 s4, 0x80
	v_cmp_eq_u16_e32 vcc, s4, v14
	s_mov_b64 s[4:5], -1
                                        ; implicit-def: $sgpr10
	s_and_saveexec_b64 s[8:9], vcc
; %bb.5458:
	s_mov_b32 s10, 0x7f800001
	s_xor_b64 s[4:5], exec, -1
; %bb.5459:
	s_or_b64 exec, exec, s[8:9]
	s_and_b64 s[4:5], s[4:5], exec
                                        ; implicit-def: $vgpr14
	s_or_saveexec_b64 s[6:7], s[6:7]
	v_mov_b32_e32 v13, s10
	s_xor_b64 exec, exec, s[6:7]
	s_cbranch_execnz .LBB1_5460
; %bb.13643:
	s_getpc_b64 s[14:15]
.Lpost_getpc2725:
	s_add_u32 s14, s14, (.LBB1_1362-.Lpost_getpc2725)&4294967295
	s_addc_u32 s15, s15, (.LBB1_1362-.Lpost_getpc2725)>>32
	s_setpc_b64 s[14:15]
.LBB1_5460:
	v_cmp_ne_u16_e32 vcc, 0, v14
	s_andn2_b64 s[4:5], s[4:5], exec
	s_and_b64 s[8:9], vcc, exec
	v_mov_b32_e32 v13, 0
	s_or_b64 s[4:5], s[4:5], s[8:9]
	s_or_b64 exec, exec, s[6:7]
	s_and_saveexec_b64 s[6:7], s[4:5]
	s_cbranch_execz .LBB1_8873
; %bb.13645:
	s_getpc_b64 s[14:15]
.Lpost_getpc2726:
	s_add_u32 s14, s14, (.LBB1_1363-.Lpost_getpc2726)&4294967295
	s_addc_u32 s15, s15, (.LBB1_1363-.Lpost_getpc2726)>>32
	s_setpc_b64 s[14:15]
.LBB1_8873:
	s_getpc_b64 s[14:15]
.Lpost_getpc340:
	s_add_u32 s14, s14, (.LBB1_1364-.Lpost_getpc340)&4294967295
	s_addc_u32 s15, s15, (.LBB1_1364-.Lpost_getpc340)>>32
	s_setpc_b64 s[14:15]
.LBB1_5461:
	s_movk_i32 s4, 0x80
	v_cmp_eq_u16_e32 vcc, s4, v14
	s_mov_b64 s[4:5], -1
                                        ; implicit-def: $sgpr10
	s_and_saveexec_b64 s[8:9], vcc
; %bb.5462:
	s_mov_b32 s10, 0x7f800001
	s_xor_b64 s[4:5], exec, -1
; %bb.5463:
	s_or_b64 exec, exec, s[8:9]
	s_and_b64 s[4:5], s[4:5], exec
                                        ; implicit-def: $vgpr14
	s_or_saveexec_b64 s[6:7], s[6:7]
	v_mov_b32_e32 v16, s10
	s_xor_b64 exec, exec, s[6:7]
	s_cbranch_execnz .LBB1_5464
; %bb.13647:
	s_getpc_b64 s[14:15]
.Lpost_getpc2727:
	s_add_u32 s14, s14, (.LBB1_1366-.Lpost_getpc2727)&4294967295
	s_addc_u32 s15, s15, (.LBB1_1366-.Lpost_getpc2727)>>32
	s_setpc_b64 s[14:15]
.LBB1_5464:
	v_cmp_ne_u16_e32 vcc, 0, v14
	s_andn2_b64 s[4:5], s[4:5], exec
	s_and_b64 s[8:9], vcc, exec
	v_mov_b32_e32 v16, 0
	s_or_b64 s[4:5], s[4:5], s[8:9]
	s_or_b64 exec, exec, s[6:7]
	s_and_saveexec_b64 s[6:7], s[4:5]
	s_cbranch_execz .LBB1_8875
; %bb.13649:
	s_getpc_b64 s[14:15]
.Lpost_getpc2728:
	s_add_u32 s14, s14, (.LBB1_1367-.Lpost_getpc2728)&4294967295
	s_addc_u32 s15, s15, (.LBB1_1367-.Lpost_getpc2728)>>32
	s_setpc_b64 s[14:15]
.LBB1_8875:
	s_getpc_b64 s[14:15]
.Lpost_getpc341:
	s_add_u32 s14, s14, (.LBB1_1368-.Lpost_getpc341)&4294967295
	s_addc_u32 s15, s15, (.LBB1_1368-.Lpost_getpc341)>>32
	s_setpc_b64 s[14:15]
.LBB1_5465:
	s_movk_i32 s4, 0x80
	v_cmp_eq_u16_sdwa s[12:13], v18, s4 src0_sel:BYTE_3 src1_sel:DWORD
	s_mov_b64 s[4:5], -1
                                        ; implicit-def: $sgpr10
	s_and_saveexec_b64 s[8:9], s[12:13]
; %bb.5466:
	s_mov_b32 s10, 0x7f800001
	s_xor_b64 s[4:5], exec, -1
; %bb.5467:
	s_or_b64 exec, exec, s[8:9]
	s_and_b64 s[4:5], s[4:5], exec
	s_or_saveexec_b64 s[6:7], s[6:7]
	v_mov_b32_e32 v13, s10
	s_xor_b64 exec, exec, s[6:7]
	s_cbranch_execnz .LBB1_5468
; %bb.13651:
	s_getpc_b64 s[14:15]
.Lpost_getpc2729:
	s_add_u32 s14, s14, (.LBB1_1370-.Lpost_getpc2729)&4294967295
	s_addc_u32 s15, s15, (.LBB1_1370-.Lpost_getpc2729)>>32
	s_setpc_b64 s[14:15]
.LBB1_5468:
	v_mov_b32_e32 v13, 0
	v_cmp_ne_u16_sdwa s[8:9], v18, v13 src0_sel:BYTE_3 src1_sel:DWORD
	s_andn2_b64 s[4:5], s[4:5], exec
	s_and_b64 s[8:9], s[8:9], exec
	s_or_b64 s[4:5], s[4:5], s[8:9]
	s_or_b64 exec, exec, s[6:7]
	s_and_saveexec_b64 s[6:7], s[4:5]
	s_cbranch_execz .LBB1_8877
; %bb.13653:
	s_getpc_b64 s[14:15]
.Lpost_getpc2730:
	s_add_u32 s14, s14, (.LBB1_1371-.Lpost_getpc2730)&4294967295
	s_addc_u32 s15, s15, (.LBB1_1371-.Lpost_getpc2730)>>32
	s_setpc_b64 s[14:15]
.LBB1_8877:
	s_getpc_b64 s[14:15]
.Lpost_getpc342:
	s_add_u32 s14, s14, (.LBB1_1372-.Lpost_getpc342)&4294967295
	s_addc_u32 s15, s15, (.LBB1_1372-.Lpost_getpc342)>>32
	s_setpc_b64 s[14:15]
.LBB1_5469:
	s_movk_i32 s4, 0x80
	v_cmp_eq_u16_sdwa s[12:13], v12, s4 src0_sel:BYTE_3 src1_sel:DWORD
	s_mov_b64 s[4:5], -1
                                        ; implicit-def: $sgpr10
	s_and_saveexec_b64 s[8:9], s[12:13]
; %bb.5470:
	s_mov_b32 s10, 0x7f800001
	s_xor_b64 s[4:5], exec, -1
; %bb.5471:
	s_or_b64 exec, exec, s[8:9]
	s_and_b64 s[4:5], s[4:5], exec
	s_or_saveexec_b64 s[6:7], s[6:7]
	v_mov_b32_e32 v14, s10
	s_xor_b64 exec, exec, s[6:7]
	s_cbranch_execnz .LBB1_5472
; %bb.13655:
	s_getpc_b64 s[14:15]
.Lpost_getpc2731:
	s_add_u32 s14, s14, (.LBB1_1374-.Lpost_getpc2731)&4294967295
	s_addc_u32 s15, s15, (.LBB1_1374-.Lpost_getpc2731)>>32
	s_setpc_b64 s[14:15]
.LBB1_5472:
	v_mov_b32_e32 v14, 0
	v_cmp_ne_u16_sdwa s[8:9], v12, v14 src0_sel:BYTE_3 src1_sel:DWORD
	s_andn2_b64 s[4:5], s[4:5], exec
	s_and_b64 s[8:9], s[8:9], exec
	s_or_b64 s[4:5], s[4:5], s[8:9]
	s_or_b64 exec, exec, s[6:7]
	s_and_saveexec_b64 s[6:7], s[4:5]
	s_cbranch_execz .LBB1_8879
; %bb.13657:
	s_getpc_b64 s[14:15]
.Lpost_getpc2732:
	s_add_u32 s14, s14, (.LBB1_1375-.Lpost_getpc2732)&4294967295
	s_addc_u32 s15, s15, (.LBB1_1375-.Lpost_getpc2732)>>32
	s_setpc_b64 s[14:15]
.LBB1_8879:
	s_getpc_b64 s[14:15]
.Lpost_getpc343:
	s_add_u32 s14, s14, (.LBB1_1376-.Lpost_getpc343)&4294967295
	s_addc_u32 s15, s15, (.LBB1_1376-.Lpost_getpc343)>>32
	s_setpc_b64 s[14:15]
.LBB1_5473:
	s_movk_i32 s4, 0x80
	v_cmp_eq_u16_sdwa s[12:13], v19, s4 src0_sel:BYTE_0 src1_sel:DWORD
	s_mov_b64 s[4:5], -1
                                        ; implicit-def: $sgpr10
	s_and_saveexec_b64 s[8:9], s[12:13]
; %bb.5474:
	s_mov_b32 s10, 0x7f800001
	s_xor_b64 s[4:5], exec, -1
; %bb.5475:
	s_or_b64 exec, exec, s[8:9]
	s_and_b64 s[4:5], s[4:5], exec
	s_or_saveexec_b64 s[6:7], s[6:7]
	v_mov_b32_e32 v12, s10
	s_xor_b64 exec, exec, s[6:7]
	s_cbranch_execnz .LBB1_5476
; %bb.13659:
	s_getpc_b64 s[14:15]
.Lpost_getpc2733:
	s_add_u32 s14, s14, (.LBB1_1378-.Lpost_getpc2733)&4294967295
	s_addc_u32 s15, s15, (.LBB1_1378-.Lpost_getpc2733)>>32
	s_setpc_b64 s[14:15]
.LBB1_5476:
	v_mov_b32_e32 v12, 0
	v_cmp_ne_u16_sdwa s[8:9], v19, v12 src0_sel:BYTE_0 src1_sel:DWORD
	s_andn2_b64 s[4:5], s[4:5], exec
	s_and_b64 s[8:9], s[8:9], exec
	s_or_b64 s[4:5], s[4:5], s[8:9]
	s_or_b64 exec, exec, s[6:7]
	s_and_saveexec_b64 s[6:7], s[4:5]
	s_cbranch_execz .LBB1_8881
; %bb.13661:
	s_getpc_b64 s[14:15]
.Lpost_getpc2734:
	s_add_u32 s14, s14, (.LBB1_1379-.Lpost_getpc2734)&4294967295
	s_addc_u32 s15, s15, (.LBB1_1379-.Lpost_getpc2734)>>32
	s_setpc_b64 s[14:15]
.LBB1_8881:
	s_getpc_b64 s[14:15]
.Lpost_getpc344:
	s_add_u32 s14, s14, (.LBB1_1380-.Lpost_getpc344)&4294967295
	s_addc_u32 s15, s15, (.LBB1_1380-.Lpost_getpc344)>>32
	s_setpc_b64 s[14:15]
.LBB1_5477:
	s_movk_i32 s4, 0x80
	v_cmp_eq_u16_sdwa s[12:13], v15, s4 src0_sel:BYTE_0 src1_sel:DWORD
	s_mov_b64 s[4:5], -1
                                        ; implicit-def: $sgpr10
	s_and_saveexec_b64 s[8:9], s[12:13]
; %bb.5478:
	s_mov_b32 s10, 0x7f800001
	s_xor_b64 s[4:5], exec, -1
; %bb.5479:
	s_or_b64 exec, exec, s[8:9]
	s_and_b64 s[4:5], s[4:5], exec
	s_or_saveexec_b64 s[6:7], s[6:7]
	v_mov_b32_e32 v13, s10
	s_xor_b64 exec, exec, s[6:7]
	s_cbranch_execnz .LBB1_5480
; %bb.13663:
	s_getpc_b64 s[14:15]
.Lpost_getpc2735:
	s_add_u32 s14, s14, (.LBB1_1382-.Lpost_getpc2735)&4294967295
	s_addc_u32 s15, s15, (.LBB1_1382-.Lpost_getpc2735)>>32
	s_setpc_b64 s[14:15]
.LBB1_5480:
	v_mov_b32_e32 v13, 0
	v_cmp_ne_u16_sdwa s[8:9], v15, v13 src0_sel:BYTE_0 src1_sel:DWORD
	s_andn2_b64 s[4:5], s[4:5], exec
	s_and_b64 s[8:9], s[8:9], exec
	s_or_b64 s[4:5], s[4:5], s[8:9]
	s_or_b64 exec, exec, s[6:7]
	s_and_saveexec_b64 s[6:7], s[4:5]
	s_cbranch_execz .LBB1_8883
; %bb.13665:
	s_getpc_b64 s[14:15]
.Lpost_getpc2736:
	s_add_u32 s14, s14, (.LBB1_1383-.Lpost_getpc2736)&4294967295
	s_addc_u32 s15, s15, (.LBB1_1383-.Lpost_getpc2736)>>32
	s_setpc_b64 s[14:15]
.LBB1_8883:
	s_getpc_b64 s[14:15]
.Lpost_getpc345:
	s_add_u32 s14, s14, (.LBB1_1384-.Lpost_getpc345)&4294967295
	s_addc_u32 s15, s15, (.LBB1_1384-.Lpost_getpc345)>>32
	s_setpc_b64 s[14:15]
.LBB1_5481:
	s_movk_i32 s4, 0x80
	v_cmp_eq_u16_sdwa s[12:13], v13, s4 src0_sel:BYTE_0 src1_sel:DWORD
	s_mov_b64 s[4:5], -1
                                        ; implicit-def: $sgpr10
	s_and_saveexec_b64 s[8:9], s[12:13]
; %bb.5482:
	s_mov_b32 s10, 0x7f800001
	s_xor_b64 s[4:5], exec, -1
; %bb.5483:
	s_or_b64 exec, exec, s[8:9]
	s_and_b64 s[4:5], s[4:5], exec
	s_or_saveexec_b64 s[6:7], s[6:7]
	v_mov_b32_e32 v12, s10
	s_xor_b64 exec, exec, s[6:7]
	s_cbranch_execnz .LBB1_5484
; %bb.13667:
	s_getpc_b64 s[14:15]
.Lpost_getpc2737:
	s_add_u32 s14, s14, (.LBB1_1386-.Lpost_getpc2737)&4294967295
	s_addc_u32 s15, s15, (.LBB1_1386-.Lpost_getpc2737)>>32
	s_setpc_b64 s[14:15]
.LBB1_5484:
	v_mov_b32_e32 v12, 0
	v_cmp_ne_u16_sdwa s[8:9], v13, v12 src0_sel:BYTE_0 src1_sel:DWORD
	s_andn2_b64 s[4:5], s[4:5], exec
	s_and_b64 s[8:9], s[8:9], exec
	s_or_b64 s[4:5], s[4:5], s[8:9]
	s_or_b64 exec, exec, s[6:7]
	s_and_saveexec_b64 s[6:7], s[4:5]
	s_cbranch_execz .LBB1_8885
; %bb.13669:
	s_getpc_b64 s[14:15]
.Lpost_getpc2738:
	s_add_u32 s14, s14, (.LBB1_1387-.Lpost_getpc2738)&4294967295
	s_addc_u32 s15, s15, (.LBB1_1387-.Lpost_getpc2738)>>32
	s_setpc_b64 s[14:15]
.LBB1_8885:
	s_getpc_b64 s[14:15]
.Lpost_getpc346:
	s_add_u32 s14, s14, (.LBB1_1388-.Lpost_getpc346)&4294967295
	s_addc_u32 s15, s15, (.LBB1_1388-.Lpost_getpc346)>>32
	s_setpc_b64 s[14:15]
.LBB1_5485:
	s_movk_i32 s4, 0x80
	v_cmp_eq_u16_sdwa s[12:13], v13, s4 src0_sel:BYTE_0 src1_sel:DWORD
	s_mov_b64 s[4:5], -1
                                        ; implicit-def: $sgpr10
	s_and_saveexec_b64 s[8:9], s[12:13]
; %bb.5486:
	s_mov_b32 s10, 0x7f800001
	s_xor_b64 s[4:5], exec, -1
; %bb.5487:
	s_or_b64 exec, exec, s[8:9]
	s_and_b64 s[4:5], s[4:5], exec
	s_or_saveexec_b64 s[6:7], s[6:7]
	v_mov_b32_e32 v14, s10
	s_xor_b64 exec, exec, s[6:7]
	s_cbranch_execnz .LBB1_5488
; %bb.13671:
	s_getpc_b64 s[14:15]
.Lpost_getpc2739:
	s_add_u32 s14, s14, (.LBB1_1390-.Lpost_getpc2739)&4294967295
	s_addc_u32 s15, s15, (.LBB1_1390-.Lpost_getpc2739)>>32
	s_setpc_b64 s[14:15]
.LBB1_5488:
	v_mov_b32_e32 v14, 0
	v_cmp_ne_u16_sdwa s[8:9], v13, v14 src0_sel:BYTE_0 src1_sel:DWORD
	s_andn2_b64 s[4:5], s[4:5], exec
	s_and_b64 s[8:9], s[8:9], exec
	s_or_b64 s[4:5], s[4:5], s[8:9]
	s_or_b64 exec, exec, s[6:7]
	s_and_saveexec_b64 s[6:7], s[4:5]
	s_cbranch_execz .LBB1_8887
; %bb.13673:
	s_getpc_b64 s[14:15]
.Lpost_getpc2740:
	s_add_u32 s14, s14, (.LBB1_1391-.Lpost_getpc2740)&4294967295
	s_addc_u32 s15, s15, (.LBB1_1391-.Lpost_getpc2740)>>32
	s_setpc_b64 s[14:15]
.LBB1_8887:
	s_getpc_b64 s[14:15]
.Lpost_getpc347:
	s_add_u32 s14, s14, (.LBB1_1392-.Lpost_getpc347)&4294967295
	s_addc_u32 s15, s15, (.LBB1_1392-.Lpost_getpc347)>>32
	s_setpc_b64 s[14:15]
.LBB1_5489:
	s_movk_i32 s4, 0x80
	v_cmp_eq_u16_e32 vcc, s4, v13
	s_mov_b64 s[4:5], -1
                                        ; implicit-def: $sgpr10
	s_and_saveexec_b64 s[8:9], vcc
; %bb.5490:
	s_mov_b32 s10, 0x7f800001
	s_xor_b64 s[4:5], exec, -1
; %bb.5491:
	s_or_b64 exec, exec, s[8:9]
	s_and_b64 s[4:5], s[4:5], exec
                                        ; implicit-def: $vgpr13
	s_or_saveexec_b64 s[6:7], s[6:7]
	v_mov_b32_e32 v12, s10
	s_xor_b64 exec, exec, s[6:7]
	s_cbranch_execnz .LBB1_5492
; %bb.13675:
	s_getpc_b64 s[14:15]
.Lpost_getpc2741:
	s_add_u32 s14, s14, (.LBB1_1394-.Lpost_getpc2741)&4294967295
	s_addc_u32 s15, s15, (.LBB1_1394-.Lpost_getpc2741)>>32
	s_setpc_b64 s[14:15]
.LBB1_5492:
	v_cmp_ne_u16_e32 vcc, 0, v13
	s_andn2_b64 s[4:5], s[4:5], exec
	s_and_b64 s[8:9], vcc, exec
	v_mov_b32_e32 v12, 0
	s_or_b64 s[4:5], s[4:5], s[8:9]
	s_or_b64 exec, exec, s[6:7]
	s_and_saveexec_b64 s[6:7], s[4:5]
	s_cbranch_execz .LBB1_8889
; %bb.13677:
	s_getpc_b64 s[14:15]
.Lpost_getpc2742:
	s_add_u32 s14, s14, (.LBB1_1395-.Lpost_getpc2742)&4294967295
	s_addc_u32 s15, s15, (.LBB1_1395-.Lpost_getpc2742)>>32
	s_setpc_b64 s[14:15]
.LBB1_8889:
	s_getpc_b64 s[14:15]
.Lpost_getpc348:
	s_add_u32 s14, s14, (.LBB1_1396-.Lpost_getpc348)&4294967295
	s_addc_u32 s15, s15, (.LBB1_1396-.Lpost_getpc348)>>32
	s_setpc_b64 s[14:15]
.LBB1_5493:
	s_movk_i32 s4, 0x80
	v_cmp_eq_u16_e32 vcc, s4, v13
	s_mov_b64 s[4:5], -1
                                        ; implicit-def: $sgpr10
	s_and_saveexec_b64 s[8:9], vcc
; %bb.5494:
	s_mov_b32 s10, 0x7f800001
	s_xor_b64 s[4:5], exec, -1
; %bb.5495:
	s_or_b64 exec, exec, s[8:9]
	s_and_b64 s[4:5], s[4:5], exec
                                        ; implicit-def: $vgpr13
	s_or_saveexec_b64 s[6:7], s[6:7]
	v_mov_b32_e32 v14, s10
	s_xor_b64 exec, exec, s[6:7]
	s_cbranch_execnz .LBB1_5496
; %bb.13679:
	s_getpc_b64 s[14:15]
.Lpost_getpc2743:
	s_add_u32 s14, s14, (.LBB1_1398-.Lpost_getpc2743)&4294967295
	s_addc_u32 s15, s15, (.LBB1_1398-.Lpost_getpc2743)>>32
	s_setpc_b64 s[14:15]
.LBB1_5496:
	v_cmp_ne_u16_e32 vcc, 0, v13
	s_andn2_b64 s[4:5], s[4:5], exec
	s_and_b64 s[8:9], vcc, exec
	v_mov_b32_e32 v14, 0
	s_or_b64 s[4:5], s[4:5], s[8:9]
	s_or_b64 exec, exec, s[6:7]
	s_and_saveexec_b64 s[6:7], s[4:5]
	s_cbranch_execz .LBB1_8891
; %bb.13681:
	s_getpc_b64 s[14:15]
.Lpost_getpc2744:
	s_add_u32 s14, s14, (.LBB1_1399-.Lpost_getpc2744)&4294967295
	s_addc_u32 s15, s15, (.LBB1_1399-.Lpost_getpc2744)>>32
	s_setpc_b64 s[14:15]
.LBB1_8891:
	s_getpc_b64 s[14:15]
.Lpost_getpc349:
	s_add_u32 s14, s14, (.LBB1_1400-.Lpost_getpc349)&4294967295
	s_addc_u32 s15, s15, (.LBB1_1400-.Lpost_getpc349)>>32
	s_setpc_b64 s[14:15]
.LBB1_5497:
	s_movk_i32 s4, 0x80
	v_cmp_eq_u16_sdwa s[12:13], v19, s4 src0_sel:BYTE_3 src1_sel:DWORD
	s_mov_b64 s[4:5], -1
                                        ; implicit-def: $sgpr10
	s_and_saveexec_b64 s[8:9], s[12:13]
; %bb.5498:
	s_mov_b32 s10, 0x7f800001
	s_xor_b64 s[4:5], exec, -1
; %bb.5499:
	s_or_b64 exec, exec, s[8:9]
	s_and_b64 s[4:5], s[4:5], exec
	s_or_saveexec_b64 s[6:7], s[6:7]
	v_mov_b32_e32 v12, s10
	s_xor_b64 exec, exec, s[6:7]
	s_cbranch_execnz .LBB1_5500
; %bb.13683:
	s_getpc_b64 s[14:15]
.Lpost_getpc2745:
	s_add_u32 s14, s14, (.LBB1_1402-.Lpost_getpc2745)&4294967295
	s_addc_u32 s15, s15, (.LBB1_1402-.Lpost_getpc2745)>>32
	s_setpc_b64 s[14:15]
.LBB1_5500:
	v_mov_b32_e32 v12, 0
	v_cmp_ne_u16_sdwa s[8:9], v19, v12 src0_sel:BYTE_3 src1_sel:DWORD
	s_andn2_b64 s[4:5], s[4:5], exec
	s_and_b64 s[8:9], s[8:9], exec
	s_or_b64 s[4:5], s[4:5], s[8:9]
	s_or_b64 exec, exec, s[6:7]
	s_and_saveexec_b64 s[6:7], s[4:5]
	s_cbranch_execz .LBB1_8893
; %bb.13685:
	s_getpc_b64 s[14:15]
.Lpost_getpc2746:
	s_add_u32 s14, s14, (.LBB1_1403-.Lpost_getpc2746)&4294967295
	s_addc_u32 s15, s15, (.LBB1_1403-.Lpost_getpc2746)>>32
	s_setpc_b64 s[14:15]
.LBB1_8893:
	s_getpc_b64 s[14:15]
.Lpost_getpc350:
	s_add_u32 s14, s14, (.LBB1_1404-.Lpost_getpc350)&4294967295
	s_addc_u32 s15, s15, (.LBB1_1404-.Lpost_getpc350)>>32
	s_setpc_b64 s[14:15]
.LBB1_5501:
	s_movk_i32 s4, 0x80
	v_cmp_eq_u16_sdwa s[12:13], v15, s4 src0_sel:BYTE_3 src1_sel:DWORD
	s_mov_b64 s[4:5], -1
                                        ; implicit-def: $sgpr10
	s_and_saveexec_b64 s[8:9], s[12:13]
; %bb.5502:
	s_mov_b32 s10, 0x7f800001
	s_xor_b64 s[4:5], exec, -1
; %bb.5503:
	s_or_b64 exec, exec, s[8:9]
	s_and_b64 s[4:5], s[4:5], exec
	s_or_saveexec_b64 s[6:7], s[6:7]
	v_mov_b32_e32 v13, s10
	s_xor_b64 exec, exec, s[6:7]
	s_cbranch_execnz .LBB1_5504
; %bb.13687:
	s_getpc_b64 s[14:15]
.Lpost_getpc2747:
	s_add_u32 s14, s14, (.LBB1_1406-.Lpost_getpc2747)&4294967295
	s_addc_u32 s15, s15, (.LBB1_1406-.Lpost_getpc2747)>>32
	s_setpc_b64 s[14:15]
.LBB1_5504:
	v_mov_b32_e32 v13, 0
	v_cmp_ne_u16_sdwa s[8:9], v15, v13 src0_sel:BYTE_3 src1_sel:DWORD
	s_andn2_b64 s[4:5], s[4:5], exec
	s_and_b64 s[8:9], s[8:9], exec
	s_or_b64 s[4:5], s[4:5], s[8:9]
	s_or_b64 exec, exec, s[6:7]
	s_and_saveexec_b64 s[6:7], s[4:5]
	s_cbranch_execz .LBB1_8895
; %bb.13689:
	s_getpc_b64 s[14:15]
.Lpost_getpc2748:
	s_add_u32 s14, s14, (.LBB1_1407-.Lpost_getpc2748)&4294967295
	s_addc_u32 s15, s15, (.LBB1_1407-.Lpost_getpc2748)>>32
	s_setpc_b64 s[14:15]
.LBB1_8895:
	s_getpc_b64 s[14:15]
.Lpost_getpc351:
	s_add_u32 s14, s14, (.LBB1_1408-.Lpost_getpc351)&4294967295
	s_addc_u32 s15, s15, (.LBB1_1408-.Lpost_getpc351)>>32
	s_setpc_b64 s[14:15]
.LBB1_5505:
	s_movk_i32 s4, 0x80
	v_cmp_eq_u16_sdwa s[12:13], v16, s4 src0_sel:BYTE_0 src1_sel:DWORD
	s_mov_b64 s[4:5], -1
                                        ; implicit-def: $sgpr10
	s_and_saveexec_b64 s[8:9], s[12:13]
; %bb.5506:
	s_mov_b32 s10, 0x7f800001
	s_xor_b64 s[4:5], exec, -1
; %bb.5507:
	s_or_b64 exec, exec, s[8:9]
	s_and_b64 s[4:5], s[4:5], exec
	s_or_saveexec_b64 s[6:7], s[6:7]
	v_mov_b32_e32 v21, s10
	s_xor_b64 exec, exec, s[6:7]
	s_cbranch_execnz .LBB1_5508
; %bb.13691:
	s_getpc_b64 s[14:15]
.Lpost_getpc2749:
	s_add_u32 s14, s14, (.LBB1_1410-.Lpost_getpc2749)&4294967295
	s_addc_u32 s15, s15, (.LBB1_1410-.Lpost_getpc2749)>>32
	s_setpc_b64 s[14:15]
.LBB1_5508:
	v_mov_b32_e32 v21, 0
	v_cmp_ne_u16_sdwa s[8:9], v16, v21 src0_sel:BYTE_0 src1_sel:DWORD
	s_andn2_b64 s[4:5], s[4:5], exec
	s_and_b64 s[8:9], s[8:9], exec
	s_or_b64 s[4:5], s[4:5], s[8:9]
	s_or_b64 exec, exec, s[6:7]
	s_and_saveexec_b64 s[6:7], s[4:5]
	s_cbranch_execz .LBB1_8897
; %bb.13693:
	s_getpc_b64 s[14:15]
.Lpost_getpc2750:
	s_add_u32 s14, s14, (.LBB1_1411-.Lpost_getpc2750)&4294967295
	s_addc_u32 s15, s15, (.LBB1_1411-.Lpost_getpc2750)>>32
	s_setpc_b64 s[14:15]
.LBB1_8897:
	s_getpc_b64 s[14:15]
.Lpost_getpc352:
	s_add_u32 s14, s14, (.LBB1_1412-.Lpost_getpc352)&4294967295
	s_addc_u32 s15, s15, (.LBB1_1412-.Lpost_getpc352)>>32
	s_setpc_b64 s[14:15]
.LBB1_5509:
	s_movk_i32 s4, 0x80
	v_cmp_eq_u16_sdwa s[12:13], v12, s4 src0_sel:BYTE_0 src1_sel:DWORD
	s_mov_b64 s[4:5], -1
                                        ; implicit-def: $sgpr10
	s_and_saveexec_b64 s[8:9], s[12:13]
; %bb.5510:
	s_mov_b32 s10, 0x7f800001
	s_xor_b64 s[4:5], exec, -1
; %bb.5511:
	s_or_b64 exec, exec, s[8:9]
	s_and_b64 s[4:5], s[4:5], exec
	s_or_saveexec_b64 s[6:7], s[6:7]
	v_mov_b32_e32 v22, s10
	s_xor_b64 exec, exec, s[6:7]
	s_cbranch_execnz .LBB1_5512
; %bb.13695:
	s_getpc_b64 s[14:15]
.Lpost_getpc2751:
	s_add_u32 s14, s14, (.LBB1_1414-.Lpost_getpc2751)&4294967295
	s_addc_u32 s15, s15, (.LBB1_1414-.Lpost_getpc2751)>>32
	s_setpc_b64 s[14:15]
.LBB1_5512:
	v_mov_b32_e32 v22, 0
	v_cmp_ne_u16_sdwa s[8:9], v12, v22 src0_sel:BYTE_0 src1_sel:DWORD
	s_andn2_b64 s[4:5], s[4:5], exec
	s_and_b64 s[8:9], s[8:9], exec
	s_or_b64 s[4:5], s[4:5], s[8:9]
	s_or_b64 exec, exec, s[6:7]
	s_and_saveexec_b64 s[6:7], s[4:5]
	s_cbranch_execz .LBB1_8899
; %bb.13697:
	s_getpc_b64 s[14:15]
.Lpost_getpc2752:
	s_add_u32 s14, s14, (.LBB1_1415-.Lpost_getpc2752)&4294967295
	s_addc_u32 s15, s15, (.LBB1_1415-.Lpost_getpc2752)>>32
	s_setpc_b64 s[14:15]
.LBB1_8899:
	s_getpc_b64 s[14:15]
.Lpost_getpc353:
	s_add_u32 s14, s14, (.LBB1_1416-.Lpost_getpc353)&4294967295
	s_addc_u32 s15, s15, (.LBB1_1416-.Lpost_getpc353)>>32
	s_setpc_b64 s[14:15]
.LBB1_5513:
	s_movk_i32 s4, 0x80
	v_cmp_eq_u16_sdwa s[12:13], v22, s4 src0_sel:BYTE_0 src1_sel:DWORD
	s_mov_b64 s[4:5], -1
                                        ; implicit-def: $sgpr10
	s_and_saveexec_b64 s[8:9], s[12:13]
; %bb.5514:
	s_mov_b32 s10, 0x7f800001
	s_xor_b64 s[4:5], exec, -1
; %bb.5515:
	s_or_b64 exec, exec, s[8:9]
	s_and_b64 s[4:5], s[4:5], exec
	s_or_saveexec_b64 s[6:7], s[6:7]
	v_mov_b32_e32 v21, s10
	s_xor_b64 exec, exec, s[6:7]
	s_cbranch_execnz .LBB1_5516
; %bb.13699:
	s_getpc_b64 s[14:15]
.Lpost_getpc2753:
	s_add_u32 s14, s14, (.LBB1_1418-.Lpost_getpc2753)&4294967295
	s_addc_u32 s15, s15, (.LBB1_1418-.Lpost_getpc2753)>>32
	s_setpc_b64 s[14:15]
.LBB1_5516:
	v_mov_b32_e32 v21, 0
	v_cmp_ne_u16_sdwa s[8:9], v22, v21 src0_sel:BYTE_0 src1_sel:DWORD
	s_andn2_b64 s[4:5], s[4:5], exec
	s_and_b64 s[8:9], s[8:9], exec
	s_or_b64 s[4:5], s[4:5], s[8:9]
	s_or_b64 exec, exec, s[6:7]
	s_and_saveexec_b64 s[6:7], s[4:5]
	s_cbranch_execz .LBB1_8901
; %bb.13701:
	s_getpc_b64 s[14:15]
.Lpost_getpc2754:
	s_add_u32 s14, s14, (.LBB1_1419-.Lpost_getpc2754)&4294967295
	s_addc_u32 s15, s15, (.LBB1_1419-.Lpost_getpc2754)>>32
	s_setpc_b64 s[14:15]
.LBB1_8901:
	s_getpc_b64 s[14:15]
.Lpost_getpc354:
	s_add_u32 s14, s14, (.LBB1_1420-.Lpost_getpc354)&4294967295
	s_addc_u32 s15, s15, (.LBB1_1420-.Lpost_getpc354)>>32
	s_setpc_b64 s[14:15]
.LBB1_5517:
	s_movk_i32 s4, 0x80
	v_cmp_eq_u16_sdwa s[12:13], v22, s4 src0_sel:BYTE_0 src1_sel:DWORD
	s_mov_b64 s[4:5], -1
                                        ; implicit-def: $sgpr10
	s_and_saveexec_b64 s[8:9], s[12:13]
; %bb.5518:
	s_mov_b32 s10, 0x7f800001
	s_xor_b64 s[4:5], exec, -1
; %bb.5519:
	s_or_b64 exec, exec, s[8:9]
	s_and_b64 s[4:5], s[4:5], exec
	s_or_saveexec_b64 s[6:7], s[6:7]
	v_mov_b32_e32 v23, s10
	s_xor_b64 exec, exec, s[6:7]
	s_cbranch_execnz .LBB1_5520
; %bb.13703:
	s_getpc_b64 s[14:15]
.Lpost_getpc2755:
	s_add_u32 s14, s14, (.LBB1_1422-.Lpost_getpc2755)&4294967295
	s_addc_u32 s15, s15, (.LBB1_1422-.Lpost_getpc2755)>>32
	s_setpc_b64 s[14:15]
.LBB1_5520:
	v_mov_b32_e32 v23, 0
	v_cmp_ne_u16_sdwa s[8:9], v22, v23 src0_sel:BYTE_0 src1_sel:DWORD
	s_andn2_b64 s[4:5], s[4:5], exec
	s_and_b64 s[8:9], s[8:9], exec
	s_or_b64 s[4:5], s[4:5], s[8:9]
	s_or_b64 exec, exec, s[6:7]
	s_and_saveexec_b64 s[6:7], s[4:5]
	s_cbranch_execz .LBB1_8903
; %bb.13705:
	s_getpc_b64 s[14:15]
.Lpost_getpc2756:
	s_add_u32 s14, s14, (.LBB1_1423-.Lpost_getpc2756)&4294967295
	s_addc_u32 s15, s15, (.LBB1_1423-.Lpost_getpc2756)>>32
	s_setpc_b64 s[14:15]
.LBB1_8903:
	s_getpc_b64 s[14:15]
.Lpost_getpc355:
	s_add_u32 s14, s14, (.LBB1_1424-.Lpost_getpc355)&4294967295
	s_addc_u32 s15, s15, (.LBB1_1424-.Lpost_getpc355)>>32
	s_setpc_b64 s[14:15]
.LBB1_5521:
	s_movk_i32 s4, 0x80
	v_cmp_eq_u16_e32 vcc, s4, v22
	s_mov_b64 s[4:5], -1
                                        ; implicit-def: $sgpr10
	s_and_saveexec_b64 s[8:9], vcc
; %bb.5522:
	s_mov_b32 s10, 0x7f800001
	s_xor_b64 s[4:5], exec, -1
; %bb.5523:
	s_or_b64 exec, exec, s[8:9]
	s_and_b64 s[4:5], s[4:5], exec
                                        ; implicit-def: $vgpr22
	s_or_saveexec_b64 s[6:7], s[6:7]
	v_mov_b32_e32 v21, s10
	s_xor_b64 exec, exec, s[6:7]
	s_cbranch_execnz .LBB1_5524
; %bb.13707:
	s_getpc_b64 s[14:15]
.Lpost_getpc2757:
	s_add_u32 s14, s14, (.LBB1_1426-.Lpost_getpc2757)&4294967295
	s_addc_u32 s15, s15, (.LBB1_1426-.Lpost_getpc2757)>>32
	s_setpc_b64 s[14:15]
.LBB1_5524:
	v_cmp_ne_u16_e32 vcc, 0, v22
	s_andn2_b64 s[4:5], s[4:5], exec
	s_and_b64 s[8:9], vcc, exec
	v_mov_b32_e32 v21, 0
	s_or_b64 s[4:5], s[4:5], s[8:9]
	s_or_b64 exec, exec, s[6:7]
	s_and_saveexec_b64 s[6:7], s[4:5]
	s_cbranch_execz .LBB1_8905
; %bb.13709:
	s_getpc_b64 s[14:15]
.Lpost_getpc2758:
	s_add_u32 s14, s14, (.LBB1_1427-.Lpost_getpc2758)&4294967295
	s_addc_u32 s15, s15, (.LBB1_1427-.Lpost_getpc2758)>>32
	s_setpc_b64 s[14:15]
.LBB1_8905:
	s_getpc_b64 s[14:15]
.Lpost_getpc356:
	s_add_u32 s14, s14, (.LBB1_1428-.Lpost_getpc356)&4294967295
	s_addc_u32 s15, s15, (.LBB1_1428-.Lpost_getpc356)>>32
	s_setpc_b64 s[14:15]
.LBB1_5525:
	s_movk_i32 s4, 0x80
	v_cmp_eq_u16_e32 vcc, s4, v22
	s_mov_b64 s[4:5], -1
                                        ; implicit-def: $sgpr10
	s_and_saveexec_b64 s[8:9], vcc
; %bb.5526:
	s_mov_b32 s10, 0x7f800001
	s_xor_b64 s[4:5], exec, -1
; %bb.5527:
	s_or_b64 exec, exec, s[8:9]
	s_and_b64 s[4:5], s[4:5], exec
                                        ; implicit-def: $vgpr22
	s_or_saveexec_b64 s[6:7], s[6:7]
	v_mov_b32_e32 v23, s10
	s_xor_b64 exec, exec, s[6:7]
	s_cbranch_execnz .LBB1_5528
; %bb.13711:
	s_getpc_b64 s[14:15]
.Lpost_getpc2759:
	s_add_u32 s14, s14, (.LBB1_1430-.Lpost_getpc2759)&4294967295
	s_addc_u32 s15, s15, (.LBB1_1430-.Lpost_getpc2759)>>32
	s_setpc_b64 s[14:15]
.LBB1_5528:
	v_cmp_ne_u16_e32 vcc, 0, v22
	s_andn2_b64 s[4:5], s[4:5], exec
	s_and_b64 s[8:9], vcc, exec
	v_mov_b32_e32 v23, 0
	s_or_b64 s[4:5], s[4:5], s[8:9]
	s_or_b64 exec, exec, s[6:7]
	s_and_saveexec_b64 s[6:7], s[4:5]
	s_cbranch_execz .LBB1_8907
; %bb.13713:
	s_getpc_b64 s[14:15]
.Lpost_getpc2760:
	s_add_u32 s14, s14, (.LBB1_1431-.Lpost_getpc2760)&4294967295
	s_addc_u32 s15, s15, (.LBB1_1431-.Lpost_getpc2760)>>32
	s_setpc_b64 s[14:15]
.LBB1_8907:
	s_getpc_b64 s[14:15]
.Lpost_getpc357:
	s_add_u32 s14, s14, (.LBB1_1432-.Lpost_getpc357)&4294967295
	s_addc_u32 s15, s15, (.LBB1_1432-.Lpost_getpc357)>>32
	s_setpc_b64 s[14:15]
.LBB1_5529:
	s_movk_i32 s4, 0x80
	v_cmp_eq_u16_sdwa s[12:13], v16, s4 src0_sel:BYTE_3 src1_sel:DWORD
	s_mov_b64 s[4:5], -1
                                        ; implicit-def: $sgpr10
	s_and_saveexec_b64 s[8:9], s[12:13]
; %bb.5530:
	s_mov_b32 s10, 0x7f800001
	s_xor_b64 s[4:5], exec, -1
; %bb.5531:
	s_or_b64 exec, exec, s[8:9]
	s_and_b64 s[4:5], s[4:5], exec
	s_or_saveexec_b64 s[6:7], s[6:7]
	v_mov_b32_e32 v21, s10
	s_xor_b64 exec, exec, s[6:7]
	s_cbranch_execnz .LBB1_5532
; %bb.13715:
	s_getpc_b64 s[14:15]
.Lpost_getpc2761:
	s_add_u32 s14, s14, (.LBB1_1434-.Lpost_getpc2761)&4294967295
	s_addc_u32 s15, s15, (.LBB1_1434-.Lpost_getpc2761)>>32
	s_setpc_b64 s[14:15]
.LBB1_5532:
	v_mov_b32_e32 v21, 0
	v_cmp_ne_u16_sdwa s[8:9], v16, v21 src0_sel:BYTE_3 src1_sel:DWORD
	s_andn2_b64 s[4:5], s[4:5], exec
	s_and_b64 s[8:9], s[8:9], exec
	s_or_b64 s[4:5], s[4:5], s[8:9]
	s_or_b64 exec, exec, s[6:7]
	s_and_saveexec_b64 s[6:7], s[4:5]
	s_cbranch_execz .LBB1_8909
; %bb.13717:
	s_getpc_b64 s[14:15]
.Lpost_getpc2762:
	s_add_u32 s14, s14, (.LBB1_1435-.Lpost_getpc2762)&4294967295
	s_addc_u32 s15, s15, (.LBB1_1435-.Lpost_getpc2762)>>32
	s_setpc_b64 s[14:15]
.LBB1_8909:
	s_getpc_b64 s[14:15]
.Lpost_getpc358:
	s_add_u32 s14, s14, (.LBB1_1436-.Lpost_getpc358)&4294967295
	s_addc_u32 s15, s15, (.LBB1_1436-.Lpost_getpc358)>>32
	s_setpc_b64 s[14:15]
.LBB1_5533:
	s_movk_i32 s4, 0x80
	v_cmp_eq_u16_sdwa s[12:13], v12, s4 src0_sel:BYTE_3 src1_sel:DWORD
	s_mov_b64 s[4:5], -1
                                        ; implicit-def: $sgpr10
	s_and_saveexec_b64 s[8:9], s[12:13]
; %bb.5534:
	s_mov_b32 s10, 0x7f800001
	s_xor_b64 s[4:5], exec, -1
; %bb.5535:
	s_or_b64 exec, exec, s[8:9]
	s_and_b64 s[4:5], s[4:5], exec
	s_or_saveexec_b64 s[6:7], s[6:7]
	v_mov_b32_e32 v16, s10
	s_xor_b64 exec, exec, s[6:7]
	s_cbranch_execnz .LBB1_5536
; %bb.13719:
	s_getpc_b64 s[14:15]
.Lpost_getpc2763:
	s_add_u32 s14, s14, (.LBB1_1438-.Lpost_getpc2763)&4294967295
	s_addc_u32 s15, s15, (.LBB1_1438-.Lpost_getpc2763)>>32
	s_setpc_b64 s[14:15]
.LBB1_5536:
	v_mov_b32_e32 v16, 0
	v_cmp_ne_u16_sdwa s[8:9], v12, v16 src0_sel:BYTE_3 src1_sel:DWORD
	s_andn2_b64 s[4:5], s[4:5], exec
	s_and_b64 s[8:9], s[8:9], exec
	s_or_b64 s[4:5], s[4:5], s[8:9]
	s_or_b64 exec, exec, s[6:7]
	s_and_saveexec_b64 s[6:7], s[4:5]
	s_cbranch_execz .LBB1_8911
; %bb.13721:
	s_getpc_b64 s[14:15]
.Lpost_getpc2764:
	s_add_u32 s14, s14, (.LBB1_1439-.Lpost_getpc2764)&4294967295
	s_addc_u32 s15, s15, (.LBB1_1439-.Lpost_getpc2764)>>32
	s_setpc_b64 s[14:15]
.LBB1_8911:
	s_getpc_b64 s[14:15]
.Lpost_getpc359:
	s_add_u32 s14, s14, (.LBB1_1440-.Lpost_getpc359)&4294967295
	s_addc_u32 s15, s15, (.LBB1_1440-.Lpost_getpc359)>>32
	s_setpc_b64 s[14:15]
.LBB1_5537:
	s_movk_i32 s4, 0x80
	v_cmp_eq_u16_sdwa s[12:13], v17, s4 src0_sel:BYTE_0 src1_sel:DWORD
	s_mov_b64 s[4:5], -1
                                        ; implicit-def: $sgpr10
	s_and_saveexec_b64 s[8:9], s[12:13]
; %bb.5538:
	s_mov_b32 s10, 0x7f800001
	s_xor_b64 s[4:5], exec, -1
; %bb.5539:
	s_or_b64 exec, exec, s[8:9]
	s_and_b64 s[4:5], s[4:5], exec
	s_or_saveexec_b64 s[6:7], s[6:7]
	v_mov_b32_e32 v12, s10
	s_xor_b64 exec, exec, s[6:7]
	s_cbranch_execnz .LBB1_5540
; %bb.13723:
	s_getpc_b64 s[14:15]
.Lpost_getpc2765:
	s_add_u32 s14, s14, (.LBB1_1442-.Lpost_getpc2765)&4294967295
	s_addc_u32 s15, s15, (.LBB1_1442-.Lpost_getpc2765)>>32
	s_setpc_b64 s[14:15]
.LBB1_5540:
	v_mov_b32_e32 v12, 0
	v_cmp_ne_u16_sdwa s[8:9], v17, v12 src0_sel:BYTE_0 src1_sel:DWORD
	s_andn2_b64 s[4:5], s[4:5], exec
	s_and_b64 s[8:9], s[8:9], exec
	s_or_b64 s[4:5], s[4:5], s[8:9]
	s_or_b64 exec, exec, s[6:7]
	s_and_saveexec_b64 s[6:7], s[4:5]
	s_cbranch_execz .LBB1_8913
; %bb.13725:
	s_getpc_b64 s[14:15]
.Lpost_getpc2766:
	s_add_u32 s14, s14, (.LBB1_1443-.Lpost_getpc2766)&4294967295
	s_addc_u32 s15, s15, (.LBB1_1443-.Lpost_getpc2766)>>32
	s_setpc_b64 s[14:15]
.LBB1_8913:
	s_getpc_b64 s[14:15]
.Lpost_getpc360:
	s_add_u32 s14, s14, (.LBB1_1444-.Lpost_getpc360)&4294967295
	s_addc_u32 s15, s15, (.LBB1_1444-.Lpost_getpc360)>>32
	s_setpc_b64 s[14:15]
.LBB1_5541:
	s_movk_i32 s4, 0x80
	v_cmp_eq_u16_sdwa s[12:13], v13, s4 src0_sel:BYTE_0 src1_sel:DWORD
	s_mov_b64 s[4:5], -1
                                        ; implicit-def: $sgpr10
	s_and_saveexec_b64 s[8:9], s[12:13]
; %bb.5542:
	s_mov_b32 s10, 0x7f800001
	s_xor_b64 s[4:5], exec, -1
; %bb.5543:
	s_or_b64 exec, exec, s[8:9]
	s_and_b64 s[4:5], s[4:5], exec
	s_or_saveexec_b64 s[6:7], s[6:7]
	v_mov_b32_e32 v16, s10
	s_xor_b64 exec, exec, s[6:7]
	s_cbranch_execnz .LBB1_5544
; %bb.13727:
	s_getpc_b64 s[14:15]
.Lpost_getpc2767:
	s_add_u32 s14, s14, (.LBB1_1446-.Lpost_getpc2767)&4294967295
	s_addc_u32 s15, s15, (.LBB1_1446-.Lpost_getpc2767)>>32
	s_setpc_b64 s[14:15]
.LBB1_5544:
	v_mov_b32_e32 v16, 0
	v_cmp_ne_u16_sdwa s[8:9], v13, v16 src0_sel:BYTE_0 src1_sel:DWORD
	s_andn2_b64 s[4:5], s[4:5], exec
	s_and_b64 s[8:9], s[8:9], exec
	s_or_b64 s[4:5], s[4:5], s[8:9]
	s_or_b64 exec, exec, s[6:7]
	s_and_saveexec_b64 s[6:7], s[4:5]
	s_cbranch_execz .LBB1_8915
; %bb.13729:
	s_getpc_b64 s[14:15]
.Lpost_getpc2768:
	s_add_u32 s14, s14, (.LBB1_1447-.Lpost_getpc2768)&4294967295
	s_addc_u32 s15, s15, (.LBB1_1447-.Lpost_getpc2768)>>32
	s_setpc_b64 s[14:15]
.LBB1_8915:
	s_getpc_b64 s[14:15]
.Lpost_getpc361:
	s_add_u32 s14, s14, (.LBB1_1448-.Lpost_getpc361)&4294967295
	s_addc_u32 s15, s15, (.LBB1_1448-.Lpost_getpc361)>>32
	s_setpc_b64 s[14:15]
.LBB1_5545:
	s_movk_i32 s4, 0x80
	v_cmp_eq_u16_sdwa s[12:13], v16, s4 src0_sel:BYTE_0 src1_sel:DWORD
	s_mov_b64 s[4:5], -1
                                        ; implicit-def: $sgpr10
	s_and_saveexec_b64 s[8:9], s[12:13]
; %bb.5546:
	s_mov_b32 s10, 0x7f800001
	s_xor_b64 s[4:5], exec, -1
; %bb.5547:
	s_or_b64 exec, exec, s[8:9]
	s_and_b64 s[4:5], s[4:5], exec
	s_or_saveexec_b64 s[6:7], s[6:7]
	v_mov_b32_e32 v12, s10
	s_xor_b64 exec, exec, s[6:7]
	s_cbranch_execnz .LBB1_5548
; %bb.13731:
	s_getpc_b64 s[14:15]
.Lpost_getpc2769:
	s_add_u32 s14, s14, (.LBB1_1450-.Lpost_getpc2769)&4294967295
	s_addc_u32 s15, s15, (.LBB1_1450-.Lpost_getpc2769)>>32
	s_setpc_b64 s[14:15]
.LBB1_5548:
	v_mov_b32_e32 v12, 0
	v_cmp_ne_u16_sdwa s[8:9], v16, v12 src0_sel:BYTE_0 src1_sel:DWORD
	s_andn2_b64 s[4:5], s[4:5], exec
	s_and_b64 s[8:9], s[8:9], exec
	s_or_b64 s[4:5], s[4:5], s[8:9]
	s_or_b64 exec, exec, s[6:7]
	s_and_saveexec_b64 s[6:7], s[4:5]
	s_cbranch_execz .LBB1_8917
; %bb.13733:
	s_getpc_b64 s[14:15]
.Lpost_getpc2770:
	s_add_u32 s14, s14, (.LBB1_1451-.Lpost_getpc2770)&4294967295
	s_addc_u32 s15, s15, (.LBB1_1451-.Lpost_getpc2770)>>32
	s_setpc_b64 s[14:15]
.LBB1_8917:
	s_getpc_b64 s[14:15]
.Lpost_getpc362:
	s_add_u32 s14, s14, (.LBB1_1452-.Lpost_getpc362)&4294967295
	s_addc_u32 s15, s15, (.LBB1_1452-.Lpost_getpc362)>>32
	s_setpc_b64 s[14:15]
.LBB1_5549:
	s_movk_i32 s4, 0x80
	v_cmp_eq_u16_sdwa s[12:13], v16, s4 src0_sel:BYTE_0 src1_sel:DWORD
	s_mov_b64 s[4:5], -1
                                        ; implicit-def: $sgpr10
	s_and_saveexec_b64 s[8:9], s[12:13]
; %bb.5550:
	s_mov_b32 s10, 0x7f800001
	s_xor_b64 s[4:5], exec, -1
; %bb.5551:
	s_or_b64 exec, exec, s[8:9]
	s_and_b64 s[4:5], s[4:5], exec
	s_or_saveexec_b64 s[6:7], s[6:7]
	v_mov_b32_e32 v21, s10
	s_xor_b64 exec, exec, s[6:7]
	s_cbranch_execnz .LBB1_5552
; %bb.13735:
	s_getpc_b64 s[14:15]
.Lpost_getpc2771:
	s_add_u32 s14, s14, (.LBB1_1454-.Lpost_getpc2771)&4294967295
	s_addc_u32 s15, s15, (.LBB1_1454-.Lpost_getpc2771)>>32
	s_setpc_b64 s[14:15]
.LBB1_5552:
	v_mov_b32_e32 v21, 0
	v_cmp_ne_u16_sdwa s[8:9], v16, v21 src0_sel:BYTE_0 src1_sel:DWORD
	s_andn2_b64 s[4:5], s[4:5], exec
	s_and_b64 s[8:9], s[8:9], exec
	s_or_b64 s[4:5], s[4:5], s[8:9]
	s_or_b64 exec, exec, s[6:7]
	s_and_saveexec_b64 s[6:7], s[4:5]
	s_cbranch_execz .LBB1_8919
; %bb.13737:
	s_getpc_b64 s[14:15]
.Lpost_getpc2772:
	s_add_u32 s14, s14, (.LBB1_1455-.Lpost_getpc2772)&4294967295
	s_addc_u32 s15, s15, (.LBB1_1455-.Lpost_getpc2772)>>32
	s_setpc_b64 s[14:15]
.LBB1_8919:
	s_getpc_b64 s[14:15]
.Lpost_getpc363:
	s_add_u32 s14, s14, (.LBB1_1456-.Lpost_getpc363)&4294967295
	s_addc_u32 s15, s15, (.LBB1_1456-.Lpost_getpc363)>>32
	s_setpc_b64 s[14:15]
.LBB1_5553:
	s_movk_i32 s4, 0x80
	v_cmp_eq_u16_e32 vcc, s4, v16
	s_mov_b64 s[4:5], -1
                                        ; implicit-def: $sgpr10
	s_and_saveexec_b64 s[8:9], vcc
; %bb.5554:
	s_mov_b32 s10, 0x7f800001
	s_xor_b64 s[4:5], exec, -1
; %bb.5555:
	s_or_b64 exec, exec, s[8:9]
	s_and_b64 s[4:5], s[4:5], exec
                                        ; implicit-def: $vgpr16
	s_or_saveexec_b64 s[6:7], s[6:7]
	v_mov_b32_e32 v12, s10
	s_xor_b64 exec, exec, s[6:7]
	s_cbranch_execnz .LBB1_5556
; %bb.13739:
	s_getpc_b64 s[14:15]
.Lpost_getpc2773:
	s_add_u32 s14, s14, (.LBB1_1458-.Lpost_getpc2773)&4294967295
	s_addc_u32 s15, s15, (.LBB1_1458-.Lpost_getpc2773)>>32
	s_setpc_b64 s[14:15]
.LBB1_5556:
	v_cmp_ne_u16_e32 vcc, 0, v16
	s_andn2_b64 s[4:5], s[4:5], exec
	s_and_b64 s[8:9], vcc, exec
	v_mov_b32_e32 v12, 0
	s_or_b64 s[4:5], s[4:5], s[8:9]
	s_or_b64 exec, exec, s[6:7]
	s_and_saveexec_b64 s[6:7], s[4:5]
	s_cbranch_execz .LBB1_8921
; %bb.13741:
	s_getpc_b64 s[14:15]
.Lpost_getpc2774:
	s_add_u32 s14, s14, (.LBB1_1459-.Lpost_getpc2774)&4294967295
	s_addc_u32 s15, s15, (.LBB1_1459-.Lpost_getpc2774)>>32
	s_setpc_b64 s[14:15]
.LBB1_8921:
	s_getpc_b64 s[14:15]
.Lpost_getpc364:
	s_add_u32 s14, s14, (.LBB1_1460-.Lpost_getpc364)&4294967295
	s_addc_u32 s15, s15, (.LBB1_1460-.Lpost_getpc364)>>32
	s_setpc_b64 s[14:15]
.LBB1_5557:
	s_movk_i32 s4, 0x80
	v_cmp_eq_u16_e32 vcc, s4, v16
	s_mov_b64 s[4:5], -1
                                        ; implicit-def: $sgpr10
	s_and_saveexec_b64 s[8:9], vcc
; %bb.5558:
	s_mov_b32 s10, 0x7f800001
	s_xor_b64 s[4:5], exec, -1
; %bb.5559:
	s_or_b64 exec, exec, s[8:9]
	s_and_b64 s[4:5], s[4:5], exec
                                        ; implicit-def: $vgpr16
	s_or_saveexec_b64 s[6:7], s[6:7]
	v_mov_b32_e32 v21, s10
	s_xor_b64 exec, exec, s[6:7]
	s_cbranch_execnz .LBB1_5560
; %bb.13743:
	s_getpc_b64 s[14:15]
.Lpost_getpc2775:
	s_add_u32 s14, s14, (.LBB1_1462-.Lpost_getpc2775)&4294967295
	s_addc_u32 s15, s15, (.LBB1_1462-.Lpost_getpc2775)>>32
	s_setpc_b64 s[14:15]
.LBB1_5560:
	v_cmp_ne_u16_e32 vcc, 0, v16
	s_andn2_b64 s[4:5], s[4:5], exec
	s_and_b64 s[8:9], vcc, exec
	v_mov_b32_e32 v21, 0
	s_or_b64 s[4:5], s[4:5], s[8:9]
	s_or_b64 exec, exec, s[6:7]
	s_and_saveexec_b64 s[6:7], s[4:5]
	s_cbranch_execz .LBB1_8923
; %bb.13745:
	s_getpc_b64 s[14:15]
.Lpost_getpc2776:
	s_add_u32 s14, s14, (.LBB1_1463-.Lpost_getpc2776)&4294967295
	s_addc_u32 s15, s15, (.LBB1_1463-.Lpost_getpc2776)>>32
	s_setpc_b64 s[14:15]
.LBB1_8923:
	s_getpc_b64 s[14:15]
.Lpost_getpc365:
	s_add_u32 s14, s14, (.LBB1_1464-.Lpost_getpc365)&4294967295
	s_addc_u32 s15, s15, (.LBB1_1464-.Lpost_getpc365)>>32
	s_setpc_b64 s[14:15]
.LBB1_5561:
	s_movk_i32 s4, 0x80
	v_cmp_eq_u16_sdwa s[12:13], v17, s4 src0_sel:BYTE_3 src1_sel:DWORD
	s_mov_b64 s[4:5], -1
                                        ; implicit-def: $sgpr10
	s_and_saveexec_b64 s[8:9], s[12:13]
; %bb.5562:
	s_mov_b32 s10, 0x7f800001
	s_xor_b64 s[4:5], exec, -1
; %bb.5563:
	s_or_b64 exec, exec, s[8:9]
	s_and_b64 s[4:5], s[4:5], exec
	s_or_saveexec_b64 s[6:7], s[6:7]
	v_mov_b32_e32 v12, s10
	s_xor_b64 exec, exec, s[6:7]
	s_cbranch_execnz .LBB1_5564
; %bb.13747:
	s_getpc_b64 s[14:15]
.Lpost_getpc2777:
	s_add_u32 s14, s14, (.LBB1_1466-.Lpost_getpc2777)&4294967295
	s_addc_u32 s15, s15, (.LBB1_1466-.Lpost_getpc2777)>>32
	s_setpc_b64 s[14:15]
.LBB1_5564:
	v_mov_b32_e32 v12, 0
	v_cmp_ne_u16_sdwa s[8:9], v17, v12 src0_sel:BYTE_3 src1_sel:DWORD
	s_andn2_b64 s[4:5], s[4:5], exec
	s_and_b64 s[8:9], s[8:9], exec
	s_or_b64 s[4:5], s[4:5], s[8:9]
	s_or_b64 exec, exec, s[6:7]
	s_and_saveexec_b64 s[6:7], s[4:5]
	s_cbranch_execz .LBB1_8925
; %bb.13749:
	s_getpc_b64 s[14:15]
.Lpost_getpc2778:
	s_add_u32 s14, s14, (.LBB1_1467-.Lpost_getpc2778)&4294967295
	s_addc_u32 s15, s15, (.LBB1_1467-.Lpost_getpc2778)>>32
	s_setpc_b64 s[14:15]
.LBB1_8925:
	s_getpc_b64 s[14:15]
.Lpost_getpc366:
	s_add_u32 s14, s14, (.LBB1_1468-.Lpost_getpc366)&4294967295
	s_addc_u32 s15, s15, (.LBB1_1468-.Lpost_getpc366)>>32
	s_setpc_b64 s[14:15]
.LBB1_5565:
	s_movk_i32 s4, 0x80
	v_cmp_eq_u16_sdwa s[12:13], v13, s4 src0_sel:BYTE_3 src1_sel:DWORD
	s_mov_b64 s[4:5], -1
                                        ; implicit-def: $sgpr10
	s_and_saveexec_b64 s[8:9], s[12:13]
; %bb.5566:
	s_mov_b32 s10, 0x7f800001
	s_xor_b64 s[4:5], exec, -1
; %bb.5567:
	s_or_b64 exec, exec, s[8:9]
	s_and_b64 s[4:5], s[4:5], exec
	s_or_saveexec_b64 s[6:7], s[6:7]
	v_mov_b32_e32 v16, s10
	s_xor_b64 exec, exec, s[6:7]
	s_cbranch_execnz .LBB1_5568
; %bb.13751:
	s_getpc_b64 s[14:15]
.Lpost_getpc2779:
	s_add_u32 s14, s14, (.LBB1_1470-.Lpost_getpc2779)&4294967295
	s_addc_u32 s15, s15, (.LBB1_1470-.Lpost_getpc2779)>>32
	s_setpc_b64 s[14:15]
.LBB1_5568:
	v_mov_b32_e32 v16, 0
	v_cmp_ne_u16_sdwa s[8:9], v13, v16 src0_sel:BYTE_3 src1_sel:DWORD
	s_andn2_b64 s[4:5], s[4:5], exec
	s_and_b64 s[8:9], s[8:9], exec
	s_or_b64 s[4:5], s[4:5], s[8:9]
	s_or_b64 exec, exec, s[6:7]
	s_and_saveexec_b64 s[6:7], s[4:5]
	s_cbranch_execz .LBB1_8927
; %bb.13753:
	s_getpc_b64 s[14:15]
.Lpost_getpc2780:
	s_add_u32 s14, s14, (.LBB1_1471-.Lpost_getpc2780)&4294967295
	s_addc_u32 s15, s15, (.LBB1_1471-.Lpost_getpc2780)>>32
	s_setpc_b64 s[14:15]
.LBB1_8927:
	s_getpc_b64 s[14:15]
.Lpost_getpc367:
	s_add_u32 s14, s14, (.LBB1_1472-.Lpost_getpc367)&4294967295
	s_addc_u32 s15, s15, (.LBB1_1472-.Lpost_getpc367)>>32
	s_setpc_b64 s[14:15]
.LBB1_5569:
	s_movk_i32 s4, 0x80
	v_cmp_eq_u16_sdwa s[12:13], v18, s4 src0_sel:BYTE_0 src1_sel:DWORD
	s_mov_b64 s[4:5], -1
                                        ; implicit-def: $sgpr10
	s_and_saveexec_b64 s[8:9], s[12:13]
; %bb.5570:
	s_mov_b32 s10, 0x7f800001
	s_xor_b64 s[4:5], exec, -1
; %bb.5571:
	s_or_b64 exec, exec, s[8:9]
	s_and_b64 s[4:5], s[4:5], exec
	s_or_saveexec_b64 s[6:7], s[6:7]
	v_mov_b32_e32 v13, s10
	s_xor_b64 exec, exec, s[6:7]
	s_cbranch_execnz .LBB1_5572
; %bb.13755:
	s_getpc_b64 s[14:15]
.Lpost_getpc2781:
	s_add_u32 s14, s14, (.LBB1_1474-.Lpost_getpc2781)&4294967295
	s_addc_u32 s15, s15, (.LBB1_1474-.Lpost_getpc2781)>>32
	s_setpc_b64 s[14:15]
.LBB1_5572:
	v_mov_b32_e32 v13, 0
	v_cmp_ne_u16_sdwa s[8:9], v18, v13 src0_sel:BYTE_0 src1_sel:DWORD
	s_andn2_b64 s[4:5], s[4:5], exec
	s_and_b64 s[8:9], s[8:9], exec
	s_or_b64 s[4:5], s[4:5], s[8:9]
	s_or_b64 exec, exec, s[6:7]
	s_and_saveexec_b64 s[6:7], s[4:5]
	s_cbranch_execz .LBB1_8929
; %bb.13757:
	s_getpc_b64 s[14:15]
.Lpost_getpc2782:
	s_add_u32 s14, s14, (.LBB1_1475-.Lpost_getpc2782)&4294967295
	s_addc_u32 s15, s15, (.LBB1_1475-.Lpost_getpc2782)>>32
	s_setpc_b64 s[14:15]
.LBB1_8929:
	s_getpc_b64 s[14:15]
.Lpost_getpc368:
	s_add_u32 s14, s14, (.LBB1_1476-.Lpost_getpc368)&4294967295
	s_addc_u32 s15, s15, (.LBB1_1476-.Lpost_getpc368)>>32
	s_setpc_b64 s[14:15]
.LBB1_5573:
	s_movk_i32 s4, 0x80
	v_cmp_eq_u16_sdwa s[12:13], v16, s4 src0_sel:BYTE_0 src1_sel:DWORD
	s_mov_b64 s[4:5], -1
                                        ; implicit-def: $sgpr10
	s_and_saveexec_b64 s[8:9], s[12:13]
; %bb.5574:
	s_mov_b32 s10, 0x7f800001
	s_xor_b64 s[4:5], exec, -1
; %bb.5575:
	s_or_b64 exec, exec, s[8:9]
	s_and_b64 s[4:5], s[4:5], exec
	s_or_saveexec_b64 s[6:7], s[6:7]
	v_mov_b32_e32 v14, s10
	s_xor_b64 exec, exec, s[6:7]
	s_cbranch_execnz .LBB1_5576
; %bb.13759:
	s_getpc_b64 s[14:15]
.Lpost_getpc2783:
	s_add_u32 s14, s14, (.LBB1_1478-.Lpost_getpc2783)&4294967295
	s_addc_u32 s15, s15, (.LBB1_1478-.Lpost_getpc2783)>>32
	s_setpc_b64 s[14:15]
.LBB1_5576:
	v_mov_b32_e32 v14, 0
	v_cmp_ne_u16_sdwa s[8:9], v16, v14 src0_sel:BYTE_0 src1_sel:DWORD
	s_andn2_b64 s[4:5], s[4:5], exec
	s_and_b64 s[8:9], s[8:9], exec
	s_or_b64 s[4:5], s[4:5], s[8:9]
	s_or_b64 exec, exec, s[6:7]
	v_or_b32_sdwa v12, v16, v12 dst_sel:DWORD dst_unused:UNUSED_PAD src0_sel:WORD_0 src1_sel:DWORD
	s_and_saveexec_b64 s[6:7], s[4:5]
	s_cbranch_execz .LBB1_8931
; %bb.13761:
	s_getpc_b64 s[14:15]
.Lpost_getpc2784:
	s_add_u32 s14, s14, (.LBB1_1479-.Lpost_getpc2784)&4294967295
	s_addc_u32 s15, s15, (.LBB1_1479-.Lpost_getpc2784)>>32
	s_setpc_b64 s[14:15]
.LBB1_8931:
	s_getpc_b64 s[14:15]
.Lpost_getpc369:
	s_add_u32 s14, s14, (.LBB1_1480-.Lpost_getpc369)&4294967295
	s_addc_u32 s15, s15, (.LBB1_1480-.Lpost_getpc369)>>32
	s_setpc_b64 s[14:15]
.LBB1_5577:
	s_movk_i32 s4, 0x80
	v_cmp_eq_u16_sdwa s[12:13], v14, s4 src0_sel:BYTE_0 src1_sel:DWORD
	s_mov_b64 s[4:5], -1
                                        ; implicit-def: $sgpr10
	s_and_saveexec_b64 s[8:9], s[12:13]
; %bb.5578:
	s_mov_b32 s10, 0x7f800001
	s_xor_b64 s[4:5], exec, -1
; %bb.5579:
	s_or_b64 exec, exec, s[8:9]
	s_and_b64 s[4:5], s[4:5], exec
	s_or_saveexec_b64 s[6:7], s[6:7]
	v_mov_b32_e32 v13, s10
	s_xor_b64 exec, exec, s[6:7]
	s_cbranch_execnz .LBB1_5580
; %bb.13763:
	s_getpc_b64 s[14:15]
.Lpost_getpc2785:
	s_add_u32 s14, s14, (.LBB1_1482-.Lpost_getpc2785)&4294967295
	s_addc_u32 s15, s15, (.LBB1_1482-.Lpost_getpc2785)>>32
	s_setpc_b64 s[14:15]
.LBB1_5580:
	v_mov_b32_e32 v13, 0
	v_cmp_ne_u16_sdwa s[8:9], v14, v13 src0_sel:BYTE_0 src1_sel:DWORD
	s_andn2_b64 s[4:5], s[4:5], exec
	s_and_b64 s[8:9], s[8:9], exec
	s_or_b64 s[4:5], s[4:5], s[8:9]
	s_or_b64 exec, exec, s[6:7]
	s_and_saveexec_b64 s[6:7], s[4:5]
	s_cbranch_execz .LBB1_8933
; %bb.13765:
	s_getpc_b64 s[14:15]
.Lpost_getpc2786:
	s_add_u32 s14, s14, (.LBB1_1483-.Lpost_getpc2786)&4294967295
	s_addc_u32 s15, s15, (.LBB1_1483-.Lpost_getpc2786)>>32
	s_setpc_b64 s[14:15]
.LBB1_8933:
	s_getpc_b64 s[14:15]
.Lpost_getpc370:
	s_add_u32 s14, s14, (.LBB1_1484-.Lpost_getpc370)&4294967295
	s_addc_u32 s15, s15, (.LBB1_1484-.Lpost_getpc370)>>32
	s_setpc_b64 s[14:15]
.LBB1_5581:
	s_movk_i32 s4, 0x80
	v_cmp_eq_u16_sdwa s[12:13], v14, s4 src0_sel:BYTE_0 src1_sel:DWORD
	s_mov_b64 s[4:5], -1
                                        ; implicit-def: $sgpr10
	s_and_saveexec_b64 s[8:9], s[12:13]
; %bb.5582:
	s_mov_b32 s10, 0x7f800001
	s_xor_b64 s[4:5], exec, -1
; %bb.5583:
	s_or_b64 exec, exec, s[8:9]
	s_and_b64 s[4:5], s[4:5], exec
	s_or_saveexec_b64 s[6:7], s[6:7]
	v_mov_b32_e32 v16, s10
	s_xor_b64 exec, exec, s[6:7]
	s_cbranch_execnz .LBB1_5584
; %bb.13767:
	s_getpc_b64 s[14:15]
.Lpost_getpc2787:
	s_add_u32 s14, s14, (.LBB1_1486-.Lpost_getpc2787)&4294967295
	s_addc_u32 s15, s15, (.LBB1_1486-.Lpost_getpc2787)>>32
	s_setpc_b64 s[14:15]
.LBB1_5584:
	v_mov_b32_e32 v16, 0
	v_cmp_ne_u16_sdwa s[8:9], v14, v16 src0_sel:BYTE_0 src1_sel:DWORD
	s_andn2_b64 s[4:5], s[4:5], exec
	s_and_b64 s[8:9], s[8:9], exec
	s_or_b64 s[4:5], s[4:5], s[8:9]
	s_or_b64 exec, exec, s[6:7]
	s_and_saveexec_b64 s[6:7], s[4:5]
	s_cbranch_execz .LBB1_8935
; %bb.13769:
	s_getpc_b64 s[14:15]
.Lpost_getpc2788:
	s_add_u32 s14, s14, (.LBB1_1487-.Lpost_getpc2788)&4294967295
	s_addc_u32 s15, s15, (.LBB1_1487-.Lpost_getpc2788)>>32
	s_setpc_b64 s[14:15]
.LBB1_8935:
	s_getpc_b64 s[14:15]
.Lpost_getpc371:
	s_add_u32 s14, s14, (.LBB1_1488-.Lpost_getpc371)&4294967295
	s_addc_u32 s15, s15, (.LBB1_1488-.Lpost_getpc371)>>32
	s_setpc_b64 s[14:15]
.LBB1_5585:
	s_movk_i32 s4, 0x80
	v_cmp_eq_u16_e32 vcc, s4, v14
	s_mov_b64 s[4:5], -1
                                        ; implicit-def: $sgpr10
	s_and_saveexec_b64 s[8:9], vcc
; %bb.5586:
	s_mov_b32 s10, 0x7f800001
	s_xor_b64 s[4:5], exec, -1
; %bb.5587:
	s_or_b64 exec, exec, s[8:9]
	s_and_b64 s[4:5], s[4:5], exec
                                        ; implicit-def: $vgpr14
	s_or_saveexec_b64 s[6:7], s[6:7]
	v_mov_b32_e32 v13, s10
	s_xor_b64 exec, exec, s[6:7]
	s_cbranch_execnz .LBB1_5588
; %bb.13771:
	s_getpc_b64 s[14:15]
.Lpost_getpc2789:
	s_add_u32 s14, s14, (.LBB1_1490-.Lpost_getpc2789)&4294967295
	s_addc_u32 s15, s15, (.LBB1_1490-.Lpost_getpc2789)>>32
	s_setpc_b64 s[14:15]
.LBB1_5588:
	v_cmp_ne_u16_e32 vcc, 0, v14
	s_andn2_b64 s[4:5], s[4:5], exec
	s_and_b64 s[8:9], vcc, exec
	v_mov_b32_e32 v13, 0
	s_or_b64 s[4:5], s[4:5], s[8:9]
	s_or_b64 exec, exec, s[6:7]
	s_and_saveexec_b64 s[6:7], s[4:5]
	s_cbranch_execz .LBB1_8937
; %bb.13773:
	s_getpc_b64 s[14:15]
.Lpost_getpc2790:
	s_add_u32 s14, s14, (.LBB1_1491-.Lpost_getpc2790)&4294967295
	s_addc_u32 s15, s15, (.LBB1_1491-.Lpost_getpc2790)>>32
	s_setpc_b64 s[14:15]
.LBB1_8937:
	s_getpc_b64 s[14:15]
.Lpost_getpc372:
	s_add_u32 s14, s14, (.LBB1_1492-.Lpost_getpc372)&4294967295
	s_addc_u32 s15, s15, (.LBB1_1492-.Lpost_getpc372)>>32
	s_setpc_b64 s[14:15]
.LBB1_5589:
	s_movk_i32 s4, 0x80
	v_cmp_eq_u16_e32 vcc, s4, v14
	s_mov_b64 s[4:5], -1
                                        ; implicit-def: $sgpr10
	s_and_saveexec_b64 s[8:9], vcc
; %bb.5590:
	s_mov_b32 s10, 0x7f800001
	s_xor_b64 s[4:5], exec, -1
; %bb.5591:
	s_or_b64 exec, exec, s[8:9]
	s_and_b64 s[4:5], s[4:5], exec
                                        ; implicit-def: $vgpr14
	s_or_saveexec_b64 s[6:7], s[6:7]
	v_mov_b32_e32 v16, s10
	s_xor_b64 exec, exec, s[6:7]
	s_cbranch_execnz .LBB1_5592
; %bb.13775:
	s_getpc_b64 s[14:15]
.Lpost_getpc2791:
	s_add_u32 s14, s14, (.LBB1_1494-.Lpost_getpc2791)&4294967295
	s_addc_u32 s15, s15, (.LBB1_1494-.Lpost_getpc2791)>>32
	s_setpc_b64 s[14:15]
.LBB1_5592:
	v_cmp_ne_u16_e32 vcc, 0, v14
	s_andn2_b64 s[4:5], s[4:5], exec
	s_and_b64 s[8:9], vcc, exec
	v_mov_b32_e32 v16, 0
	s_or_b64 s[4:5], s[4:5], s[8:9]
	s_or_b64 exec, exec, s[6:7]
	s_and_saveexec_b64 s[6:7], s[4:5]
	s_cbranch_execz .LBB1_8939
; %bb.13777:
	s_getpc_b64 s[14:15]
.Lpost_getpc2792:
	s_add_u32 s14, s14, (.LBB1_1495-.Lpost_getpc2792)&4294967295
	s_addc_u32 s15, s15, (.LBB1_1495-.Lpost_getpc2792)>>32
	s_setpc_b64 s[14:15]
.LBB1_8939:
	s_getpc_b64 s[14:15]
.Lpost_getpc373:
	s_add_u32 s14, s14, (.LBB1_1496-.Lpost_getpc373)&4294967295
	s_addc_u32 s15, s15, (.LBB1_1496-.Lpost_getpc373)>>32
	s_setpc_b64 s[14:15]
.LBB1_5593:
	s_movk_i32 s4, 0x80
	v_cmp_eq_u16_sdwa s[12:13], v18, s4 src0_sel:BYTE_3 src1_sel:DWORD
	s_mov_b64 s[4:5], -1
                                        ; implicit-def: $sgpr10
	s_and_saveexec_b64 s[8:9], s[12:13]
; %bb.5594:
	s_mov_b32 s10, 0x7f800001
	s_xor_b64 s[4:5], exec, -1
; %bb.5595:
	s_or_b64 exec, exec, s[8:9]
	s_and_b64 s[4:5], s[4:5], exec
	s_or_saveexec_b64 s[6:7], s[6:7]
	v_mov_b32_e32 v13, s10
	s_xor_b64 exec, exec, s[6:7]
	s_cbranch_execnz .LBB1_5596
; %bb.13779:
	s_getpc_b64 s[14:15]
.Lpost_getpc2793:
	s_add_u32 s14, s14, (.LBB1_1498-.Lpost_getpc2793)&4294967295
	s_addc_u32 s15, s15, (.LBB1_1498-.Lpost_getpc2793)>>32
	s_setpc_b64 s[14:15]
.LBB1_5596:
	v_mov_b32_e32 v13, 0
	v_cmp_ne_u16_sdwa s[8:9], v18, v13 src0_sel:BYTE_3 src1_sel:DWORD
	s_andn2_b64 s[4:5], s[4:5], exec
	s_and_b64 s[8:9], s[8:9], exec
	s_or_b64 s[4:5], s[4:5], s[8:9]
	s_or_b64 exec, exec, s[6:7]
	s_and_saveexec_b64 s[6:7], s[4:5]
	s_cbranch_execz .LBB1_8941
; %bb.13781:
	s_getpc_b64 s[14:15]
.Lpost_getpc2794:
	s_add_u32 s14, s14, (.LBB1_1499-.Lpost_getpc2794)&4294967295
	s_addc_u32 s15, s15, (.LBB1_1499-.Lpost_getpc2794)>>32
	s_setpc_b64 s[14:15]
.LBB1_8941:
	s_getpc_b64 s[14:15]
.Lpost_getpc374:
	s_add_u32 s14, s14, (.LBB1_1500-.Lpost_getpc374)&4294967295
	s_addc_u32 s15, s15, (.LBB1_1500-.Lpost_getpc374)>>32
	s_setpc_b64 s[14:15]
.LBB1_5597:
	s_movk_i32 s4, 0x80
	v_cmp_eq_u16_sdwa s[12:13], v12, s4 src0_sel:BYTE_3 src1_sel:DWORD
	s_mov_b64 s[4:5], -1
                                        ; implicit-def: $sgpr10
	s_and_saveexec_b64 s[8:9], s[12:13]
; %bb.5598:
	s_mov_b32 s10, 0x7f800001
	s_xor_b64 s[4:5], exec, -1
; %bb.5599:
	s_or_b64 exec, exec, s[8:9]
	s_and_b64 s[4:5], s[4:5], exec
	s_or_saveexec_b64 s[6:7], s[6:7]
	v_mov_b32_e32 v14, s10
	s_xor_b64 exec, exec, s[6:7]
	s_cbranch_execnz .LBB1_5600
; %bb.13783:
	s_getpc_b64 s[14:15]
.Lpost_getpc2795:
	s_add_u32 s14, s14, (.LBB1_1502-.Lpost_getpc2795)&4294967295
	s_addc_u32 s15, s15, (.LBB1_1502-.Lpost_getpc2795)>>32
	s_setpc_b64 s[14:15]
.LBB1_5600:
	v_mov_b32_e32 v14, 0
	v_cmp_ne_u16_sdwa s[8:9], v12, v14 src0_sel:BYTE_3 src1_sel:DWORD
	s_andn2_b64 s[4:5], s[4:5], exec
	s_and_b64 s[8:9], s[8:9], exec
	s_or_b64 s[4:5], s[4:5], s[8:9]
	s_or_b64 exec, exec, s[6:7]
	s_and_saveexec_b64 s[6:7], s[4:5]
	s_cbranch_execz .LBB1_8943
; %bb.13785:
	s_getpc_b64 s[14:15]
.Lpost_getpc2796:
	s_add_u32 s14, s14, (.LBB1_1503-.Lpost_getpc2796)&4294967295
	s_addc_u32 s15, s15, (.LBB1_1503-.Lpost_getpc2796)>>32
	s_setpc_b64 s[14:15]
.LBB1_8943:
	s_getpc_b64 s[14:15]
.Lpost_getpc375:
	s_add_u32 s14, s14, (.LBB1_1504-.Lpost_getpc375)&4294967295
	s_addc_u32 s15, s15, (.LBB1_1504-.Lpost_getpc375)>>32
	s_setpc_b64 s[14:15]
.LBB1_5601:
	s_movk_i32 s4, 0x80
	v_cmp_eq_u16_sdwa s[12:13], v19, s4 src0_sel:BYTE_0 src1_sel:DWORD
	s_mov_b64 s[4:5], -1
                                        ; implicit-def: $sgpr10
	s_and_saveexec_b64 s[8:9], s[12:13]
; %bb.5602:
	s_mov_b32 s10, 0x7f800001
	s_xor_b64 s[4:5], exec, -1
; %bb.5603:
	s_or_b64 exec, exec, s[8:9]
	s_and_b64 s[4:5], s[4:5], exec
	s_or_saveexec_b64 s[6:7], s[6:7]
	v_mov_b32_e32 v12, s10
	s_xor_b64 exec, exec, s[6:7]
	s_cbranch_execnz .LBB1_5604
; %bb.13787:
	s_getpc_b64 s[14:15]
.Lpost_getpc2797:
	s_add_u32 s14, s14, (.LBB1_1506-.Lpost_getpc2797)&4294967295
	s_addc_u32 s15, s15, (.LBB1_1506-.Lpost_getpc2797)>>32
	s_setpc_b64 s[14:15]
.LBB1_5604:
	v_mov_b32_e32 v12, 0
	v_cmp_ne_u16_sdwa s[8:9], v19, v12 src0_sel:BYTE_0 src1_sel:DWORD
	s_andn2_b64 s[4:5], s[4:5], exec
	s_and_b64 s[8:9], s[8:9], exec
	s_or_b64 s[4:5], s[4:5], s[8:9]
	s_or_b64 exec, exec, s[6:7]
	s_and_saveexec_b64 s[6:7], s[4:5]
	s_cbranch_execz .LBB1_8945
; %bb.13789:
	s_getpc_b64 s[14:15]
.Lpost_getpc2798:
	s_add_u32 s14, s14, (.LBB1_1507-.Lpost_getpc2798)&4294967295
	s_addc_u32 s15, s15, (.LBB1_1507-.Lpost_getpc2798)>>32
	s_setpc_b64 s[14:15]
.LBB1_8945:
	s_getpc_b64 s[14:15]
.Lpost_getpc376:
	s_add_u32 s14, s14, (.LBB1_1508-.Lpost_getpc376)&4294967295
	s_addc_u32 s15, s15, (.LBB1_1508-.Lpost_getpc376)>>32
	s_setpc_b64 s[14:15]
.LBB1_5605:
	s_movk_i32 s4, 0x80
	v_cmp_eq_u16_sdwa s[12:13], v15, s4 src0_sel:BYTE_0 src1_sel:DWORD
	s_mov_b64 s[4:5], -1
                                        ; implicit-def: $sgpr10
	s_and_saveexec_b64 s[8:9], s[12:13]
; %bb.5606:
	s_mov_b32 s10, 0x7f800001
	s_xor_b64 s[4:5], exec, -1
; %bb.5607:
	s_or_b64 exec, exec, s[8:9]
	s_and_b64 s[4:5], s[4:5], exec
	s_or_saveexec_b64 s[6:7], s[6:7]
	v_mov_b32_e32 v13, s10
	s_xor_b64 exec, exec, s[6:7]
	s_cbranch_execnz .LBB1_5608
; %bb.13791:
	s_getpc_b64 s[14:15]
.Lpost_getpc2799:
	s_add_u32 s14, s14, (.LBB1_1510-.Lpost_getpc2799)&4294967295
	s_addc_u32 s15, s15, (.LBB1_1510-.Lpost_getpc2799)>>32
	s_setpc_b64 s[14:15]
.LBB1_5608:
	v_mov_b32_e32 v13, 0
	v_cmp_ne_u16_sdwa s[8:9], v15, v13 src0_sel:BYTE_0 src1_sel:DWORD
	s_andn2_b64 s[4:5], s[4:5], exec
	s_and_b64 s[8:9], s[8:9], exec
	s_or_b64 s[4:5], s[4:5], s[8:9]
	s_or_b64 exec, exec, s[6:7]
	s_and_saveexec_b64 s[6:7], s[4:5]
	s_cbranch_execz .LBB1_8947
; %bb.13793:
	s_getpc_b64 s[14:15]
.Lpost_getpc2800:
	s_add_u32 s14, s14, (.LBB1_1511-.Lpost_getpc2800)&4294967295
	s_addc_u32 s15, s15, (.LBB1_1511-.Lpost_getpc2800)>>32
	s_setpc_b64 s[14:15]
.LBB1_8947:
	s_getpc_b64 s[14:15]
.Lpost_getpc377:
	s_add_u32 s14, s14, (.LBB1_1512-.Lpost_getpc377)&4294967295
	s_addc_u32 s15, s15, (.LBB1_1512-.Lpost_getpc377)>>32
	s_setpc_b64 s[14:15]
.LBB1_5609:
	s_movk_i32 s4, 0x80
	v_cmp_eq_u16_sdwa s[12:13], v13, s4 src0_sel:BYTE_0 src1_sel:DWORD
	s_mov_b64 s[4:5], -1
                                        ; implicit-def: $sgpr10
	s_and_saveexec_b64 s[8:9], s[12:13]
; %bb.5610:
	s_mov_b32 s10, 0x7f800001
	s_xor_b64 s[4:5], exec, -1
; %bb.5611:
	s_or_b64 exec, exec, s[8:9]
	s_and_b64 s[4:5], s[4:5], exec
	s_or_saveexec_b64 s[6:7], s[6:7]
	v_mov_b32_e32 v12, s10
	s_xor_b64 exec, exec, s[6:7]
	s_cbranch_execnz .LBB1_5612
; %bb.13795:
	s_getpc_b64 s[14:15]
.Lpost_getpc2801:
	s_add_u32 s14, s14, (.LBB1_1514-.Lpost_getpc2801)&4294967295
	s_addc_u32 s15, s15, (.LBB1_1514-.Lpost_getpc2801)>>32
	s_setpc_b64 s[14:15]
.LBB1_5612:
	v_mov_b32_e32 v12, 0
	v_cmp_ne_u16_sdwa s[8:9], v13, v12 src0_sel:BYTE_0 src1_sel:DWORD
	s_andn2_b64 s[4:5], s[4:5], exec
	s_and_b64 s[8:9], s[8:9], exec
	s_or_b64 s[4:5], s[4:5], s[8:9]
	s_or_b64 exec, exec, s[6:7]
	s_and_saveexec_b64 s[6:7], s[4:5]
	s_cbranch_execz .LBB1_8949
; %bb.13797:
	s_getpc_b64 s[14:15]
.Lpost_getpc2802:
	s_add_u32 s14, s14, (.LBB1_1515-.Lpost_getpc2802)&4294967295
	s_addc_u32 s15, s15, (.LBB1_1515-.Lpost_getpc2802)>>32
	s_setpc_b64 s[14:15]
.LBB1_8949:
	s_getpc_b64 s[14:15]
.Lpost_getpc378:
	s_add_u32 s14, s14, (.LBB1_1516-.Lpost_getpc378)&4294967295
	s_addc_u32 s15, s15, (.LBB1_1516-.Lpost_getpc378)>>32
	s_setpc_b64 s[14:15]
.LBB1_5613:
	s_movk_i32 s4, 0x80
	v_cmp_eq_u16_sdwa s[12:13], v13, s4 src0_sel:BYTE_0 src1_sel:DWORD
	s_mov_b64 s[4:5], -1
                                        ; implicit-def: $sgpr10
	s_and_saveexec_b64 s[8:9], s[12:13]
; %bb.5614:
	s_mov_b32 s10, 0x7f800001
	s_xor_b64 s[4:5], exec, -1
; %bb.5615:
	s_or_b64 exec, exec, s[8:9]
	s_and_b64 s[4:5], s[4:5], exec
	s_or_saveexec_b64 s[6:7], s[6:7]
	v_mov_b32_e32 v14, s10
	s_xor_b64 exec, exec, s[6:7]
	s_cbranch_execnz .LBB1_5616
; %bb.13799:
	s_getpc_b64 s[14:15]
.Lpost_getpc2803:
	s_add_u32 s14, s14, (.LBB1_1518-.Lpost_getpc2803)&4294967295
	s_addc_u32 s15, s15, (.LBB1_1518-.Lpost_getpc2803)>>32
	s_setpc_b64 s[14:15]
.LBB1_5616:
	v_mov_b32_e32 v14, 0
	v_cmp_ne_u16_sdwa s[8:9], v13, v14 src0_sel:BYTE_0 src1_sel:DWORD
	s_andn2_b64 s[4:5], s[4:5], exec
	s_and_b64 s[8:9], s[8:9], exec
	s_or_b64 s[4:5], s[4:5], s[8:9]
	s_or_b64 exec, exec, s[6:7]
	s_and_saveexec_b64 s[6:7], s[4:5]
	s_cbranch_execz .LBB1_8951
; %bb.13801:
	s_getpc_b64 s[14:15]
.Lpost_getpc2804:
	s_add_u32 s14, s14, (.LBB1_1519-.Lpost_getpc2804)&4294967295
	s_addc_u32 s15, s15, (.LBB1_1519-.Lpost_getpc2804)>>32
	s_setpc_b64 s[14:15]
.LBB1_8951:
	s_getpc_b64 s[14:15]
.Lpost_getpc379:
	s_add_u32 s14, s14, (.LBB1_1520-.Lpost_getpc379)&4294967295
	s_addc_u32 s15, s15, (.LBB1_1520-.Lpost_getpc379)>>32
	s_setpc_b64 s[14:15]
.LBB1_5617:
	s_movk_i32 s4, 0x80
	v_cmp_eq_u16_e32 vcc, s4, v13
	s_mov_b64 s[4:5], -1
                                        ; implicit-def: $sgpr10
	s_and_saveexec_b64 s[8:9], vcc
; %bb.5618:
	s_mov_b32 s10, 0x7f800001
	s_xor_b64 s[4:5], exec, -1
; %bb.5619:
	s_or_b64 exec, exec, s[8:9]
	s_and_b64 s[4:5], s[4:5], exec
                                        ; implicit-def: $vgpr13
	s_or_saveexec_b64 s[6:7], s[6:7]
	v_mov_b32_e32 v12, s10
	s_xor_b64 exec, exec, s[6:7]
	s_cbranch_execnz .LBB1_5620
; %bb.13803:
	s_getpc_b64 s[14:15]
.Lpost_getpc2805:
	s_add_u32 s14, s14, (.LBB1_1522-.Lpost_getpc2805)&4294967295
	s_addc_u32 s15, s15, (.LBB1_1522-.Lpost_getpc2805)>>32
	s_setpc_b64 s[14:15]
.LBB1_5620:
	v_cmp_ne_u16_e32 vcc, 0, v13
	s_andn2_b64 s[4:5], s[4:5], exec
	s_and_b64 s[8:9], vcc, exec
	v_mov_b32_e32 v12, 0
	s_or_b64 s[4:5], s[4:5], s[8:9]
	s_or_b64 exec, exec, s[6:7]
	s_and_saveexec_b64 s[6:7], s[4:5]
	s_cbranch_execz .LBB1_8953
; %bb.13805:
	s_getpc_b64 s[14:15]
.Lpost_getpc2806:
	s_add_u32 s14, s14, (.LBB1_1523-.Lpost_getpc2806)&4294967295
	s_addc_u32 s15, s15, (.LBB1_1523-.Lpost_getpc2806)>>32
	s_setpc_b64 s[14:15]
.LBB1_8953:
	s_getpc_b64 s[14:15]
.Lpost_getpc380:
	s_add_u32 s14, s14, (.LBB1_1524-.Lpost_getpc380)&4294967295
	s_addc_u32 s15, s15, (.LBB1_1524-.Lpost_getpc380)>>32
	s_setpc_b64 s[14:15]
.LBB1_5621:
	s_movk_i32 s4, 0x80
	v_cmp_eq_u16_e32 vcc, s4, v13
	s_mov_b64 s[4:5], -1
                                        ; implicit-def: $sgpr10
	s_and_saveexec_b64 s[8:9], vcc
; %bb.5622:
	s_mov_b32 s10, 0x7f800001
	s_xor_b64 s[4:5], exec, -1
; %bb.5623:
	s_or_b64 exec, exec, s[8:9]
	s_and_b64 s[4:5], s[4:5], exec
                                        ; implicit-def: $vgpr13
	s_or_saveexec_b64 s[6:7], s[6:7]
	v_mov_b32_e32 v14, s10
	s_xor_b64 exec, exec, s[6:7]
	s_cbranch_execnz .LBB1_5624
; %bb.13807:
	s_getpc_b64 s[14:15]
.Lpost_getpc2807:
	s_add_u32 s14, s14, (.LBB1_1526-.Lpost_getpc2807)&4294967295
	s_addc_u32 s15, s15, (.LBB1_1526-.Lpost_getpc2807)>>32
	s_setpc_b64 s[14:15]
.LBB1_5624:
	v_cmp_ne_u16_e32 vcc, 0, v13
	s_andn2_b64 s[4:5], s[4:5], exec
	s_and_b64 s[8:9], vcc, exec
	v_mov_b32_e32 v14, 0
	s_or_b64 s[4:5], s[4:5], s[8:9]
	s_or_b64 exec, exec, s[6:7]
	s_and_saveexec_b64 s[6:7], s[4:5]
	s_cbranch_execz .LBB1_8955
; %bb.13809:
	s_getpc_b64 s[14:15]
.Lpost_getpc2808:
	s_add_u32 s14, s14, (.LBB1_1527-.Lpost_getpc2808)&4294967295
	s_addc_u32 s15, s15, (.LBB1_1527-.Lpost_getpc2808)>>32
	s_setpc_b64 s[14:15]
.LBB1_8955:
	s_getpc_b64 s[14:15]
.Lpost_getpc381:
	s_add_u32 s14, s14, (.LBB1_1528-.Lpost_getpc381)&4294967295
	s_addc_u32 s15, s15, (.LBB1_1528-.Lpost_getpc381)>>32
	s_setpc_b64 s[14:15]
.LBB1_5625:
	s_movk_i32 s4, 0x80
	v_cmp_eq_u16_sdwa s[12:13], v19, s4 src0_sel:BYTE_3 src1_sel:DWORD
	s_mov_b64 s[4:5], -1
                                        ; implicit-def: $sgpr10
	s_and_saveexec_b64 s[8:9], s[12:13]
; %bb.5626:
	s_mov_b32 s10, 0x7f800001
	s_xor_b64 s[4:5], exec, -1
; %bb.5627:
	s_or_b64 exec, exec, s[8:9]
	s_and_b64 s[4:5], s[4:5], exec
	s_or_saveexec_b64 s[6:7], s[6:7]
	v_mov_b32_e32 v12, s10
	s_xor_b64 exec, exec, s[6:7]
	s_cbranch_execnz .LBB1_5628
; %bb.13811:
	s_getpc_b64 s[14:15]
.Lpost_getpc2809:
	s_add_u32 s14, s14, (.LBB1_1530-.Lpost_getpc2809)&4294967295
	s_addc_u32 s15, s15, (.LBB1_1530-.Lpost_getpc2809)>>32
	s_setpc_b64 s[14:15]
.LBB1_5628:
	v_mov_b32_e32 v12, 0
	v_cmp_ne_u16_sdwa s[8:9], v19, v12 src0_sel:BYTE_3 src1_sel:DWORD
	s_andn2_b64 s[4:5], s[4:5], exec
	s_and_b64 s[8:9], s[8:9], exec
	s_or_b64 s[4:5], s[4:5], s[8:9]
	s_or_b64 exec, exec, s[6:7]
	s_and_saveexec_b64 s[6:7], s[4:5]
	s_cbranch_execz .LBB1_8957
; %bb.13813:
	s_getpc_b64 s[14:15]
.Lpost_getpc2810:
	s_add_u32 s14, s14, (.LBB1_1531-.Lpost_getpc2810)&4294967295
	s_addc_u32 s15, s15, (.LBB1_1531-.Lpost_getpc2810)>>32
	s_setpc_b64 s[14:15]
.LBB1_8957:
	s_getpc_b64 s[14:15]
.Lpost_getpc382:
	s_add_u32 s14, s14, (.LBB1_1532-.Lpost_getpc382)&4294967295
	s_addc_u32 s15, s15, (.LBB1_1532-.Lpost_getpc382)>>32
	s_setpc_b64 s[14:15]
.LBB1_5629:
	s_movk_i32 s4, 0x80
	v_cmp_eq_u16_sdwa s[12:13], v15, s4 src0_sel:BYTE_3 src1_sel:DWORD
	s_mov_b64 s[4:5], -1
                                        ; implicit-def: $sgpr10
	s_and_saveexec_b64 s[8:9], s[12:13]
; %bb.5630:
	s_mov_b32 s10, 0x7f800001
	s_xor_b64 s[4:5], exec, -1
; %bb.5631:
	s_or_b64 exec, exec, s[8:9]
	s_and_b64 s[4:5], s[4:5], exec
	s_or_saveexec_b64 s[6:7], s[6:7]
	v_mov_b32_e32 v13, s10
	s_xor_b64 exec, exec, s[6:7]
	s_cbranch_execnz .LBB1_5632
; %bb.13815:
	s_getpc_b64 s[14:15]
.Lpost_getpc2811:
	s_add_u32 s14, s14, (.LBB1_1534-.Lpost_getpc2811)&4294967295
	s_addc_u32 s15, s15, (.LBB1_1534-.Lpost_getpc2811)>>32
	s_setpc_b64 s[14:15]
.LBB1_5632:
	v_mov_b32_e32 v13, 0
	v_cmp_ne_u16_sdwa s[8:9], v15, v13 src0_sel:BYTE_3 src1_sel:DWORD
	s_andn2_b64 s[4:5], s[4:5], exec
	s_and_b64 s[8:9], s[8:9], exec
	s_or_b64 s[4:5], s[4:5], s[8:9]
	s_or_b64 exec, exec, s[6:7]
	s_and_saveexec_b64 s[6:7], s[4:5]
	s_cbranch_execz .LBB1_8959
; %bb.13817:
	s_getpc_b64 s[14:15]
.Lpost_getpc2812:
	s_add_u32 s14, s14, (.LBB1_1535-.Lpost_getpc2812)&4294967295
	s_addc_u32 s15, s15, (.LBB1_1535-.Lpost_getpc2812)>>32
	s_setpc_b64 s[14:15]
.LBB1_8959:
	s_getpc_b64 s[14:15]
.Lpost_getpc383:
	s_add_u32 s14, s14, (.LBB1_1536-.Lpost_getpc383)&4294967295
	s_addc_u32 s15, s15, (.LBB1_1536-.Lpost_getpc383)>>32
	s_setpc_b64 s[14:15]
.LBB1_5633:
	s_movk_i32 s4, 0x80
	v_cmp_eq_u16_sdwa s[12:13], v16, s4 src0_sel:BYTE_0 src1_sel:DWORD
	s_mov_b64 s[4:5], -1
                                        ; implicit-def: $sgpr10
	s_and_saveexec_b64 s[8:9], s[12:13]
; %bb.5634:
	s_mov_b32 s10, 0x7f800001
	s_xor_b64 s[4:5], exec, -1
; %bb.5635:
	s_or_b64 exec, exec, s[8:9]
	s_and_b64 s[4:5], s[4:5], exec
	s_or_saveexec_b64 s[6:7], s[6:7]
	v_mov_b32_e32 v21, s10
	s_xor_b64 exec, exec, s[6:7]
	s_cbranch_execnz .LBB1_5636
; %bb.13819:
	s_getpc_b64 s[14:15]
.Lpost_getpc2813:
	s_add_u32 s14, s14, (.LBB1_1538-.Lpost_getpc2813)&4294967295
	s_addc_u32 s15, s15, (.LBB1_1538-.Lpost_getpc2813)>>32
	s_setpc_b64 s[14:15]
.LBB1_5636:
	v_mov_b32_e32 v21, 0
	v_cmp_ne_u16_sdwa s[8:9], v16, v21 src0_sel:BYTE_0 src1_sel:DWORD
	s_andn2_b64 s[4:5], s[4:5], exec
	s_and_b64 s[8:9], s[8:9], exec
	s_or_b64 s[4:5], s[4:5], s[8:9]
	s_or_b64 exec, exec, s[6:7]
	s_and_saveexec_b64 s[6:7], s[4:5]
	s_cbranch_execz .LBB1_8961
; %bb.13821:
	s_getpc_b64 s[14:15]
.Lpost_getpc2814:
	s_add_u32 s14, s14, (.LBB1_1539-.Lpost_getpc2814)&4294967295
	s_addc_u32 s15, s15, (.LBB1_1539-.Lpost_getpc2814)>>32
	s_setpc_b64 s[14:15]
.LBB1_8961:
	s_getpc_b64 s[14:15]
.Lpost_getpc384:
	s_add_u32 s14, s14, (.LBB1_1540-.Lpost_getpc384)&4294967295
	s_addc_u32 s15, s15, (.LBB1_1540-.Lpost_getpc384)>>32
	s_setpc_b64 s[14:15]
.LBB1_5637:
	s_movk_i32 s4, 0x80
	v_cmp_eq_u16_sdwa s[12:13], v12, s4 src0_sel:BYTE_0 src1_sel:DWORD
	s_mov_b64 s[4:5], -1
                                        ; implicit-def: $sgpr10
	s_and_saveexec_b64 s[8:9], s[12:13]
; %bb.5638:
	s_mov_b32 s10, 0x7f800001
	s_xor_b64 s[4:5], exec, -1
; %bb.5639:
	s_or_b64 exec, exec, s[8:9]
	s_and_b64 s[4:5], s[4:5], exec
	s_or_saveexec_b64 s[6:7], s[6:7]
	v_mov_b32_e32 v22, s10
	s_xor_b64 exec, exec, s[6:7]
	s_cbranch_execnz .LBB1_5640
; %bb.13823:
	s_getpc_b64 s[14:15]
.Lpost_getpc2815:
	s_add_u32 s14, s14, (.LBB1_1542-.Lpost_getpc2815)&4294967295
	s_addc_u32 s15, s15, (.LBB1_1542-.Lpost_getpc2815)>>32
	s_setpc_b64 s[14:15]
.LBB1_5640:
	v_mov_b32_e32 v22, 0
	v_cmp_ne_u16_sdwa s[8:9], v12, v22 src0_sel:BYTE_0 src1_sel:DWORD
	s_andn2_b64 s[4:5], s[4:5], exec
	s_and_b64 s[8:9], s[8:9], exec
	s_or_b64 s[4:5], s[4:5], s[8:9]
	s_or_b64 exec, exec, s[6:7]
	s_and_saveexec_b64 s[6:7], s[4:5]
	s_cbranch_execz .LBB1_8963
; %bb.13825:
	s_getpc_b64 s[14:15]
.Lpost_getpc2816:
	s_add_u32 s14, s14, (.LBB1_1543-.Lpost_getpc2816)&4294967295
	s_addc_u32 s15, s15, (.LBB1_1543-.Lpost_getpc2816)>>32
	s_setpc_b64 s[14:15]
.LBB1_8963:
	s_getpc_b64 s[14:15]
.Lpost_getpc385:
	s_add_u32 s14, s14, (.LBB1_1544-.Lpost_getpc385)&4294967295
	s_addc_u32 s15, s15, (.LBB1_1544-.Lpost_getpc385)>>32
	s_setpc_b64 s[14:15]
.LBB1_5641:
	s_movk_i32 s4, 0x80
	v_cmp_eq_u16_sdwa s[12:13], v22, s4 src0_sel:BYTE_0 src1_sel:DWORD
	s_mov_b64 s[4:5], -1
                                        ; implicit-def: $sgpr10
	s_and_saveexec_b64 s[8:9], s[12:13]
; %bb.5642:
	s_mov_b32 s10, 0x7f800001
	s_xor_b64 s[4:5], exec, -1
; %bb.5643:
	s_or_b64 exec, exec, s[8:9]
	s_and_b64 s[4:5], s[4:5], exec
	s_or_saveexec_b64 s[6:7], s[6:7]
	v_mov_b32_e32 v21, s10
	s_xor_b64 exec, exec, s[6:7]
	s_cbranch_execnz .LBB1_5644
; %bb.13827:
	s_getpc_b64 s[14:15]
.Lpost_getpc2817:
	s_add_u32 s14, s14, (.LBB1_1546-.Lpost_getpc2817)&4294967295
	s_addc_u32 s15, s15, (.LBB1_1546-.Lpost_getpc2817)>>32
	s_setpc_b64 s[14:15]
.LBB1_5644:
	v_mov_b32_e32 v21, 0
	v_cmp_ne_u16_sdwa s[8:9], v22, v21 src0_sel:BYTE_0 src1_sel:DWORD
	s_andn2_b64 s[4:5], s[4:5], exec
	s_and_b64 s[8:9], s[8:9], exec
	s_or_b64 s[4:5], s[4:5], s[8:9]
	s_or_b64 exec, exec, s[6:7]
	s_and_saveexec_b64 s[6:7], s[4:5]
	s_cbranch_execz .LBB1_8965
; %bb.13829:
	s_getpc_b64 s[14:15]
.Lpost_getpc2818:
	s_add_u32 s14, s14, (.LBB1_1547-.Lpost_getpc2818)&4294967295
	s_addc_u32 s15, s15, (.LBB1_1547-.Lpost_getpc2818)>>32
	s_setpc_b64 s[14:15]
.LBB1_8965:
	s_getpc_b64 s[14:15]
.Lpost_getpc386:
	s_add_u32 s14, s14, (.LBB1_1548-.Lpost_getpc386)&4294967295
	s_addc_u32 s15, s15, (.LBB1_1548-.Lpost_getpc386)>>32
	s_setpc_b64 s[14:15]
.LBB1_5645:
	s_movk_i32 s4, 0x80
	v_cmp_eq_u16_sdwa s[12:13], v22, s4 src0_sel:BYTE_0 src1_sel:DWORD
	s_mov_b64 s[4:5], -1
                                        ; implicit-def: $sgpr10
	s_and_saveexec_b64 s[8:9], s[12:13]
; %bb.5646:
	s_mov_b32 s10, 0x7f800001
	s_xor_b64 s[4:5], exec, -1
; %bb.5647:
	s_or_b64 exec, exec, s[8:9]
	s_and_b64 s[4:5], s[4:5], exec
	s_or_saveexec_b64 s[6:7], s[6:7]
	v_mov_b32_e32 v23, s10
	s_xor_b64 exec, exec, s[6:7]
	s_cbranch_execnz .LBB1_5648
; %bb.13831:
	s_getpc_b64 s[14:15]
.Lpost_getpc2819:
	s_add_u32 s14, s14, (.LBB1_1550-.Lpost_getpc2819)&4294967295
	s_addc_u32 s15, s15, (.LBB1_1550-.Lpost_getpc2819)>>32
	s_setpc_b64 s[14:15]
.LBB1_5648:
	v_mov_b32_e32 v23, 0
	v_cmp_ne_u16_sdwa s[8:9], v22, v23 src0_sel:BYTE_0 src1_sel:DWORD
	s_andn2_b64 s[4:5], s[4:5], exec
	s_and_b64 s[8:9], s[8:9], exec
	s_or_b64 s[4:5], s[4:5], s[8:9]
	s_or_b64 exec, exec, s[6:7]
	s_and_saveexec_b64 s[6:7], s[4:5]
	s_cbranch_execz .LBB1_8967
; %bb.13833:
	s_getpc_b64 s[14:15]
.Lpost_getpc2820:
	s_add_u32 s14, s14, (.LBB1_1551-.Lpost_getpc2820)&4294967295
	s_addc_u32 s15, s15, (.LBB1_1551-.Lpost_getpc2820)>>32
	s_setpc_b64 s[14:15]
.LBB1_8967:
	s_getpc_b64 s[14:15]
.Lpost_getpc387:
	s_add_u32 s14, s14, (.LBB1_1552-.Lpost_getpc387)&4294967295
	s_addc_u32 s15, s15, (.LBB1_1552-.Lpost_getpc387)>>32
	s_setpc_b64 s[14:15]
.LBB1_5649:
	s_movk_i32 s4, 0x80
	v_cmp_eq_u16_e32 vcc, s4, v22
	s_mov_b64 s[4:5], -1
                                        ; implicit-def: $sgpr10
	s_and_saveexec_b64 s[8:9], vcc
; %bb.5650:
	s_mov_b32 s10, 0x7f800001
	s_xor_b64 s[4:5], exec, -1
; %bb.5651:
	s_or_b64 exec, exec, s[8:9]
	s_and_b64 s[4:5], s[4:5], exec
                                        ; implicit-def: $vgpr22
	s_or_saveexec_b64 s[6:7], s[6:7]
	v_mov_b32_e32 v21, s10
	s_xor_b64 exec, exec, s[6:7]
	s_cbranch_execnz .LBB1_5652
; %bb.13835:
	s_getpc_b64 s[14:15]
.Lpost_getpc2821:
	s_add_u32 s14, s14, (.LBB1_1554-.Lpost_getpc2821)&4294967295
	s_addc_u32 s15, s15, (.LBB1_1554-.Lpost_getpc2821)>>32
	s_setpc_b64 s[14:15]
.LBB1_5652:
	v_cmp_ne_u16_e32 vcc, 0, v22
	s_andn2_b64 s[4:5], s[4:5], exec
	s_and_b64 s[8:9], vcc, exec
	v_mov_b32_e32 v21, 0
	s_or_b64 s[4:5], s[4:5], s[8:9]
	s_or_b64 exec, exec, s[6:7]
	s_and_saveexec_b64 s[6:7], s[4:5]
	s_cbranch_execz .LBB1_8969
; %bb.13837:
	s_getpc_b64 s[14:15]
.Lpost_getpc2822:
	s_add_u32 s14, s14, (.LBB1_1555-.Lpost_getpc2822)&4294967295
	s_addc_u32 s15, s15, (.LBB1_1555-.Lpost_getpc2822)>>32
	s_setpc_b64 s[14:15]
.LBB1_8969:
	s_getpc_b64 s[14:15]
.Lpost_getpc388:
	s_add_u32 s14, s14, (.LBB1_1556-.Lpost_getpc388)&4294967295
	s_addc_u32 s15, s15, (.LBB1_1556-.Lpost_getpc388)>>32
	s_setpc_b64 s[14:15]
.LBB1_5653:
	s_movk_i32 s4, 0x80
	v_cmp_eq_u16_e32 vcc, s4, v22
	s_mov_b64 s[4:5], -1
                                        ; implicit-def: $sgpr10
	s_and_saveexec_b64 s[8:9], vcc
; %bb.5654:
	s_mov_b32 s10, 0x7f800001
	s_xor_b64 s[4:5], exec, -1
; %bb.5655:
	s_or_b64 exec, exec, s[8:9]
	s_and_b64 s[4:5], s[4:5], exec
                                        ; implicit-def: $vgpr22
	s_or_saveexec_b64 s[6:7], s[6:7]
	v_mov_b32_e32 v23, s10
	s_xor_b64 exec, exec, s[6:7]
	s_cbranch_execnz .LBB1_5656
; %bb.13839:
	s_getpc_b64 s[14:15]
.Lpost_getpc2823:
	s_add_u32 s14, s14, (.LBB1_1558-.Lpost_getpc2823)&4294967295
	s_addc_u32 s15, s15, (.LBB1_1558-.Lpost_getpc2823)>>32
	s_setpc_b64 s[14:15]
.LBB1_5656:
	v_cmp_ne_u16_e32 vcc, 0, v22
	s_andn2_b64 s[4:5], s[4:5], exec
	s_and_b64 s[8:9], vcc, exec
	v_mov_b32_e32 v23, 0
	s_or_b64 s[4:5], s[4:5], s[8:9]
	s_or_b64 exec, exec, s[6:7]
	s_and_saveexec_b64 s[6:7], s[4:5]
	s_cbranch_execz .LBB1_8971
; %bb.13841:
	s_getpc_b64 s[14:15]
.Lpost_getpc2824:
	s_add_u32 s14, s14, (.LBB1_1559-.Lpost_getpc2824)&4294967295
	s_addc_u32 s15, s15, (.LBB1_1559-.Lpost_getpc2824)>>32
	s_setpc_b64 s[14:15]
.LBB1_8971:
	s_getpc_b64 s[14:15]
.Lpost_getpc389:
	s_add_u32 s14, s14, (.LBB1_1560-.Lpost_getpc389)&4294967295
	s_addc_u32 s15, s15, (.LBB1_1560-.Lpost_getpc389)>>32
	s_setpc_b64 s[14:15]
.LBB1_5657:
	s_movk_i32 s4, 0x80
	v_cmp_eq_u16_sdwa s[12:13], v16, s4 src0_sel:BYTE_3 src1_sel:DWORD
	s_mov_b64 s[4:5], -1
                                        ; implicit-def: $sgpr10
	s_and_saveexec_b64 s[8:9], s[12:13]
; %bb.5658:
	s_mov_b32 s10, 0x7f800001
	s_xor_b64 s[4:5], exec, -1
; %bb.5659:
	s_or_b64 exec, exec, s[8:9]
	s_and_b64 s[4:5], s[4:5], exec
	s_or_saveexec_b64 s[6:7], s[6:7]
	v_mov_b32_e32 v21, s10
	s_xor_b64 exec, exec, s[6:7]
	s_cbranch_execnz .LBB1_5660
; %bb.13843:
	s_getpc_b64 s[14:15]
.Lpost_getpc2825:
	s_add_u32 s14, s14, (.LBB1_1562-.Lpost_getpc2825)&4294967295
	s_addc_u32 s15, s15, (.LBB1_1562-.Lpost_getpc2825)>>32
	s_setpc_b64 s[14:15]
.LBB1_5660:
	v_mov_b32_e32 v21, 0
	v_cmp_ne_u16_sdwa s[8:9], v16, v21 src0_sel:BYTE_3 src1_sel:DWORD
	s_andn2_b64 s[4:5], s[4:5], exec
	s_and_b64 s[8:9], s[8:9], exec
	s_or_b64 s[4:5], s[4:5], s[8:9]
	s_or_b64 exec, exec, s[6:7]
	s_and_saveexec_b64 s[6:7], s[4:5]
	s_cbranch_execz .LBB1_8973
; %bb.13845:
	s_getpc_b64 s[14:15]
.Lpost_getpc2826:
	s_add_u32 s14, s14, (.LBB1_1563-.Lpost_getpc2826)&4294967295
	s_addc_u32 s15, s15, (.LBB1_1563-.Lpost_getpc2826)>>32
	s_setpc_b64 s[14:15]
.LBB1_8973:
	s_getpc_b64 s[14:15]
.Lpost_getpc390:
	s_add_u32 s14, s14, (.LBB1_1564-.Lpost_getpc390)&4294967295
	s_addc_u32 s15, s15, (.LBB1_1564-.Lpost_getpc390)>>32
	s_setpc_b64 s[14:15]
.LBB1_5661:
	s_movk_i32 s4, 0x80
	v_cmp_eq_u16_sdwa s[12:13], v12, s4 src0_sel:BYTE_3 src1_sel:DWORD
	s_mov_b64 s[4:5], -1
                                        ; implicit-def: $sgpr10
	s_and_saveexec_b64 s[8:9], s[12:13]
; %bb.5662:
	s_mov_b32 s10, 0x7f800001
	s_xor_b64 s[4:5], exec, -1
; %bb.5663:
	s_or_b64 exec, exec, s[8:9]
	s_and_b64 s[4:5], s[4:5], exec
	s_or_saveexec_b64 s[6:7], s[6:7]
	v_mov_b32_e32 v16, s10
	s_xor_b64 exec, exec, s[6:7]
	s_cbranch_execnz .LBB1_5664
; %bb.13847:
	s_getpc_b64 s[14:15]
.Lpost_getpc2827:
	s_add_u32 s14, s14, (.LBB1_1566-.Lpost_getpc2827)&4294967295
	s_addc_u32 s15, s15, (.LBB1_1566-.Lpost_getpc2827)>>32
	s_setpc_b64 s[14:15]
.LBB1_5664:
	v_mov_b32_e32 v16, 0
	v_cmp_ne_u16_sdwa s[8:9], v12, v16 src0_sel:BYTE_3 src1_sel:DWORD
	s_andn2_b64 s[4:5], s[4:5], exec
	s_and_b64 s[8:9], s[8:9], exec
	s_or_b64 s[4:5], s[4:5], s[8:9]
	s_or_b64 exec, exec, s[6:7]
	s_and_saveexec_b64 s[6:7], s[4:5]
	s_cbranch_execz .LBB1_8975
; %bb.13849:
	s_getpc_b64 s[14:15]
.Lpost_getpc2828:
	s_add_u32 s14, s14, (.LBB1_1567-.Lpost_getpc2828)&4294967295
	s_addc_u32 s15, s15, (.LBB1_1567-.Lpost_getpc2828)>>32
	s_setpc_b64 s[14:15]
.LBB1_8975:
	s_getpc_b64 s[14:15]
.Lpost_getpc391:
	s_add_u32 s14, s14, (.LBB1_1568-.Lpost_getpc391)&4294967295
	s_addc_u32 s15, s15, (.LBB1_1568-.Lpost_getpc391)>>32
	s_setpc_b64 s[14:15]
.LBB1_5665:
	s_movk_i32 s4, 0x80
	v_cmp_eq_u16_sdwa s[12:13], v17, s4 src0_sel:BYTE_0 src1_sel:DWORD
	s_mov_b64 s[4:5], -1
                                        ; implicit-def: $sgpr10
	s_and_saveexec_b64 s[8:9], s[12:13]
; %bb.5666:
	s_mov_b32 s10, 0x7f800001
	s_xor_b64 s[4:5], exec, -1
; %bb.5667:
	s_or_b64 exec, exec, s[8:9]
	s_and_b64 s[4:5], s[4:5], exec
	s_or_saveexec_b64 s[6:7], s[6:7]
	v_mov_b32_e32 v12, s10
	s_xor_b64 exec, exec, s[6:7]
	s_cbranch_execnz .LBB1_5668
; %bb.13851:
	s_getpc_b64 s[14:15]
.Lpost_getpc2829:
	s_add_u32 s14, s14, (.LBB1_1570-.Lpost_getpc2829)&4294967295
	s_addc_u32 s15, s15, (.LBB1_1570-.Lpost_getpc2829)>>32
	s_setpc_b64 s[14:15]
.LBB1_5668:
	v_mov_b32_e32 v12, 0
	v_cmp_ne_u16_sdwa s[8:9], v17, v12 src0_sel:BYTE_0 src1_sel:DWORD
	s_andn2_b64 s[4:5], s[4:5], exec
	s_and_b64 s[8:9], s[8:9], exec
	s_or_b64 s[4:5], s[4:5], s[8:9]
	s_or_b64 exec, exec, s[6:7]
	s_and_saveexec_b64 s[6:7], s[4:5]
	s_cbranch_execz .LBB1_8977
; %bb.13853:
	s_getpc_b64 s[14:15]
.Lpost_getpc2830:
	s_add_u32 s14, s14, (.LBB1_1571-.Lpost_getpc2830)&4294967295
	s_addc_u32 s15, s15, (.LBB1_1571-.Lpost_getpc2830)>>32
	s_setpc_b64 s[14:15]
.LBB1_8977:
	s_getpc_b64 s[14:15]
.Lpost_getpc392:
	s_add_u32 s14, s14, (.LBB1_1572-.Lpost_getpc392)&4294967295
	s_addc_u32 s15, s15, (.LBB1_1572-.Lpost_getpc392)>>32
	s_setpc_b64 s[14:15]
.LBB1_5669:
	s_movk_i32 s4, 0x80
	v_cmp_eq_u16_sdwa s[12:13], v13, s4 src0_sel:BYTE_0 src1_sel:DWORD
	s_mov_b64 s[4:5], -1
                                        ; implicit-def: $sgpr10
	s_and_saveexec_b64 s[8:9], s[12:13]
; %bb.5670:
	s_mov_b32 s10, 0x7f800001
	s_xor_b64 s[4:5], exec, -1
; %bb.5671:
	s_or_b64 exec, exec, s[8:9]
	s_and_b64 s[4:5], s[4:5], exec
	s_or_saveexec_b64 s[6:7], s[6:7]
	v_mov_b32_e32 v16, s10
	s_xor_b64 exec, exec, s[6:7]
	s_cbranch_execnz .LBB1_5672
; %bb.13855:
	s_getpc_b64 s[14:15]
.Lpost_getpc2831:
	s_add_u32 s14, s14, (.LBB1_1574-.Lpost_getpc2831)&4294967295
	s_addc_u32 s15, s15, (.LBB1_1574-.Lpost_getpc2831)>>32
	s_setpc_b64 s[14:15]
.LBB1_5672:
	v_mov_b32_e32 v16, 0
	v_cmp_ne_u16_sdwa s[8:9], v13, v16 src0_sel:BYTE_0 src1_sel:DWORD
	s_andn2_b64 s[4:5], s[4:5], exec
	s_and_b64 s[8:9], s[8:9], exec
	s_or_b64 s[4:5], s[4:5], s[8:9]
	s_or_b64 exec, exec, s[6:7]
	s_and_saveexec_b64 s[6:7], s[4:5]
	s_cbranch_execz .LBB1_8979
; %bb.13857:
	s_getpc_b64 s[14:15]
.Lpost_getpc2832:
	s_add_u32 s14, s14, (.LBB1_1575-.Lpost_getpc2832)&4294967295
	s_addc_u32 s15, s15, (.LBB1_1575-.Lpost_getpc2832)>>32
	s_setpc_b64 s[14:15]
.LBB1_8979:
	s_getpc_b64 s[14:15]
.Lpost_getpc393:
	s_add_u32 s14, s14, (.LBB1_1576-.Lpost_getpc393)&4294967295
	s_addc_u32 s15, s15, (.LBB1_1576-.Lpost_getpc393)>>32
	s_setpc_b64 s[14:15]
.LBB1_5673:
	s_movk_i32 s4, 0x80
	v_cmp_eq_u16_sdwa s[12:13], v16, s4 src0_sel:BYTE_0 src1_sel:DWORD
	s_mov_b64 s[4:5], -1
                                        ; implicit-def: $sgpr10
	s_and_saveexec_b64 s[8:9], s[12:13]
; %bb.5674:
	s_mov_b32 s10, 0x7f800001
	s_xor_b64 s[4:5], exec, -1
; %bb.5675:
	s_or_b64 exec, exec, s[8:9]
	s_and_b64 s[4:5], s[4:5], exec
	s_or_saveexec_b64 s[6:7], s[6:7]
	v_mov_b32_e32 v12, s10
	s_xor_b64 exec, exec, s[6:7]
	s_cbranch_execnz .LBB1_5676
; %bb.13859:
	s_getpc_b64 s[14:15]
.Lpost_getpc2833:
	s_add_u32 s14, s14, (.LBB1_1578-.Lpost_getpc2833)&4294967295
	s_addc_u32 s15, s15, (.LBB1_1578-.Lpost_getpc2833)>>32
	s_setpc_b64 s[14:15]
.LBB1_5676:
	v_mov_b32_e32 v12, 0
	v_cmp_ne_u16_sdwa s[8:9], v16, v12 src0_sel:BYTE_0 src1_sel:DWORD
	s_andn2_b64 s[4:5], s[4:5], exec
	s_and_b64 s[8:9], s[8:9], exec
	s_or_b64 s[4:5], s[4:5], s[8:9]
	s_or_b64 exec, exec, s[6:7]
	s_and_saveexec_b64 s[6:7], s[4:5]
	s_cbranch_execz .LBB1_8981
; %bb.13861:
	s_getpc_b64 s[14:15]
.Lpost_getpc2834:
	s_add_u32 s14, s14, (.LBB1_1579-.Lpost_getpc2834)&4294967295
	s_addc_u32 s15, s15, (.LBB1_1579-.Lpost_getpc2834)>>32
	s_setpc_b64 s[14:15]
.LBB1_8981:
	s_getpc_b64 s[14:15]
.Lpost_getpc394:
	s_add_u32 s14, s14, (.LBB1_1580-.Lpost_getpc394)&4294967295
	s_addc_u32 s15, s15, (.LBB1_1580-.Lpost_getpc394)>>32
	s_setpc_b64 s[14:15]
.LBB1_5677:
	s_movk_i32 s4, 0x80
	v_cmp_eq_u16_sdwa s[12:13], v16, s4 src0_sel:BYTE_0 src1_sel:DWORD
	s_mov_b64 s[4:5], -1
                                        ; implicit-def: $sgpr10
	s_and_saveexec_b64 s[8:9], s[12:13]
; %bb.5678:
	s_mov_b32 s10, 0x7f800001
	s_xor_b64 s[4:5], exec, -1
; %bb.5679:
	s_or_b64 exec, exec, s[8:9]
	s_and_b64 s[4:5], s[4:5], exec
	s_or_saveexec_b64 s[6:7], s[6:7]
	v_mov_b32_e32 v21, s10
	s_xor_b64 exec, exec, s[6:7]
	s_cbranch_execnz .LBB1_5680
; %bb.13863:
	s_getpc_b64 s[14:15]
.Lpost_getpc2835:
	s_add_u32 s14, s14, (.LBB1_1582-.Lpost_getpc2835)&4294967295
	s_addc_u32 s15, s15, (.LBB1_1582-.Lpost_getpc2835)>>32
	s_setpc_b64 s[14:15]
.LBB1_5680:
	v_mov_b32_e32 v21, 0
	v_cmp_ne_u16_sdwa s[8:9], v16, v21 src0_sel:BYTE_0 src1_sel:DWORD
	s_andn2_b64 s[4:5], s[4:5], exec
	s_and_b64 s[8:9], s[8:9], exec
	s_or_b64 s[4:5], s[4:5], s[8:9]
	s_or_b64 exec, exec, s[6:7]
	s_and_saveexec_b64 s[6:7], s[4:5]
	s_cbranch_execz .LBB1_8983
; %bb.13865:
	s_getpc_b64 s[14:15]
.Lpost_getpc2836:
	s_add_u32 s14, s14, (.LBB1_1583-.Lpost_getpc2836)&4294967295
	s_addc_u32 s15, s15, (.LBB1_1583-.Lpost_getpc2836)>>32
	s_setpc_b64 s[14:15]
.LBB1_8983:
	s_getpc_b64 s[14:15]
.Lpost_getpc395:
	s_add_u32 s14, s14, (.LBB1_1584-.Lpost_getpc395)&4294967295
	s_addc_u32 s15, s15, (.LBB1_1584-.Lpost_getpc395)>>32
	s_setpc_b64 s[14:15]
.LBB1_5681:
	s_movk_i32 s4, 0x80
	v_cmp_eq_u16_e32 vcc, s4, v16
	s_mov_b64 s[4:5], -1
                                        ; implicit-def: $sgpr10
	s_and_saveexec_b64 s[8:9], vcc
; %bb.5682:
	s_mov_b32 s10, 0x7f800001
	s_xor_b64 s[4:5], exec, -1
; %bb.5683:
	s_or_b64 exec, exec, s[8:9]
	s_and_b64 s[4:5], s[4:5], exec
                                        ; implicit-def: $vgpr16
	s_or_saveexec_b64 s[6:7], s[6:7]
	v_mov_b32_e32 v12, s10
	s_xor_b64 exec, exec, s[6:7]
	s_cbranch_execnz .LBB1_5684
; %bb.13867:
	s_getpc_b64 s[14:15]
.Lpost_getpc2837:
	s_add_u32 s14, s14, (.LBB1_1586-.Lpost_getpc2837)&4294967295
	s_addc_u32 s15, s15, (.LBB1_1586-.Lpost_getpc2837)>>32
	s_setpc_b64 s[14:15]
.LBB1_5684:
	v_cmp_ne_u16_e32 vcc, 0, v16
	s_andn2_b64 s[4:5], s[4:5], exec
	s_and_b64 s[8:9], vcc, exec
	v_mov_b32_e32 v12, 0
	s_or_b64 s[4:5], s[4:5], s[8:9]
	s_or_b64 exec, exec, s[6:7]
	s_and_saveexec_b64 s[6:7], s[4:5]
	s_cbranch_execz .LBB1_8985
; %bb.13869:
	s_getpc_b64 s[14:15]
.Lpost_getpc2838:
	s_add_u32 s14, s14, (.LBB1_1587-.Lpost_getpc2838)&4294967295
	s_addc_u32 s15, s15, (.LBB1_1587-.Lpost_getpc2838)>>32
	s_setpc_b64 s[14:15]
.LBB1_8985:
	s_getpc_b64 s[14:15]
.Lpost_getpc396:
	s_add_u32 s14, s14, (.LBB1_1588-.Lpost_getpc396)&4294967295
	s_addc_u32 s15, s15, (.LBB1_1588-.Lpost_getpc396)>>32
	s_setpc_b64 s[14:15]
.LBB1_5685:
	s_movk_i32 s4, 0x80
	v_cmp_eq_u16_e32 vcc, s4, v16
	s_mov_b64 s[4:5], -1
                                        ; implicit-def: $sgpr10
	s_and_saveexec_b64 s[8:9], vcc
; %bb.5686:
	s_mov_b32 s10, 0x7f800001
	s_xor_b64 s[4:5], exec, -1
; %bb.5687:
	s_or_b64 exec, exec, s[8:9]
	s_and_b64 s[4:5], s[4:5], exec
                                        ; implicit-def: $vgpr16
	s_or_saveexec_b64 s[6:7], s[6:7]
	v_mov_b32_e32 v21, s10
	s_xor_b64 exec, exec, s[6:7]
	s_cbranch_execnz .LBB1_5688
; %bb.13871:
	s_getpc_b64 s[14:15]
.Lpost_getpc2839:
	s_add_u32 s14, s14, (.LBB1_1590-.Lpost_getpc2839)&4294967295
	s_addc_u32 s15, s15, (.LBB1_1590-.Lpost_getpc2839)>>32
	s_setpc_b64 s[14:15]
.LBB1_5688:
	v_cmp_ne_u16_e32 vcc, 0, v16
	s_andn2_b64 s[4:5], s[4:5], exec
	s_and_b64 s[8:9], vcc, exec
	v_mov_b32_e32 v21, 0
	s_or_b64 s[4:5], s[4:5], s[8:9]
	s_or_b64 exec, exec, s[6:7]
	s_and_saveexec_b64 s[6:7], s[4:5]
	s_cbranch_execz .LBB1_8987
; %bb.13873:
	s_getpc_b64 s[14:15]
.Lpost_getpc2840:
	s_add_u32 s14, s14, (.LBB1_1591-.Lpost_getpc2840)&4294967295
	s_addc_u32 s15, s15, (.LBB1_1591-.Lpost_getpc2840)>>32
	s_setpc_b64 s[14:15]
.LBB1_8987:
	s_getpc_b64 s[14:15]
.Lpost_getpc397:
	s_add_u32 s14, s14, (.LBB1_1592-.Lpost_getpc397)&4294967295
	s_addc_u32 s15, s15, (.LBB1_1592-.Lpost_getpc397)>>32
	s_setpc_b64 s[14:15]
.LBB1_5689:
	s_movk_i32 s4, 0x80
	v_cmp_eq_u16_sdwa s[12:13], v17, s4 src0_sel:BYTE_3 src1_sel:DWORD
	s_mov_b64 s[4:5], -1
                                        ; implicit-def: $sgpr10
	s_and_saveexec_b64 s[8:9], s[12:13]
; %bb.5690:
	s_mov_b32 s10, 0x7f800001
	s_xor_b64 s[4:5], exec, -1
; %bb.5691:
	s_or_b64 exec, exec, s[8:9]
	s_and_b64 s[4:5], s[4:5], exec
	s_or_saveexec_b64 s[6:7], s[6:7]
	v_mov_b32_e32 v12, s10
	s_xor_b64 exec, exec, s[6:7]
	s_cbranch_execnz .LBB1_5692
; %bb.13875:
	s_getpc_b64 s[14:15]
.Lpost_getpc2841:
	s_add_u32 s14, s14, (.LBB1_1594-.Lpost_getpc2841)&4294967295
	s_addc_u32 s15, s15, (.LBB1_1594-.Lpost_getpc2841)>>32
	s_setpc_b64 s[14:15]
.LBB1_5692:
	v_mov_b32_e32 v12, 0
	v_cmp_ne_u16_sdwa s[8:9], v17, v12 src0_sel:BYTE_3 src1_sel:DWORD
	s_andn2_b64 s[4:5], s[4:5], exec
	s_and_b64 s[8:9], s[8:9], exec
	s_or_b64 s[4:5], s[4:5], s[8:9]
	s_or_b64 exec, exec, s[6:7]
	s_and_saveexec_b64 s[6:7], s[4:5]
	s_cbranch_execz .LBB1_8989
; %bb.13877:
	s_getpc_b64 s[14:15]
.Lpost_getpc2842:
	s_add_u32 s14, s14, (.LBB1_1595-.Lpost_getpc2842)&4294967295
	s_addc_u32 s15, s15, (.LBB1_1595-.Lpost_getpc2842)>>32
	s_setpc_b64 s[14:15]
.LBB1_8989:
	s_getpc_b64 s[14:15]
.Lpost_getpc398:
	s_add_u32 s14, s14, (.LBB1_1596-.Lpost_getpc398)&4294967295
	s_addc_u32 s15, s15, (.LBB1_1596-.Lpost_getpc398)>>32
	s_setpc_b64 s[14:15]
.LBB1_5693:
	s_movk_i32 s4, 0x80
	v_cmp_eq_u16_sdwa s[12:13], v13, s4 src0_sel:BYTE_3 src1_sel:DWORD
	s_mov_b64 s[4:5], -1
                                        ; implicit-def: $sgpr10
	s_and_saveexec_b64 s[8:9], s[12:13]
; %bb.5694:
	s_mov_b32 s10, 0x7f800001
	s_xor_b64 s[4:5], exec, -1
; %bb.5695:
	s_or_b64 exec, exec, s[8:9]
	s_and_b64 s[4:5], s[4:5], exec
	s_or_saveexec_b64 s[6:7], s[6:7]
	v_mov_b32_e32 v16, s10
	s_xor_b64 exec, exec, s[6:7]
	s_cbranch_execnz .LBB1_5696
; %bb.13879:
	s_getpc_b64 s[14:15]
.Lpost_getpc2843:
	s_add_u32 s14, s14, (.LBB1_1598-.Lpost_getpc2843)&4294967295
	s_addc_u32 s15, s15, (.LBB1_1598-.Lpost_getpc2843)>>32
	s_setpc_b64 s[14:15]
.LBB1_5696:
	v_mov_b32_e32 v16, 0
	v_cmp_ne_u16_sdwa s[8:9], v13, v16 src0_sel:BYTE_3 src1_sel:DWORD
	s_andn2_b64 s[4:5], s[4:5], exec
	s_and_b64 s[8:9], s[8:9], exec
	s_or_b64 s[4:5], s[4:5], s[8:9]
	s_or_b64 exec, exec, s[6:7]
	s_and_saveexec_b64 s[6:7], s[4:5]
	s_cbranch_execz .LBB1_8991
; %bb.13881:
	s_getpc_b64 s[14:15]
.Lpost_getpc2844:
	s_add_u32 s14, s14, (.LBB1_1599-.Lpost_getpc2844)&4294967295
	s_addc_u32 s15, s15, (.LBB1_1599-.Lpost_getpc2844)>>32
	s_setpc_b64 s[14:15]
.LBB1_8991:
	s_getpc_b64 s[14:15]
.Lpost_getpc399:
	s_add_u32 s14, s14, (.LBB1_1600-.Lpost_getpc399)&4294967295
	s_addc_u32 s15, s15, (.LBB1_1600-.Lpost_getpc399)>>32
	s_setpc_b64 s[14:15]
.LBB1_5697:
	s_movk_i32 s4, 0x80
	v_cmp_eq_u16_sdwa s[12:13], v18, s4 src0_sel:BYTE_0 src1_sel:DWORD
	s_mov_b64 s[4:5], -1
                                        ; implicit-def: $sgpr10
	s_and_saveexec_b64 s[8:9], s[12:13]
; %bb.5698:
	s_mov_b32 s10, 0x7f800001
	s_xor_b64 s[4:5], exec, -1
; %bb.5699:
	s_or_b64 exec, exec, s[8:9]
	s_and_b64 s[4:5], s[4:5], exec
	s_or_saveexec_b64 s[6:7], s[6:7]
	v_mov_b32_e32 v13, s10
	s_xor_b64 exec, exec, s[6:7]
	s_cbranch_execnz .LBB1_5700
; %bb.13883:
	s_getpc_b64 s[14:15]
.Lpost_getpc2845:
	s_add_u32 s14, s14, (.LBB1_1602-.Lpost_getpc2845)&4294967295
	s_addc_u32 s15, s15, (.LBB1_1602-.Lpost_getpc2845)>>32
	s_setpc_b64 s[14:15]
.LBB1_5700:
	v_mov_b32_e32 v13, 0
	v_cmp_ne_u16_sdwa s[8:9], v18, v13 src0_sel:BYTE_0 src1_sel:DWORD
	s_andn2_b64 s[4:5], s[4:5], exec
	s_and_b64 s[8:9], s[8:9], exec
	s_or_b64 s[4:5], s[4:5], s[8:9]
	s_or_b64 exec, exec, s[6:7]
	s_and_saveexec_b64 s[6:7], s[4:5]
	s_cbranch_execz .LBB1_8993
; %bb.13885:
	s_getpc_b64 s[14:15]
.Lpost_getpc2846:
	s_add_u32 s14, s14, (.LBB1_1603-.Lpost_getpc2846)&4294967295
	s_addc_u32 s15, s15, (.LBB1_1603-.Lpost_getpc2846)>>32
	s_setpc_b64 s[14:15]
.LBB1_8993:
	s_getpc_b64 s[14:15]
.Lpost_getpc400:
	s_add_u32 s14, s14, (.LBB1_1604-.Lpost_getpc400)&4294967295
	s_addc_u32 s15, s15, (.LBB1_1604-.Lpost_getpc400)>>32
	s_setpc_b64 s[14:15]
.LBB1_5701:
	s_movk_i32 s4, 0x80
	v_cmp_eq_u16_sdwa s[12:13], v16, s4 src0_sel:BYTE_0 src1_sel:DWORD
	s_mov_b64 s[4:5], -1
                                        ; implicit-def: $sgpr10
	s_and_saveexec_b64 s[8:9], s[12:13]
; %bb.5702:
	s_mov_b32 s10, 0x7f800001
	s_xor_b64 s[4:5], exec, -1
; %bb.5703:
	s_or_b64 exec, exec, s[8:9]
	s_and_b64 s[4:5], s[4:5], exec
	s_or_saveexec_b64 s[6:7], s[6:7]
	v_mov_b32_e32 v14, s10
	s_xor_b64 exec, exec, s[6:7]
	s_cbranch_execnz .LBB1_5704
; %bb.13887:
	s_getpc_b64 s[14:15]
.Lpost_getpc2847:
	s_add_u32 s14, s14, (.LBB1_1606-.Lpost_getpc2847)&4294967295
	s_addc_u32 s15, s15, (.LBB1_1606-.Lpost_getpc2847)>>32
	s_setpc_b64 s[14:15]
.LBB1_5704:
	v_mov_b32_e32 v14, 0
	v_cmp_ne_u16_sdwa s[8:9], v16, v14 src0_sel:BYTE_0 src1_sel:DWORD
	s_andn2_b64 s[4:5], s[4:5], exec
	s_and_b64 s[8:9], s[8:9], exec
	s_or_b64 s[4:5], s[4:5], s[8:9]
	s_or_b64 exec, exec, s[6:7]
	v_or_b32_sdwa v12, v16, v12 dst_sel:DWORD dst_unused:UNUSED_PAD src0_sel:WORD_0 src1_sel:DWORD
	s_and_saveexec_b64 s[6:7], s[4:5]
	s_cbranch_execz .LBB1_8995
; %bb.13889:
	s_getpc_b64 s[14:15]
.Lpost_getpc2848:
	s_add_u32 s14, s14, (.LBB1_1607-.Lpost_getpc2848)&4294967295
	s_addc_u32 s15, s15, (.LBB1_1607-.Lpost_getpc2848)>>32
	s_setpc_b64 s[14:15]
.LBB1_8995:
	s_getpc_b64 s[14:15]
.Lpost_getpc401:
	s_add_u32 s14, s14, (.LBB1_1608-.Lpost_getpc401)&4294967295
	s_addc_u32 s15, s15, (.LBB1_1608-.Lpost_getpc401)>>32
	s_setpc_b64 s[14:15]
.LBB1_5705:
	s_movk_i32 s4, 0x80
	v_cmp_eq_u16_sdwa s[12:13], v14, s4 src0_sel:BYTE_0 src1_sel:DWORD
	s_mov_b64 s[4:5], -1
                                        ; implicit-def: $sgpr10
	s_and_saveexec_b64 s[8:9], s[12:13]
; %bb.5706:
	s_mov_b32 s10, 0x7f800001
	s_xor_b64 s[4:5], exec, -1
; %bb.5707:
	s_or_b64 exec, exec, s[8:9]
	s_and_b64 s[4:5], s[4:5], exec
	s_or_saveexec_b64 s[6:7], s[6:7]
	v_mov_b32_e32 v13, s10
	s_xor_b64 exec, exec, s[6:7]
	s_cbranch_execnz .LBB1_5708
; %bb.13891:
	s_getpc_b64 s[14:15]
.Lpost_getpc2849:
	s_add_u32 s14, s14, (.LBB1_1610-.Lpost_getpc2849)&4294967295
	s_addc_u32 s15, s15, (.LBB1_1610-.Lpost_getpc2849)>>32
	s_setpc_b64 s[14:15]
.LBB1_5708:
	v_mov_b32_e32 v13, 0
	v_cmp_ne_u16_sdwa s[8:9], v14, v13 src0_sel:BYTE_0 src1_sel:DWORD
	s_andn2_b64 s[4:5], s[4:5], exec
	s_and_b64 s[8:9], s[8:9], exec
	s_or_b64 s[4:5], s[4:5], s[8:9]
	s_or_b64 exec, exec, s[6:7]
	s_and_saveexec_b64 s[6:7], s[4:5]
	s_cbranch_execz .LBB1_8997
; %bb.13893:
	s_getpc_b64 s[14:15]
.Lpost_getpc2850:
	s_add_u32 s14, s14, (.LBB1_1611-.Lpost_getpc2850)&4294967295
	s_addc_u32 s15, s15, (.LBB1_1611-.Lpost_getpc2850)>>32
	s_setpc_b64 s[14:15]
.LBB1_8997:
	s_getpc_b64 s[14:15]
.Lpost_getpc402:
	s_add_u32 s14, s14, (.LBB1_1612-.Lpost_getpc402)&4294967295
	s_addc_u32 s15, s15, (.LBB1_1612-.Lpost_getpc402)>>32
	s_setpc_b64 s[14:15]
.LBB1_5709:
	s_movk_i32 s4, 0x80
	v_cmp_eq_u16_sdwa s[12:13], v14, s4 src0_sel:BYTE_0 src1_sel:DWORD
	s_mov_b64 s[4:5], -1
                                        ; implicit-def: $sgpr10
	s_and_saveexec_b64 s[8:9], s[12:13]
; %bb.5710:
	s_mov_b32 s10, 0x7f800001
	s_xor_b64 s[4:5], exec, -1
; %bb.5711:
	s_or_b64 exec, exec, s[8:9]
	s_and_b64 s[4:5], s[4:5], exec
	s_or_saveexec_b64 s[6:7], s[6:7]
	v_mov_b32_e32 v16, s10
	s_xor_b64 exec, exec, s[6:7]
	s_cbranch_execnz .LBB1_5712
; %bb.13895:
	s_getpc_b64 s[14:15]
.Lpost_getpc2851:
	s_add_u32 s14, s14, (.LBB1_1614-.Lpost_getpc2851)&4294967295
	s_addc_u32 s15, s15, (.LBB1_1614-.Lpost_getpc2851)>>32
	s_setpc_b64 s[14:15]
.LBB1_5712:
	v_mov_b32_e32 v16, 0
	v_cmp_ne_u16_sdwa s[8:9], v14, v16 src0_sel:BYTE_0 src1_sel:DWORD
	s_andn2_b64 s[4:5], s[4:5], exec
	s_and_b64 s[8:9], s[8:9], exec
	s_or_b64 s[4:5], s[4:5], s[8:9]
	s_or_b64 exec, exec, s[6:7]
	s_and_saveexec_b64 s[6:7], s[4:5]
	s_cbranch_execz .LBB1_8999
; %bb.13897:
	s_getpc_b64 s[14:15]
.Lpost_getpc2852:
	s_add_u32 s14, s14, (.LBB1_1615-.Lpost_getpc2852)&4294967295
	s_addc_u32 s15, s15, (.LBB1_1615-.Lpost_getpc2852)>>32
	s_setpc_b64 s[14:15]
.LBB1_8999:
	s_getpc_b64 s[14:15]
.Lpost_getpc403:
	s_add_u32 s14, s14, (.LBB1_1616-.Lpost_getpc403)&4294967295
	s_addc_u32 s15, s15, (.LBB1_1616-.Lpost_getpc403)>>32
	s_setpc_b64 s[14:15]
.LBB1_5713:
	s_movk_i32 s4, 0x80
	v_cmp_eq_u16_e32 vcc, s4, v14
	s_mov_b64 s[4:5], -1
                                        ; implicit-def: $sgpr10
	s_and_saveexec_b64 s[8:9], vcc
; %bb.5714:
	s_mov_b32 s10, 0x7f800001
	s_xor_b64 s[4:5], exec, -1
; %bb.5715:
	s_or_b64 exec, exec, s[8:9]
	s_and_b64 s[4:5], s[4:5], exec
                                        ; implicit-def: $vgpr14
	s_or_saveexec_b64 s[6:7], s[6:7]
	v_mov_b32_e32 v13, s10
	s_xor_b64 exec, exec, s[6:7]
	s_cbranch_execnz .LBB1_5716
; %bb.13899:
	s_getpc_b64 s[14:15]
.Lpost_getpc2853:
	s_add_u32 s14, s14, (.LBB1_1618-.Lpost_getpc2853)&4294967295
	s_addc_u32 s15, s15, (.LBB1_1618-.Lpost_getpc2853)>>32
	s_setpc_b64 s[14:15]
.LBB1_5716:
	v_cmp_ne_u16_e32 vcc, 0, v14
	s_andn2_b64 s[4:5], s[4:5], exec
	s_and_b64 s[8:9], vcc, exec
	v_mov_b32_e32 v13, 0
	s_or_b64 s[4:5], s[4:5], s[8:9]
	s_or_b64 exec, exec, s[6:7]
	s_and_saveexec_b64 s[6:7], s[4:5]
	s_cbranch_execz .LBB1_9001
; %bb.13901:
	s_getpc_b64 s[14:15]
.Lpost_getpc2854:
	s_add_u32 s14, s14, (.LBB1_1619-.Lpost_getpc2854)&4294967295
	s_addc_u32 s15, s15, (.LBB1_1619-.Lpost_getpc2854)>>32
	s_setpc_b64 s[14:15]
.LBB1_9001:
	s_getpc_b64 s[14:15]
.Lpost_getpc404:
	s_add_u32 s14, s14, (.LBB1_1620-.Lpost_getpc404)&4294967295
	s_addc_u32 s15, s15, (.LBB1_1620-.Lpost_getpc404)>>32
	s_setpc_b64 s[14:15]
.LBB1_5717:
	s_movk_i32 s4, 0x80
	v_cmp_eq_u16_e32 vcc, s4, v14
	s_mov_b64 s[4:5], -1
                                        ; implicit-def: $sgpr10
	s_and_saveexec_b64 s[8:9], vcc
; %bb.5718:
	s_mov_b32 s10, 0x7f800001
	s_xor_b64 s[4:5], exec, -1
; %bb.5719:
	s_or_b64 exec, exec, s[8:9]
	s_and_b64 s[4:5], s[4:5], exec
                                        ; implicit-def: $vgpr14
	s_or_saveexec_b64 s[6:7], s[6:7]
	v_mov_b32_e32 v16, s10
	s_xor_b64 exec, exec, s[6:7]
	s_cbranch_execnz .LBB1_5720
; %bb.13903:
	s_getpc_b64 s[14:15]
.Lpost_getpc2855:
	s_add_u32 s14, s14, (.LBB1_1622-.Lpost_getpc2855)&4294967295
	s_addc_u32 s15, s15, (.LBB1_1622-.Lpost_getpc2855)>>32
	s_setpc_b64 s[14:15]
.LBB1_5720:
	v_cmp_ne_u16_e32 vcc, 0, v14
	s_andn2_b64 s[4:5], s[4:5], exec
	s_and_b64 s[8:9], vcc, exec
	v_mov_b32_e32 v16, 0
	s_or_b64 s[4:5], s[4:5], s[8:9]
	s_or_b64 exec, exec, s[6:7]
	s_and_saveexec_b64 s[6:7], s[4:5]
	s_cbranch_execz .LBB1_9003
; %bb.13905:
	s_getpc_b64 s[14:15]
.Lpost_getpc2856:
	s_add_u32 s14, s14, (.LBB1_1623-.Lpost_getpc2856)&4294967295
	s_addc_u32 s15, s15, (.LBB1_1623-.Lpost_getpc2856)>>32
	s_setpc_b64 s[14:15]
.LBB1_9003:
	s_getpc_b64 s[14:15]
.Lpost_getpc405:
	s_add_u32 s14, s14, (.LBB1_1624-.Lpost_getpc405)&4294967295
	s_addc_u32 s15, s15, (.LBB1_1624-.Lpost_getpc405)>>32
	s_setpc_b64 s[14:15]
.LBB1_5721:
	s_movk_i32 s4, 0x80
	v_cmp_eq_u16_sdwa s[12:13], v18, s4 src0_sel:BYTE_3 src1_sel:DWORD
	s_mov_b64 s[4:5], -1
                                        ; implicit-def: $sgpr10
	s_and_saveexec_b64 s[8:9], s[12:13]
; %bb.5722:
	s_mov_b32 s10, 0x7f800001
	s_xor_b64 s[4:5], exec, -1
; %bb.5723:
	s_or_b64 exec, exec, s[8:9]
	s_and_b64 s[4:5], s[4:5], exec
	s_or_saveexec_b64 s[6:7], s[6:7]
	v_mov_b32_e32 v13, s10
	s_xor_b64 exec, exec, s[6:7]
	s_cbranch_execnz .LBB1_5724
; %bb.13907:
	s_getpc_b64 s[14:15]
.Lpost_getpc2857:
	s_add_u32 s14, s14, (.LBB1_1626-.Lpost_getpc2857)&4294967295
	s_addc_u32 s15, s15, (.LBB1_1626-.Lpost_getpc2857)>>32
	s_setpc_b64 s[14:15]
.LBB1_5724:
	v_mov_b32_e32 v13, 0
	v_cmp_ne_u16_sdwa s[8:9], v18, v13 src0_sel:BYTE_3 src1_sel:DWORD
	s_andn2_b64 s[4:5], s[4:5], exec
	s_and_b64 s[8:9], s[8:9], exec
	s_or_b64 s[4:5], s[4:5], s[8:9]
	s_or_b64 exec, exec, s[6:7]
	s_and_saveexec_b64 s[6:7], s[4:5]
	s_cbranch_execz .LBB1_9005
; %bb.13909:
	s_getpc_b64 s[14:15]
.Lpost_getpc2858:
	s_add_u32 s14, s14, (.LBB1_1627-.Lpost_getpc2858)&4294967295
	s_addc_u32 s15, s15, (.LBB1_1627-.Lpost_getpc2858)>>32
	s_setpc_b64 s[14:15]
.LBB1_9005:
	s_getpc_b64 s[14:15]
.Lpost_getpc406:
	s_add_u32 s14, s14, (.LBB1_1628-.Lpost_getpc406)&4294967295
	s_addc_u32 s15, s15, (.LBB1_1628-.Lpost_getpc406)>>32
	s_setpc_b64 s[14:15]
.LBB1_5725:
	s_movk_i32 s4, 0x80
	v_cmp_eq_u16_sdwa s[12:13], v12, s4 src0_sel:BYTE_3 src1_sel:DWORD
	s_mov_b64 s[4:5], -1
                                        ; implicit-def: $sgpr10
	s_and_saveexec_b64 s[8:9], s[12:13]
; %bb.5726:
	s_mov_b32 s10, 0x7f800001
	s_xor_b64 s[4:5], exec, -1
; %bb.5727:
	s_or_b64 exec, exec, s[8:9]
	s_and_b64 s[4:5], s[4:5], exec
	s_or_saveexec_b64 s[6:7], s[6:7]
	v_mov_b32_e32 v14, s10
	s_xor_b64 exec, exec, s[6:7]
	s_cbranch_execnz .LBB1_5728
; %bb.13911:
	s_getpc_b64 s[14:15]
.Lpost_getpc2859:
	s_add_u32 s14, s14, (.LBB1_1630-.Lpost_getpc2859)&4294967295
	s_addc_u32 s15, s15, (.LBB1_1630-.Lpost_getpc2859)>>32
	s_setpc_b64 s[14:15]
.LBB1_5728:
	v_mov_b32_e32 v14, 0
	v_cmp_ne_u16_sdwa s[8:9], v12, v14 src0_sel:BYTE_3 src1_sel:DWORD
	s_andn2_b64 s[4:5], s[4:5], exec
	s_and_b64 s[8:9], s[8:9], exec
	s_or_b64 s[4:5], s[4:5], s[8:9]
	s_or_b64 exec, exec, s[6:7]
	s_and_saveexec_b64 s[6:7], s[4:5]
	s_cbranch_execz .LBB1_9007
; %bb.13913:
	s_getpc_b64 s[14:15]
.Lpost_getpc2860:
	s_add_u32 s14, s14, (.LBB1_1631-.Lpost_getpc2860)&4294967295
	s_addc_u32 s15, s15, (.LBB1_1631-.Lpost_getpc2860)>>32
	s_setpc_b64 s[14:15]
.LBB1_9007:
	s_getpc_b64 s[14:15]
.Lpost_getpc407:
	s_add_u32 s14, s14, (.LBB1_1632-.Lpost_getpc407)&4294967295
	s_addc_u32 s15, s15, (.LBB1_1632-.Lpost_getpc407)>>32
	s_setpc_b64 s[14:15]
.LBB1_5729:
	s_movk_i32 s4, 0x80
	v_cmp_eq_u16_sdwa s[12:13], v19, s4 src0_sel:BYTE_0 src1_sel:DWORD
	s_mov_b64 s[4:5], -1
                                        ; implicit-def: $sgpr10
	s_and_saveexec_b64 s[8:9], s[12:13]
; %bb.5730:
	s_mov_b32 s10, 0x7f800001
	s_xor_b64 s[4:5], exec, -1
; %bb.5731:
	s_or_b64 exec, exec, s[8:9]
	s_and_b64 s[4:5], s[4:5], exec
	s_or_saveexec_b64 s[6:7], s[6:7]
	v_mov_b32_e32 v12, s10
	s_xor_b64 exec, exec, s[6:7]
	s_cbranch_execnz .LBB1_5732
; %bb.13915:
	s_getpc_b64 s[14:15]
.Lpost_getpc2861:
	s_add_u32 s14, s14, (.LBB1_1634-.Lpost_getpc2861)&4294967295
	s_addc_u32 s15, s15, (.LBB1_1634-.Lpost_getpc2861)>>32
	s_setpc_b64 s[14:15]
.LBB1_5732:
	v_mov_b32_e32 v12, 0
	v_cmp_ne_u16_sdwa s[8:9], v19, v12 src0_sel:BYTE_0 src1_sel:DWORD
	s_andn2_b64 s[4:5], s[4:5], exec
	s_and_b64 s[8:9], s[8:9], exec
	s_or_b64 s[4:5], s[4:5], s[8:9]
	s_or_b64 exec, exec, s[6:7]
	s_and_saveexec_b64 s[6:7], s[4:5]
	s_cbranch_execz .LBB1_9009
; %bb.13917:
	s_getpc_b64 s[14:15]
.Lpost_getpc2862:
	s_add_u32 s14, s14, (.LBB1_1635-.Lpost_getpc2862)&4294967295
	s_addc_u32 s15, s15, (.LBB1_1635-.Lpost_getpc2862)>>32
	s_setpc_b64 s[14:15]
.LBB1_9009:
	s_getpc_b64 s[14:15]
.Lpost_getpc408:
	s_add_u32 s14, s14, (.LBB1_1636-.Lpost_getpc408)&4294967295
	s_addc_u32 s15, s15, (.LBB1_1636-.Lpost_getpc408)>>32
	s_setpc_b64 s[14:15]
.LBB1_5733:
	s_movk_i32 s4, 0x80
	v_cmp_eq_u16_sdwa s[12:13], v15, s4 src0_sel:BYTE_0 src1_sel:DWORD
	s_mov_b64 s[4:5], -1
                                        ; implicit-def: $sgpr10
	s_and_saveexec_b64 s[8:9], s[12:13]
; %bb.5734:
	s_mov_b32 s10, 0x7f800001
	s_xor_b64 s[4:5], exec, -1
; %bb.5735:
	s_or_b64 exec, exec, s[8:9]
	s_and_b64 s[4:5], s[4:5], exec
	s_or_saveexec_b64 s[6:7], s[6:7]
	v_mov_b32_e32 v13, s10
	s_xor_b64 exec, exec, s[6:7]
	s_cbranch_execnz .LBB1_5736
; %bb.13919:
	s_getpc_b64 s[14:15]
.Lpost_getpc2863:
	s_add_u32 s14, s14, (.LBB1_1638-.Lpost_getpc2863)&4294967295
	s_addc_u32 s15, s15, (.LBB1_1638-.Lpost_getpc2863)>>32
	s_setpc_b64 s[14:15]
.LBB1_5736:
	v_mov_b32_e32 v13, 0
	v_cmp_ne_u16_sdwa s[8:9], v15, v13 src0_sel:BYTE_0 src1_sel:DWORD
	s_andn2_b64 s[4:5], s[4:5], exec
	s_and_b64 s[8:9], s[8:9], exec
	s_or_b64 s[4:5], s[4:5], s[8:9]
	s_or_b64 exec, exec, s[6:7]
	s_and_saveexec_b64 s[6:7], s[4:5]
	s_cbranch_execz .LBB1_9011
; %bb.13921:
	s_getpc_b64 s[14:15]
.Lpost_getpc2864:
	s_add_u32 s14, s14, (.LBB1_1639-.Lpost_getpc2864)&4294967295
	s_addc_u32 s15, s15, (.LBB1_1639-.Lpost_getpc2864)>>32
	s_setpc_b64 s[14:15]
.LBB1_9011:
	s_getpc_b64 s[14:15]
.Lpost_getpc409:
	s_add_u32 s14, s14, (.LBB1_1640-.Lpost_getpc409)&4294967295
	s_addc_u32 s15, s15, (.LBB1_1640-.Lpost_getpc409)>>32
	s_setpc_b64 s[14:15]
.LBB1_5737:
	s_movk_i32 s4, 0x80
	v_cmp_eq_u16_sdwa s[12:13], v13, s4 src0_sel:BYTE_0 src1_sel:DWORD
	s_mov_b64 s[4:5], -1
                                        ; implicit-def: $sgpr10
	s_and_saveexec_b64 s[8:9], s[12:13]
; %bb.5738:
	s_mov_b32 s10, 0x7f800001
	s_xor_b64 s[4:5], exec, -1
; %bb.5739:
	s_or_b64 exec, exec, s[8:9]
	s_and_b64 s[4:5], s[4:5], exec
	s_or_saveexec_b64 s[6:7], s[6:7]
	v_mov_b32_e32 v12, s10
	s_xor_b64 exec, exec, s[6:7]
	s_cbranch_execnz .LBB1_5740
; %bb.13923:
	s_getpc_b64 s[14:15]
.Lpost_getpc2865:
	s_add_u32 s14, s14, (.LBB1_1642-.Lpost_getpc2865)&4294967295
	s_addc_u32 s15, s15, (.LBB1_1642-.Lpost_getpc2865)>>32
	s_setpc_b64 s[14:15]
.LBB1_5740:
	v_mov_b32_e32 v12, 0
	v_cmp_ne_u16_sdwa s[8:9], v13, v12 src0_sel:BYTE_0 src1_sel:DWORD
	s_andn2_b64 s[4:5], s[4:5], exec
	s_and_b64 s[8:9], s[8:9], exec
	s_or_b64 s[4:5], s[4:5], s[8:9]
	s_or_b64 exec, exec, s[6:7]
	s_and_saveexec_b64 s[6:7], s[4:5]
	s_cbranch_execz .LBB1_9013
; %bb.13925:
	s_getpc_b64 s[14:15]
.Lpost_getpc2866:
	s_add_u32 s14, s14, (.LBB1_1643-.Lpost_getpc2866)&4294967295
	s_addc_u32 s15, s15, (.LBB1_1643-.Lpost_getpc2866)>>32
	s_setpc_b64 s[14:15]
.LBB1_9013:
	s_getpc_b64 s[14:15]
.Lpost_getpc410:
	s_add_u32 s14, s14, (.LBB1_1644-.Lpost_getpc410)&4294967295
	s_addc_u32 s15, s15, (.LBB1_1644-.Lpost_getpc410)>>32
	s_setpc_b64 s[14:15]
.LBB1_5741:
	s_movk_i32 s4, 0x80
	v_cmp_eq_u16_sdwa s[12:13], v13, s4 src0_sel:BYTE_0 src1_sel:DWORD
	s_mov_b64 s[4:5], -1
                                        ; implicit-def: $sgpr10
	s_and_saveexec_b64 s[8:9], s[12:13]
; %bb.5742:
	s_mov_b32 s10, 0x7f800001
	s_xor_b64 s[4:5], exec, -1
; %bb.5743:
	s_or_b64 exec, exec, s[8:9]
	s_and_b64 s[4:5], s[4:5], exec
	s_or_saveexec_b64 s[6:7], s[6:7]
	v_mov_b32_e32 v14, s10
	s_xor_b64 exec, exec, s[6:7]
	s_cbranch_execnz .LBB1_5744
; %bb.13927:
	s_getpc_b64 s[14:15]
.Lpost_getpc2867:
	s_add_u32 s14, s14, (.LBB1_1646-.Lpost_getpc2867)&4294967295
	s_addc_u32 s15, s15, (.LBB1_1646-.Lpost_getpc2867)>>32
	s_setpc_b64 s[14:15]
.LBB1_5744:
	v_mov_b32_e32 v14, 0
	v_cmp_ne_u16_sdwa s[8:9], v13, v14 src0_sel:BYTE_0 src1_sel:DWORD
	s_andn2_b64 s[4:5], s[4:5], exec
	s_and_b64 s[8:9], s[8:9], exec
	s_or_b64 s[4:5], s[4:5], s[8:9]
	s_or_b64 exec, exec, s[6:7]
	s_and_saveexec_b64 s[6:7], s[4:5]
	s_cbranch_execz .LBB1_9015
; %bb.13929:
	s_getpc_b64 s[14:15]
.Lpost_getpc2868:
	s_add_u32 s14, s14, (.LBB1_1647-.Lpost_getpc2868)&4294967295
	s_addc_u32 s15, s15, (.LBB1_1647-.Lpost_getpc2868)>>32
	s_setpc_b64 s[14:15]
.LBB1_9015:
	s_getpc_b64 s[14:15]
.Lpost_getpc411:
	s_add_u32 s14, s14, (.LBB1_1648-.Lpost_getpc411)&4294967295
	s_addc_u32 s15, s15, (.LBB1_1648-.Lpost_getpc411)>>32
	s_setpc_b64 s[14:15]
.LBB1_5745:
	s_movk_i32 s4, 0x80
	v_cmp_eq_u16_e32 vcc, s4, v13
	s_mov_b64 s[4:5], -1
                                        ; implicit-def: $sgpr10
	s_and_saveexec_b64 s[8:9], vcc
; %bb.5746:
	s_mov_b32 s10, 0x7f800001
	s_xor_b64 s[4:5], exec, -1
; %bb.5747:
	s_or_b64 exec, exec, s[8:9]
	s_and_b64 s[4:5], s[4:5], exec
                                        ; implicit-def: $vgpr13
	s_or_saveexec_b64 s[6:7], s[6:7]
	v_mov_b32_e32 v12, s10
	s_xor_b64 exec, exec, s[6:7]
	s_cbranch_execnz .LBB1_5748
; %bb.13931:
	s_getpc_b64 s[14:15]
.Lpost_getpc2869:
	s_add_u32 s14, s14, (.LBB1_1650-.Lpost_getpc2869)&4294967295
	s_addc_u32 s15, s15, (.LBB1_1650-.Lpost_getpc2869)>>32
	s_setpc_b64 s[14:15]
.LBB1_5748:
	v_cmp_ne_u16_e32 vcc, 0, v13
	s_andn2_b64 s[4:5], s[4:5], exec
	s_and_b64 s[8:9], vcc, exec
	v_mov_b32_e32 v12, 0
	s_or_b64 s[4:5], s[4:5], s[8:9]
	s_or_b64 exec, exec, s[6:7]
	s_and_saveexec_b64 s[6:7], s[4:5]
	s_cbranch_execz .LBB1_9017
; %bb.13933:
	s_getpc_b64 s[14:15]
.Lpost_getpc2870:
	s_add_u32 s14, s14, (.LBB1_1651-.Lpost_getpc2870)&4294967295
	s_addc_u32 s15, s15, (.LBB1_1651-.Lpost_getpc2870)>>32
	s_setpc_b64 s[14:15]
.LBB1_9017:
	s_getpc_b64 s[14:15]
.Lpost_getpc412:
	s_add_u32 s14, s14, (.LBB1_1652-.Lpost_getpc412)&4294967295
	s_addc_u32 s15, s15, (.LBB1_1652-.Lpost_getpc412)>>32
	s_setpc_b64 s[14:15]
.LBB1_5749:
	s_movk_i32 s4, 0x80
	v_cmp_eq_u16_e32 vcc, s4, v13
	s_mov_b64 s[4:5], -1
                                        ; implicit-def: $sgpr10
	s_and_saveexec_b64 s[8:9], vcc
; %bb.5750:
	s_mov_b32 s10, 0x7f800001
	s_xor_b64 s[4:5], exec, -1
; %bb.5751:
	s_or_b64 exec, exec, s[8:9]
	s_and_b64 s[4:5], s[4:5], exec
                                        ; implicit-def: $vgpr13
	s_or_saveexec_b64 s[6:7], s[6:7]
	v_mov_b32_e32 v14, s10
	s_xor_b64 exec, exec, s[6:7]
	s_cbranch_execnz .LBB1_5752
; %bb.13935:
	s_getpc_b64 s[14:15]
.Lpost_getpc2871:
	s_add_u32 s14, s14, (.LBB1_1654-.Lpost_getpc2871)&4294967295
	s_addc_u32 s15, s15, (.LBB1_1654-.Lpost_getpc2871)>>32
	s_setpc_b64 s[14:15]
.LBB1_5752:
	v_cmp_ne_u16_e32 vcc, 0, v13
	s_andn2_b64 s[4:5], s[4:5], exec
	s_and_b64 s[8:9], vcc, exec
	v_mov_b32_e32 v14, 0
	s_or_b64 s[4:5], s[4:5], s[8:9]
	s_or_b64 exec, exec, s[6:7]
	s_and_saveexec_b64 s[6:7], s[4:5]
	s_cbranch_execz .LBB1_9019
; %bb.13937:
	s_getpc_b64 s[14:15]
.Lpost_getpc2872:
	s_add_u32 s14, s14, (.LBB1_1655-.Lpost_getpc2872)&4294967295
	s_addc_u32 s15, s15, (.LBB1_1655-.Lpost_getpc2872)>>32
	s_setpc_b64 s[14:15]
.LBB1_9019:
	s_getpc_b64 s[14:15]
.Lpost_getpc413:
	s_add_u32 s14, s14, (.LBB1_1656-.Lpost_getpc413)&4294967295
	s_addc_u32 s15, s15, (.LBB1_1656-.Lpost_getpc413)>>32
	s_setpc_b64 s[14:15]
.LBB1_5753:
	s_movk_i32 s4, 0x80
	v_cmp_eq_u16_sdwa s[12:13], v19, s4 src0_sel:BYTE_3 src1_sel:DWORD
	s_mov_b64 s[4:5], -1
                                        ; implicit-def: $sgpr10
	s_and_saveexec_b64 s[8:9], s[12:13]
; %bb.5754:
	s_mov_b32 s10, 0x7f800001
	s_xor_b64 s[4:5], exec, -1
; %bb.5755:
	s_or_b64 exec, exec, s[8:9]
	s_and_b64 s[4:5], s[4:5], exec
	s_or_saveexec_b64 s[6:7], s[6:7]
	v_mov_b32_e32 v12, s10
	s_xor_b64 exec, exec, s[6:7]
	s_cbranch_execnz .LBB1_5756
; %bb.13939:
	s_getpc_b64 s[14:15]
.Lpost_getpc2873:
	s_add_u32 s14, s14, (.LBB1_1658-.Lpost_getpc2873)&4294967295
	s_addc_u32 s15, s15, (.LBB1_1658-.Lpost_getpc2873)>>32
	s_setpc_b64 s[14:15]
.LBB1_5756:
	v_mov_b32_e32 v12, 0
	v_cmp_ne_u16_sdwa s[8:9], v19, v12 src0_sel:BYTE_3 src1_sel:DWORD
	s_andn2_b64 s[4:5], s[4:5], exec
	s_and_b64 s[8:9], s[8:9], exec
	s_or_b64 s[4:5], s[4:5], s[8:9]
	s_or_b64 exec, exec, s[6:7]
	s_and_saveexec_b64 s[6:7], s[4:5]
	s_cbranch_execz .LBB1_9021
; %bb.13941:
	s_getpc_b64 s[14:15]
.Lpost_getpc2874:
	s_add_u32 s14, s14, (.LBB1_1659-.Lpost_getpc2874)&4294967295
	s_addc_u32 s15, s15, (.LBB1_1659-.Lpost_getpc2874)>>32
	s_setpc_b64 s[14:15]
.LBB1_9021:
	s_getpc_b64 s[14:15]
.Lpost_getpc414:
	s_add_u32 s14, s14, (.LBB1_1660-.Lpost_getpc414)&4294967295
	s_addc_u32 s15, s15, (.LBB1_1660-.Lpost_getpc414)>>32
	s_setpc_b64 s[14:15]
.LBB1_5757:
	s_movk_i32 s4, 0x80
	v_cmp_eq_u16_sdwa s[12:13], v15, s4 src0_sel:BYTE_3 src1_sel:DWORD
	s_mov_b64 s[4:5], -1
                                        ; implicit-def: $sgpr10
	s_and_saveexec_b64 s[8:9], s[12:13]
; %bb.5758:
	s_mov_b32 s10, 0x7f800001
	s_xor_b64 s[4:5], exec, -1
; %bb.5759:
	s_or_b64 exec, exec, s[8:9]
	s_and_b64 s[4:5], s[4:5], exec
	s_or_saveexec_b64 s[6:7], s[6:7]
	v_mov_b32_e32 v13, s10
	s_xor_b64 exec, exec, s[6:7]
	s_cbranch_execnz .LBB1_5760
; %bb.13943:
	s_getpc_b64 s[14:15]
.Lpost_getpc2875:
	s_add_u32 s14, s14, (.LBB1_1662-.Lpost_getpc2875)&4294967295
	s_addc_u32 s15, s15, (.LBB1_1662-.Lpost_getpc2875)>>32
	s_setpc_b64 s[14:15]
.LBB1_5760:
	v_mov_b32_e32 v13, 0
	v_cmp_ne_u16_sdwa s[8:9], v15, v13 src0_sel:BYTE_3 src1_sel:DWORD
	s_andn2_b64 s[4:5], s[4:5], exec
	s_and_b64 s[8:9], s[8:9], exec
	s_or_b64 s[4:5], s[4:5], s[8:9]
	s_or_b64 exec, exec, s[6:7]
	s_and_saveexec_b64 s[6:7], s[4:5]
	s_cbranch_execz .LBB1_9023
; %bb.13945:
	s_getpc_b64 s[14:15]
.Lpost_getpc2876:
	s_add_u32 s14, s14, (.LBB1_1663-.Lpost_getpc2876)&4294967295
	s_addc_u32 s15, s15, (.LBB1_1663-.Lpost_getpc2876)>>32
	s_setpc_b64 s[14:15]
.LBB1_9023:
	s_getpc_b64 s[14:15]
.Lpost_getpc415:
	s_add_u32 s14, s14, (.LBB1_1664-.Lpost_getpc415)&4294967295
	s_addc_u32 s15, s15, (.LBB1_1664-.Lpost_getpc415)>>32
	s_setpc_b64 s[14:15]
.LBB1_5761:
	s_movk_i32 s4, 0x80
	v_cmp_eq_u16_sdwa s[12:13], v16, s4 src0_sel:BYTE_0 src1_sel:DWORD
	s_mov_b64 s[4:5], -1
                                        ; implicit-def: $sgpr10
	s_and_saveexec_b64 s[8:9], s[12:13]
; %bb.5762:
	s_mov_b32 s10, 0x7f800001
	s_xor_b64 s[4:5], exec, -1
; %bb.5763:
	s_or_b64 exec, exec, s[8:9]
	s_and_b64 s[4:5], s[4:5], exec
	s_or_saveexec_b64 s[6:7], s[6:7]
	v_mov_b32_e32 v21, s10
	s_xor_b64 exec, exec, s[6:7]
	s_cbranch_execnz .LBB1_5764
; %bb.13947:
	s_getpc_b64 s[14:15]
.Lpost_getpc2877:
	s_add_u32 s14, s14, (.LBB1_1666-.Lpost_getpc2877)&4294967295
	s_addc_u32 s15, s15, (.LBB1_1666-.Lpost_getpc2877)>>32
	s_setpc_b64 s[14:15]
.LBB1_5764:
	v_mov_b32_e32 v21, 0
	v_cmp_ne_u16_sdwa s[8:9], v16, v21 src0_sel:BYTE_0 src1_sel:DWORD
	s_andn2_b64 s[4:5], s[4:5], exec
	s_and_b64 s[8:9], s[8:9], exec
	s_or_b64 s[4:5], s[4:5], s[8:9]
	s_or_b64 exec, exec, s[6:7]
	s_and_saveexec_b64 s[6:7], s[4:5]
	s_cbranch_execz .LBB1_9025
; %bb.13949:
	s_getpc_b64 s[14:15]
.Lpost_getpc2878:
	s_add_u32 s14, s14, (.LBB1_1667-.Lpost_getpc2878)&4294967295
	s_addc_u32 s15, s15, (.LBB1_1667-.Lpost_getpc2878)>>32
	s_setpc_b64 s[14:15]
.LBB1_9025:
	s_getpc_b64 s[14:15]
.Lpost_getpc416:
	s_add_u32 s14, s14, (.LBB1_1668-.Lpost_getpc416)&4294967295
	s_addc_u32 s15, s15, (.LBB1_1668-.Lpost_getpc416)>>32
	s_setpc_b64 s[14:15]
.LBB1_5765:
	s_movk_i32 s4, 0x80
	v_cmp_eq_u16_sdwa s[12:13], v12, s4 src0_sel:BYTE_0 src1_sel:DWORD
	s_mov_b64 s[4:5], -1
                                        ; implicit-def: $sgpr10
	s_and_saveexec_b64 s[8:9], s[12:13]
; %bb.5766:
	s_mov_b32 s10, 0x7f800001
	s_xor_b64 s[4:5], exec, -1
; %bb.5767:
	s_or_b64 exec, exec, s[8:9]
	s_and_b64 s[4:5], s[4:5], exec
	s_or_saveexec_b64 s[6:7], s[6:7]
	v_mov_b32_e32 v22, s10
	s_xor_b64 exec, exec, s[6:7]
	s_cbranch_execnz .LBB1_5768
; %bb.13951:
	s_getpc_b64 s[14:15]
.Lpost_getpc2879:
	s_add_u32 s14, s14, (.LBB1_1670-.Lpost_getpc2879)&4294967295
	s_addc_u32 s15, s15, (.LBB1_1670-.Lpost_getpc2879)>>32
	s_setpc_b64 s[14:15]
.LBB1_5768:
	v_mov_b32_e32 v22, 0
	v_cmp_ne_u16_sdwa s[8:9], v12, v22 src0_sel:BYTE_0 src1_sel:DWORD
	s_andn2_b64 s[4:5], s[4:5], exec
	s_and_b64 s[8:9], s[8:9], exec
	s_or_b64 s[4:5], s[4:5], s[8:9]
	s_or_b64 exec, exec, s[6:7]
	s_and_saveexec_b64 s[6:7], s[4:5]
	s_cbranch_execz .LBB1_9027
; %bb.13953:
	s_getpc_b64 s[14:15]
.Lpost_getpc2880:
	s_add_u32 s14, s14, (.LBB1_1671-.Lpost_getpc2880)&4294967295
	s_addc_u32 s15, s15, (.LBB1_1671-.Lpost_getpc2880)>>32
	s_setpc_b64 s[14:15]
.LBB1_9027:
	s_getpc_b64 s[14:15]
.Lpost_getpc417:
	s_add_u32 s14, s14, (.LBB1_1672-.Lpost_getpc417)&4294967295
	s_addc_u32 s15, s15, (.LBB1_1672-.Lpost_getpc417)>>32
	s_setpc_b64 s[14:15]
.LBB1_5769:
	s_movk_i32 s4, 0x80
	v_cmp_eq_u16_sdwa s[12:13], v22, s4 src0_sel:BYTE_0 src1_sel:DWORD
	s_mov_b64 s[4:5], -1
                                        ; implicit-def: $sgpr10
	s_and_saveexec_b64 s[8:9], s[12:13]
; %bb.5770:
	s_mov_b32 s10, 0x7f800001
	s_xor_b64 s[4:5], exec, -1
; %bb.5771:
	s_or_b64 exec, exec, s[8:9]
	s_and_b64 s[4:5], s[4:5], exec
	s_or_saveexec_b64 s[6:7], s[6:7]
	v_mov_b32_e32 v21, s10
	s_xor_b64 exec, exec, s[6:7]
	s_cbranch_execnz .LBB1_5772
; %bb.13955:
	s_getpc_b64 s[14:15]
.Lpost_getpc2881:
	s_add_u32 s14, s14, (.LBB1_1674-.Lpost_getpc2881)&4294967295
	s_addc_u32 s15, s15, (.LBB1_1674-.Lpost_getpc2881)>>32
	s_setpc_b64 s[14:15]
.LBB1_5772:
	v_mov_b32_e32 v21, 0
	v_cmp_ne_u16_sdwa s[8:9], v22, v21 src0_sel:BYTE_0 src1_sel:DWORD
	s_andn2_b64 s[4:5], s[4:5], exec
	s_and_b64 s[8:9], s[8:9], exec
	s_or_b64 s[4:5], s[4:5], s[8:9]
	s_or_b64 exec, exec, s[6:7]
	s_and_saveexec_b64 s[6:7], s[4:5]
	s_cbranch_execz .LBB1_9029
; %bb.13957:
	s_getpc_b64 s[14:15]
.Lpost_getpc2882:
	s_add_u32 s14, s14, (.LBB1_1675-.Lpost_getpc2882)&4294967295
	s_addc_u32 s15, s15, (.LBB1_1675-.Lpost_getpc2882)>>32
	s_setpc_b64 s[14:15]
.LBB1_9029:
	s_getpc_b64 s[14:15]
.Lpost_getpc418:
	s_add_u32 s14, s14, (.LBB1_1676-.Lpost_getpc418)&4294967295
	s_addc_u32 s15, s15, (.LBB1_1676-.Lpost_getpc418)>>32
	s_setpc_b64 s[14:15]
.LBB1_5773:
	s_movk_i32 s4, 0x80
	v_cmp_eq_u16_sdwa s[12:13], v22, s4 src0_sel:BYTE_0 src1_sel:DWORD
	s_mov_b64 s[4:5], -1
                                        ; implicit-def: $sgpr10
	s_and_saveexec_b64 s[8:9], s[12:13]
; %bb.5774:
	s_mov_b32 s10, 0x7f800001
	s_xor_b64 s[4:5], exec, -1
; %bb.5775:
	s_or_b64 exec, exec, s[8:9]
	s_and_b64 s[4:5], s[4:5], exec
	s_or_saveexec_b64 s[6:7], s[6:7]
	v_mov_b32_e32 v23, s10
	s_xor_b64 exec, exec, s[6:7]
	s_cbranch_execnz .LBB1_5776
; %bb.13959:
	s_getpc_b64 s[14:15]
.Lpost_getpc2883:
	s_add_u32 s14, s14, (.LBB1_1678-.Lpost_getpc2883)&4294967295
	s_addc_u32 s15, s15, (.LBB1_1678-.Lpost_getpc2883)>>32
	s_setpc_b64 s[14:15]
.LBB1_5776:
	v_mov_b32_e32 v23, 0
	v_cmp_ne_u16_sdwa s[8:9], v22, v23 src0_sel:BYTE_0 src1_sel:DWORD
	s_andn2_b64 s[4:5], s[4:5], exec
	s_and_b64 s[8:9], s[8:9], exec
	s_or_b64 s[4:5], s[4:5], s[8:9]
	s_or_b64 exec, exec, s[6:7]
	s_and_saveexec_b64 s[6:7], s[4:5]
	s_cbranch_execz .LBB1_9031
; %bb.13961:
	s_getpc_b64 s[14:15]
.Lpost_getpc2884:
	s_add_u32 s14, s14, (.LBB1_1679-.Lpost_getpc2884)&4294967295
	s_addc_u32 s15, s15, (.LBB1_1679-.Lpost_getpc2884)>>32
	s_setpc_b64 s[14:15]
.LBB1_9031:
	s_getpc_b64 s[14:15]
.Lpost_getpc419:
	s_add_u32 s14, s14, (.LBB1_1680-.Lpost_getpc419)&4294967295
	s_addc_u32 s15, s15, (.LBB1_1680-.Lpost_getpc419)>>32
	s_setpc_b64 s[14:15]
.LBB1_5777:
	s_movk_i32 s4, 0x80
	v_cmp_eq_u16_e32 vcc, s4, v22
	s_mov_b64 s[4:5], -1
                                        ; implicit-def: $sgpr10
	s_and_saveexec_b64 s[8:9], vcc
; %bb.5778:
	s_mov_b32 s10, 0x7f800001
	s_xor_b64 s[4:5], exec, -1
; %bb.5779:
	s_or_b64 exec, exec, s[8:9]
	s_and_b64 s[4:5], s[4:5], exec
                                        ; implicit-def: $vgpr22
	s_or_saveexec_b64 s[6:7], s[6:7]
	v_mov_b32_e32 v21, s10
	s_xor_b64 exec, exec, s[6:7]
	s_cbranch_execnz .LBB1_5780
; %bb.13963:
	s_getpc_b64 s[14:15]
.Lpost_getpc2885:
	s_add_u32 s14, s14, (.LBB1_1682-.Lpost_getpc2885)&4294967295
	s_addc_u32 s15, s15, (.LBB1_1682-.Lpost_getpc2885)>>32
	s_setpc_b64 s[14:15]
.LBB1_5780:
	v_cmp_ne_u16_e32 vcc, 0, v22
	s_andn2_b64 s[4:5], s[4:5], exec
	s_and_b64 s[8:9], vcc, exec
	v_mov_b32_e32 v21, 0
	s_or_b64 s[4:5], s[4:5], s[8:9]
	s_or_b64 exec, exec, s[6:7]
	s_and_saveexec_b64 s[6:7], s[4:5]
	s_cbranch_execz .LBB1_9033
; %bb.13965:
	s_getpc_b64 s[14:15]
.Lpost_getpc2886:
	s_add_u32 s14, s14, (.LBB1_1683-.Lpost_getpc2886)&4294967295
	s_addc_u32 s15, s15, (.LBB1_1683-.Lpost_getpc2886)>>32
	s_setpc_b64 s[14:15]
.LBB1_9033:
	s_getpc_b64 s[14:15]
.Lpost_getpc420:
	s_add_u32 s14, s14, (.LBB1_1684-.Lpost_getpc420)&4294967295
	s_addc_u32 s15, s15, (.LBB1_1684-.Lpost_getpc420)>>32
	s_setpc_b64 s[14:15]
.LBB1_5781:
	s_movk_i32 s4, 0x80
	v_cmp_eq_u16_e32 vcc, s4, v22
	s_mov_b64 s[4:5], -1
                                        ; implicit-def: $sgpr10
	s_and_saveexec_b64 s[8:9], vcc
; %bb.5782:
	s_mov_b32 s10, 0x7f800001
	s_xor_b64 s[4:5], exec, -1
; %bb.5783:
	s_or_b64 exec, exec, s[8:9]
	s_and_b64 s[4:5], s[4:5], exec
                                        ; implicit-def: $vgpr22
	s_or_saveexec_b64 s[6:7], s[6:7]
	v_mov_b32_e32 v23, s10
	s_xor_b64 exec, exec, s[6:7]
	s_cbranch_execnz .LBB1_5784
; %bb.13967:
	s_getpc_b64 s[14:15]
.Lpost_getpc2887:
	s_add_u32 s14, s14, (.LBB1_1686-.Lpost_getpc2887)&4294967295
	s_addc_u32 s15, s15, (.LBB1_1686-.Lpost_getpc2887)>>32
	s_setpc_b64 s[14:15]
.LBB1_5784:
	v_cmp_ne_u16_e32 vcc, 0, v22
	s_andn2_b64 s[4:5], s[4:5], exec
	s_and_b64 s[8:9], vcc, exec
	v_mov_b32_e32 v23, 0
	s_or_b64 s[4:5], s[4:5], s[8:9]
	s_or_b64 exec, exec, s[6:7]
	s_and_saveexec_b64 s[6:7], s[4:5]
	s_cbranch_execz .LBB1_9035
; %bb.13969:
	s_getpc_b64 s[14:15]
.Lpost_getpc2888:
	s_add_u32 s14, s14, (.LBB1_1687-.Lpost_getpc2888)&4294967295
	s_addc_u32 s15, s15, (.LBB1_1687-.Lpost_getpc2888)>>32
	s_setpc_b64 s[14:15]
.LBB1_9035:
	s_getpc_b64 s[14:15]
.Lpost_getpc421:
	s_add_u32 s14, s14, (.LBB1_1688-.Lpost_getpc421)&4294967295
	s_addc_u32 s15, s15, (.LBB1_1688-.Lpost_getpc421)>>32
	s_setpc_b64 s[14:15]
.LBB1_5785:
	s_movk_i32 s4, 0x80
	v_cmp_eq_u16_sdwa s[12:13], v16, s4 src0_sel:BYTE_3 src1_sel:DWORD
	s_mov_b64 s[4:5], -1
                                        ; implicit-def: $sgpr10
	s_and_saveexec_b64 s[8:9], s[12:13]
; %bb.5786:
	s_mov_b32 s10, 0x7f800001
	s_xor_b64 s[4:5], exec, -1
; %bb.5787:
	s_or_b64 exec, exec, s[8:9]
	s_and_b64 s[4:5], s[4:5], exec
	s_or_saveexec_b64 s[6:7], s[6:7]
	v_mov_b32_e32 v21, s10
	s_xor_b64 exec, exec, s[6:7]
	s_cbranch_execnz .LBB1_5788
; %bb.13971:
	s_getpc_b64 s[14:15]
.Lpost_getpc2889:
	s_add_u32 s14, s14, (.LBB1_1690-.Lpost_getpc2889)&4294967295
	s_addc_u32 s15, s15, (.LBB1_1690-.Lpost_getpc2889)>>32
	s_setpc_b64 s[14:15]
.LBB1_5788:
	v_mov_b32_e32 v21, 0
	v_cmp_ne_u16_sdwa s[8:9], v16, v21 src0_sel:BYTE_3 src1_sel:DWORD
	s_andn2_b64 s[4:5], s[4:5], exec
	s_and_b64 s[8:9], s[8:9], exec
	s_or_b64 s[4:5], s[4:5], s[8:9]
	s_or_b64 exec, exec, s[6:7]
	s_and_saveexec_b64 s[6:7], s[4:5]
	s_cbranch_execz .LBB1_9037
; %bb.13973:
	s_getpc_b64 s[14:15]
.Lpost_getpc2890:
	s_add_u32 s14, s14, (.LBB1_1691-.Lpost_getpc2890)&4294967295
	s_addc_u32 s15, s15, (.LBB1_1691-.Lpost_getpc2890)>>32
	s_setpc_b64 s[14:15]
.LBB1_9037:
	s_getpc_b64 s[14:15]
.Lpost_getpc422:
	s_add_u32 s14, s14, (.LBB1_1692-.Lpost_getpc422)&4294967295
	s_addc_u32 s15, s15, (.LBB1_1692-.Lpost_getpc422)>>32
	s_setpc_b64 s[14:15]
.LBB1_5789:
	s_movk_i32 s4, 0x80
	v_cmp_eq_u16_sdwa s[12:13], v12, s4 src0_sel:BYTE_3 src1_sel:DWORD
	s_mov_b64 s[4:5], -1
                                        ; implicit-def: $sgpr10
	s_and_saveexec_b64 s[8:9], s[12:13]
; %bb.5790:
	s_mov_b32 s10, 0x7f800001
	s_xor_b64 s[4:5], exec, -1
; %bb.5791:
	s_or_b64 exec, exec, s[8:9]
	s_and_b64 s[4:5], s[4:5], exec
	s_or_saveexec_b64 s[6:7], s[6:7]
	v_mov_b32_e32 v16, s10
	s_xor_b64 exec, exec, s[6:7]
	s_cbranch_execnz .LBB1_5792
; %bb.13975:
	s_getpc_b64 s[14:15]
.Lpost_getpc2891:
	s_add_u32 s14, s14, (.LBB1_1694-.Lpost_getpc2891)&4294967295
	s_addc_u32 s15, s15, (.LBB1_1694-.Lpost_getpc2891)>>32
	s_setpc_b64 s[14:15]
.LBB1_5792:
	v_mov_b32_e32 v16, 0
	v_cmp_ne_u16_sdwa s[8:9], v12, v16 src0_sel:BYTE_3 src1_sel:DWORD
	s_andn2_b64 s[4:5], s[4:5], exec
	s_and_b64 s[8:9], s[8:9], exec
	s_or_b64 s[4:5], s[4:5], s[8:9]
	s_or_b64 exec, exec, s[6:7]
	s_and_saveexec_b64 s[6:7], s[4:5]
	s_cbranch_execz .LBB1_9039
; %bb.13977:
	s_getpc_b64 s[14:15]
.Lpost_getpc2892:
	s_add_u32 s14, s14, (.LBB1_1695-.Lpost_getpc2892)&4294967295
	s_addc_u32 s15, s15, (.LBB1_1695-.Lpost_getpc2892)>>32
	s_setpc_b64 s[14:15]
.LBB1_9039:
	s_getpc_b64 s[14:15]
.Lpost_getpc423:
	s_add_u32 s14, s14, (.LBB1_1696-.Lpost_getpc423)&4294967295
	s_addc_u32 s15, s15, (.LBB1_1696-.Lpost_getpc423)>>32
	s_setpc_b64 s[14:15]
.LBB1_5793:
	s_movk_i32 s4, 0x80
	v_cmp_eq_u16_sdwa s[12:13], v17, s4 src0_sel:BYTE_0 src1_sel:DWORD
	s_mov_b64 s[4:5], -1
                                        ; implicit-def: $sgpr10
	s_and_saveexec_b64 s[8:9], s[12:13]
; %bb.5794:
	s_mov_b32 s10, 0x7f800001
	s_xor_b64 s[4:5], exec, -1
; %bb.5795:
	s_or_b64 exec, exec, s[8:9]
	s_and_b64 s[4:5], s[4:5], exec
	s_or_saveexec_b64 s[6:7], s[6:7]
	v_mov_b32_e32 v12, s10
	s_xor_b64 exec, exec, s[6:7]
	s_cbranch_execnz .LBB1_5796
; %bb.13979:
	s_getpc_b64 s[14:15]
.Lpost_getpc2893:
	s_add_u32 s14, s14, (.LBB1_1698-.Lpost_getpc2893)&4294967295
	s_addc_u32 s15, s15, (.LBB1_1698-.Lpost_getpc2893)>>32
	s_setpc_b64 s[14:15]
.LBB1_5796:
	v_mov_b32_e32 v12, 0
	v_cmp_ne_u16_sdwa s[8:9], v17, v12 src0_sel:BYTE_0 src1_sel:DWORD
	s_andn2_b64 s[4:5], s[4:5], exec
	s_and_b64 s[8:9], s[8:9], exec
	s_or_b64 s[4:5], s[4:5], s[8:9]
	s_or_b64 exec, exec, s[6:7]
	s_and_saveexec_b64 s[6:7], s[4:5]
	s_cbranch_execz .LBB1_9041
; %bb.13981:
	s_getpc_b64 s[14:15]
.Lpost_getpc2894:
	s_add_u32 s14, s14, (.LBB1_1699-.Lpost_getpc2894)&4294967295
	s_addc_u32 s15, s15, (.LBB1_1699-.Lpost_getpc2894)>>32
	s_setpc_b64 s[14:15]
.LBB1_9041:
	s_getpc_b64 s[14:15]
.Lpost_getpc424:
	s_add_u32 s14, s14, (.LBB1_1700-.Lpost_getpc424)&4294967295
	s_addc_u32 s15, s15, (.LBB1_1700-.Lpost_getpc424)>>32
	s_setpc_b64 s[14:15]
.LBB1_5797:
	s_movk_i32 s4, 0x80
	v_cmp_eq_u16_sdwa s[12:13], v13, s4 src0_sel:BYTE_0 src1_sel:DWORD
	s_mov_b64 s[4:5], -1
                                        ; implicit-def: $sgpr10
	s_and_saveexec_b64 s[8:9], s[12:13]
; %bb.5798:
	s_mov_b32 s10, 0x7f800001
	s_xor_b64 s[4:5], exec, -1
; %bb.5799:
	s_or_b64 exec, exec, s[8:9]
	s_and_b64 s[4:5], s[4:5], exec
	s_or_saveexec_b64 s[6:7], s[6:7]
	v_mov_b32_e32 v16, s10
	s_xor_b64 exec, exec, s[6:7]
	s_cbranch_execnz .LBB1_5800
; %bb.13983:
	s_getpc_b64 s[14:15]
.Lpost_getpc2895:
	s_add_u32 s14, s14, (.LBB1_1702-.Lpost_getpc2895)&4294967295
	s_addc_u32 s15, s15, (.LBB1_1702-.Lpost_getpc2895)>>32
	s_setpc_b64 s[14:15]
.LBB1_5800:
	v_mov_b32_e32 v16, 0
	v_cmp_ne_u16_sdwa s[8:9], v13, v16 src0_sel:BYTE_0 src1_sel:DWORD
	s_andn2_b64 s[4:5], s[4:5], exec
	s_and_b64 s[8:9], s[8:9], exec
	s_or_b64 s[4:5], s[4:5], s[8:9]
	s_or_b64 exec, exec, s[6:7]
	s_and_saveexec_b64 s[6:7], s[4:5]
	s_cbranch_execz .LBB1_9043
; %bb.13985:
	s_getpc_b64 s[14:15]
.Lpost_getpc2896:
	s_add_u32 s14, s14, (.LBB1_1703-.Lpost_getpc2896)&4294967295
	s_addc_u32 s15, s15, (.LBB1_1703-.Lpost_getpc2896)>>32
	s_setpc_b64 s[14:15]
.LBB1_9043:
	s_getpc_b64 s[14:15]
.Lpost_getpc425:
	s_add_u32 s14, s14, (.LBB1_1704-.Lpost_getpc425)&4294967295
	s_addc_u32 s15, s15, (.LBB1_1704-.Lpost_getpc425)>>32
	s_setpc_b64 s[14:15]
.LBB1_5801:
	s_movk_i32 s4, 0x80
	v_cmp_eq_u16_sdwa s[12:13], v16, s4 src0_sel:BYTE_0 src1_sel:DWORD
	s_mov_b64 s[4:5], -1
                                        ; implicit-def: $sgpr10
	s_and_saveexec_b64 s[8:9], s[12:13]
; %bb.5802:
	s_mov_b32 s10, 0x7f800001
	s_xor_b64 s[4:5], exec, -1
; %bb.5803:
	s_or_b64 exec, exec, s[8:9]
	s_and_b64 s[4:5], s[4:5], exec
	s_or_saveexec_b64 s[6:7], s[6:7]
	v_mov_b32_e32 v12, s10
	s_xor_b64 exec, exec, s[6:7]
	s_cbranch_execnz .LBB1_5804
; %bb.13987:
	s_getpc_b64 s[14:15]
.Lpost_getpc2897:
	s_add_u32 s14, s14, (.LBB1_1706-.Lpost_getpc2897)&4294967295
	s_addc_u32 s15, s15, (.LBB1_1706-.Lpost_getpc2897)>>32
	s_setpc_b64 s[14:15]
.LBB1_5804:
	v_mov_b32_e32 v12, 0
	v_cmp_ne_u16_sdwa s[8:9], v16, v12 src0_sel:BYTE_0 src1_sel:DWORD
	s_andn2_b64 s[4:5], s[4:5], exec
	s_and_b64 s[8:9], s[8:9], exec
	s_or_b64 s[4:5], s[4:5], s[8:9]
	s_or_b64 exec, exec, s[6:7]
	s_and_saveexec_b64 s[6:7], s[4:5]
	s_cbranch_execz .LBB1_9045
; %bb.13989:
	s_getpc_b64 s[14:15]
.Lpost_getpc2898:
	s_add_u32 s14, s14, (.LBB1_1707-.Lpost_getpc2898)&4294967295
	s_addc_u32 s15, s15, (.LBB1_1707-.Lpost_getpc2898)>>32
	s_setpc_b64 s[14:15]
.LBB1_9045:
	s_getpc_b64 s[14:15]
.Lpost_getpc426:
	s_add_u32 s14, s14, (.LBB1_1708-.Lpost_getpc426)&4294967295
	s_addc_u32 s15, s15, (.LBB1_1708-.Lpost_getpc426)>>32
	s_setpc_b64 s[14:15]
.LBB1_5805:
	s_movk_i32 s4, 0x80
	v_cmp_eq_u16_sdwa s[12:13], v16, s4 src0_sel:BYTE_0 src1_sel:DWORD
	s_mov_b64 s[4:5], -1
                                        ; implicit-def: $sgpr10
	s_and_saveexec_b64 s[8:9], s[12:13]
; %bb.5806:
	s_mov_b32 s10, 0x7f800001
	s_xor_b64 s[4:5], exec, -1
; %bb.5807:
	s_or_b64 exec, exec, s[8:9]
	s_and_b64 s[4:5], s[4:5], exec
	s_or_saveexec_b64 s[6:7], s[6:7]
	v_mov_b32_e32 v21, s10
	s_xor_b64 exec, exec, s[6:7]
	s_cbranch_execnz .LBB1_5808
; %bb.13991:
	s_getpc_b64 s[14:15]
.Lpost_getpc2899:
	s_add_u32 s14, s14, (.LBB1_1710-.Lpost_getpc2899)&4294967295
	s_addc_u32 s15, s15, (.LBB1_1710-.Lpost_getpc2899)>>32
	s_setpc_b64 s[14:15]
.LBB1_5808:
	v_mov_b32_e32 v21, 0
	v_cmp_ne_u16_sdwa s[8:9], v16, v21 src0_sel:BYTE_0 src1_sel:DWORD
	s_andn2_b64 s[4:5], s[4:5], exec
	s_and_b64 s[8:9], s[8:9], exec
	s_or_b64 s[4:5], s[4:5], s[8:9]
	s_or_b64 exec, exec, s[6:7]
	s_and_saveexec_b64 s[6:7], s[4:5]
	s_cbranch_execz .LBB1_9047
; %bb.13993:
	s_getpc_b64 s[14:15]
.Lpost_getpc2900:
	s_add_u32 s14, s14, (.LBB1_1711-.Lpost_getpc2900)&4294967295
	s_addc_u32 s15, s15, (.LBB1_1711-.Lpost_getpc2900)>>32
	s_setpc_b64 s[14:15]
.LBB1_9047:
	s_getpc_b64 s[14:15]
.Lpost_getpc427:
	s_add_u32 s14, s14, (.LBB1_1712-.Lpost_getpc427)&4294967295
	s_addc_u32 s15, s15, (.LBB1_1712-.Lpost_getpc427)>>32
	s_setpc_b64 s[14:15]
.LBB1_5809:
	s_movk_i32 s4, 0x80
	v_cmp_eq_u16_e32 vcc, s4, v16
	s_mov_b64 s[4:5], -1
                                        ; implicit-def: $sgpr10
	s_and_saveexec_b64 s[8:9], vcc
; %bb.5810:
	s_mov_b32 s10, 0x7f800001
	s_xor_b64 s[4:5], exec, -1
; %bb.5811:
	s_or_b64 exec, exec, s[8:9]
	s_and_b64 s[4:5], s[4:5], exec
                                        ; implicit-def: $vgpr16
	s_or_saveexec_b64 s[6:7], s[6:7]
	v_mov_b32_e32 v12, s10
	s_xor_b64 exec, exec, s[6:7]
	s_cbranch_execnz .LBB1_5812
; %bb.13995:
	s_getpc_b64 s[14:15]
.Lpost_getpc2901:
	s_add_u32 s14, s14, (.LBB1_1714-.Lpost_getpc2901)&4294967295
	s_addc_u32 s15, s15, (.LBB1_1714-.Lpost_getpc2901)>>32
	s_setpc_b64 s[14:15]
.LBB1_5812:
	v_cmp_ne_u16_e32 vcc, 0, v16
	s_andn2_b64 s[4:5], s[4:5], exec
	s_and_b64 s[8:9], vcc, exec
	v_mov_b32_e32 v12, 0
	s_or_b64 s[4:5], s[4:5], s[8:9]
	s_or_b64 exec, exec, s[6:7]
	s_and_saveexec_b64 s[6:7], s[4:5]
	s_cbranch_execz .LBB1_9049
; %bb.13997:
	s_getpc_b64 s[14:15]
.Lpost_getpc2902:
	s_add_u32 s14, s14, (.LBB1_1715-.Lpost_getpc2902)&4294967295
	s_addc_u32 s15, s15, (.LBB1_1715-.Lpost_getpc2902)>>32
	s_setpc_b64 s[14:15]
.LBB1_9049:
	s_getpc_b64 s[14:15]
.Lpost_getpc428:
	s_add_u32 s14, s14, (.LBB1_1716-.Lpost_getpc428)&4294967295
	s_addc_u32 s15, s15, (.LBB1_1716-.Lpost_getpc428)>>32
	s_setpc_b64 s[14:15]
.LBB1_5813:
	s_movk_i32 s4, 0x80
	v_cmp_eq_u16_e32 vcc, s4, v16
	s_mov_b64 s[4:5], -1
                                        ; implicit-def: $sgpr10
	s_and_saveexec_b64 s[8:9], vcc
; %bb.5814:
	s_mov_b32 s10, 0x7f800001
	s_xor_b64 s[4:5], exec, -1
; %bb.5815:
	s_or_b64 exec, exec, s[8:9]
	s_and_b64 s[4:5], s[4:5], exec
                                        ; implicit-def: $vgpr16
	s_or_saveexec_b64 s[6:7], s[6:7]
	v_mov_b32_e32 v21, s10
	s_xor_b64 exec, exec, s[6:7]
	s_cbranch_execnz .LBB1_5816
; %bb.13999:
	s_getpc_b64 s[14:15]
.Lpost_getpc2903:
	s_add_u32 s14, s14, (.LBB1_1718-.Lpost_getpc2903)&4294967295
	s_addc_u32 s15, s15, (.LBB1_1718-.Lpost_getpc2903)>>32
	s_setpc_b64 s[14:15]
.LBB1_5816:
	v_cmp_ne_u16_e32 vcc, 0, v16
	s_andn2_b64 s[4:5], s[4:5], exec
	s_and_b64 s[8:9], vcc, exec
	v_mov_b32_e32 v21, 0
	s_or_b64 s[4:5], s[4:5], s[8:9]
	s_or_b64 exec, exec, s[6:7]
	s_and_saveexec_b64 s[6:7], s[4:5]
	s_cbranch_execz .LBB1_9051
; %bb.14001:
	s_getpc_b64 s[14:15]
.Lpost_getpc2904:
	s_add_u32 s14, s14, (.LBB1_1719-.Lpost_getpc2904)&4294967295
	s_addc_u32 s15, s15, (.LBB1_1719-.Lpost_getpc2904)>>32
	s_setpc_b64 s[14:15]
.LBB1_9051:
	s_getpc_b64 s[14:15]
.Lpost_getpc429:
	s_add_u32 s14, s14, (.LBB1_1720-.Lpost_getpc429)&4294967295
	s_addc_u32 s15, s15, (.LBB1_1720-.Lpost_getpc429)>>32
	s_setpc_b64 s[14:15]
.LBB1_5817:
	s_movk_i32 s4, 0x80
	v_cmp_eq_u16_sdwa s[12:13], v17, s4 src0_sel:BYTE_3 src1_sel:DWORD
	s_mov_b64 s[4:5], -1
                                        ; implicit-def: $sgpr10
	s_and_saveexec_b64 s[8:9], s[12:13]
; %bb.5818:
	s_mov_b32 s10, 0x7f800001
	s_xor_b64 s[4:5], exec, -1
; %bb.5819:
	s_or_b64 exec, exec, s[8:9]
	s_and_b64 s[4:5], s[4:5], exec
	s_or_saveexec_b64 s[6:7], s[6:7]
	v_mov_b32_e32 v12, s10
	s_xor_b64 exec, exec, s[6:7]
	s_cbranch_execnz .LBB1_5820
; %bb.14003:
	s_getpc_b64 s[14:15]
.Lpost_getpc2905:
	s_add_u32 s14, s14, (.LBB1_1722-.Lpost_getpc2905)&4294967295
	s_addc_u32 s15, s15, (.LBB1_1722-.Lpost_getpc2905)>>32
	s_setpc_b64 s[14:15]
.LBB1_5820:
	v_mov_b32_e32 v12, 0
	v_cmp_ne_u16_sdwa s[8:9], v17, v12 src0_sel:BYTE_3 src1_sel:DWORD
	s_andn2_b64 s[4:5], s[4:5], exec
	s_and_b64 s[8:9], s[8:9], exec
	s_or_b64 s[4:5], s[4:5], s[8:9]
	s_or_b64 exec, exec, s[6:7]
	s_and_saveexec_b64 s[6:7], s[4:5]
	s_cbranch_execz .LBB1_9053
; %bb.14005:
	s_getpc_b64 s[14:15]
.Lpost_getpc2906:
	s_add_u32 s14, s14, (.LBB1_1723-.Lpost_getpc2906)&4294967295
	s_addc_u32 s15, s15, (.LBB1_1723-.Lpost_getpc2906)>>32
	s_setpc_b64 s[14:15]
.LBB1_9053:
	s_getpc_b64 s[14:15]
.Lpost_getpc430:
	s_add_u32 s14, s14, (.LBB1_1724-.Lpost_getpc430)&4294967295
	s_addc_u32 s15, s15, (.LBB1_1724-.Lpost_getpc430)>>32
	s_setpc_b64 s[14:15]
.LBB1_5821:
	s_movk_i32 s4, 0x80
	v_cmp_eq_u16_sdwa s[12:13], v13, s4 src0_sel:BYTE_3 src1_sel:DWORD
	s_mov_b64 s[4:5], -1
                                        ; implicit-def: $sgpr10
	s_and_saveexec_b64 s[8:9], s[12:13]
; %bb.5822:
	s_mov_b32 s10, 0x7f800001
	s_xor_b64 s[4:5], exec, -1
; %bb.5823:
	s_or_b64 exec, exec, s[8:9]
	s_and_b64 s[4:5], s[4:5], exec
	s_or_saveexec_b64 s[6:7], s[6:7]
	v_mov_b32_e32 v16, s10
	s_xor_b64 exec, exec, s[6:7]
	s_cbranch_execnz .LBB1_5824
; %bb.14007:
	s_getpc_b64 s[14:15]
.Lpost_getpc2907:
	s_add_u32 s14, s14, (.LBB1_1726-.Lpost_getpc2907)&4294967295
	s_addc_u32 s15, s15, (.LBB1_1726-.Lpost_getpc2907)>>32
	s_setpc_b64 s[14:15]
.LBB1_5824:
	v_mov_b32_e32 v16, 0
	v_cmp_ne_u16_sdwa s[8:9], v13, v16 src0_sel:BYTE_3 src1_sel:DWORD
	s_andn2_b64 s[4:5], s[4:5], exec
	s_and_b64 s[8:9], s[8:9], exec
	s_or_b64 s[4:5], s[4:5], s[8:9]
	s_or_b64 exec, exec, s[6:7]
	s_and_saveexec_b64 s[6:7], s[4:5]
	s_cbranch_execz .LBB1_9055
; %bb.14009:
	s_getpc_b64 s[14:15]
.Lpost_getpc2908:
	s_add_u32 s14, s14, (.LBB1_1727-.Lpost_getpc2908)&4294967295
	s_addc_u32 s15, s15, (.LBB1_1727-.Lpost_getpc2908)>>32
	s_setpc_b64 s[14:15]
.LBB1_9055:
	s_getpc_b64 s[14:15]
.Lpost_getpc431:
	s_add_u32 s14, s14, (.LBB1_1728-.Lpost_getpc431)&4294967295
	s_addc_u32 s15, s15, (.LBB1_1728-.Lpost_getpc431)>>32
	s_setpc_b64 s[14:15]
.LBB1_5825:
	s_movk_i32 s4, 0x80
	v_cmp_eq_u16_sdwa s[12:13], v18, s4 src0_sel:BYTE_0 src1_sel:DWORD
	s_mov_b64 s[4:5], -1
                                        ; implicit-def: $sgpr10
	s_and_saveexec_b64 s[8:9], s[12:13]
; %bb.5826:
	s_mov_b32 s10, 0x7f800001
	s_xor_b64 s[4:5], exec, -1
; %bb.5827:
	s_or_b64 exec, exec, s[8:9]
	s_and_b64 s[4:5], s[4:5], exec
	s_or_saveexec_b64 s[6:7], s[6:7]
	v_mov_b32_e32 v13, s10
	s_xor_b64 exec, exec, s[6:7]
	s_cbranch_execnz .LBB1_5828
; %bb.14011:
	s_getpc_b64 s[14:15]
.Lpost_getpc2909:
	s_add_u32 s14, s14, (.LBB1_1730-.Lpost_getpc2909)&4294967295
	s_addc_u32 s15, s15, (.LBB1_1730-.Lpost_getpc2909)>>32
	s_setpc_b64 s[14:15]
.LBB1_5828:
	v_mov_b32_e32 v13, 0
	v_cmp_ne_u16_sdwa s[8:9], v18, v13 src0_sel:BYTE_0 src1_sel:DWORD
	s_andn2_b64 s[4:5], s[4:5], exec
	s_and_b64 s[8:9], s[8:9], exec
	s_or_b64 s[4:5], s[4:5], s[8:9]
	s_or_b64 exec, exec, s[6:7]
	s_and_saveexec_b64 s[6:7], s[4:5]
	s_cbranch_execz .LBB1_9057
; %bb.14013:
	s_getpc_b64 s[14:15]
.Lpost_getpc2910:
	s_add_u32 s14, s14, (.LBB1_1731-.Lpost_getpc2910)&4294967295
	s_addc_u32 s15, s15, (.LBB1_1731-.Lpost_getpc2910)>>32
	s_setpc_b64 s[14:15]
.LBB1_9057:
	s_getpc_b64 s[14:15]
.Lpost_getpc432:
	s_add_u32 s14, s14, (.LBB1_1732-.Lpost_getpc432)&4294967295
	s_addc_u32 s15, s15, (.LBB1_1732-.Lpost_getpc432)>>32
	s_setpc_b64 s[14:15]
.LBB1_5829:
	s_movk_i32 s4, 0x80
	v_cmp_eq_u16_sdwa s[12:13], v16, s4 src0_sel:BYTE_0 src1_sel:DWORD
	s_mov_b64 s[4:5], -1
                                        ; implicit-def: $sgpr10
	s_and_saveexec_b64 s[8:9], s[12:13]
; %bb.5830:
	s_mov_b32 s10, 0x7f800001
	s_xor_b64 s[4:5], exec, -1
; %bb.5831:
	s_or_b64 exec, exec, s[8:9]
	s_and_b64 s[4:5], s[4:5], exec
	s_or_saveexec_b64 s[6:7], s[6:7]
	v_mov_b32_e32 v14, s10
	s_xor_b64 exec, exec, s[6:7]
	s_cbranch_execnz .LBB1_5832
; %bb.14015:
	s_getpc_b64 s[14:15]
.Lpost_getpc2911:
	s_add_u32 s14, s14, (.LBB1_1734-.Lpost_getpc2911)&4294967295
	s_addc_u32 s15, s15, (.LBB1_1734-.Lpost_getpc2911)>>32
	s_setpc_b64 s[14:15]
.LBB1_5832:
	v_mov_b32_e32 v14, 0
	v_cmp_ne_u16_sdwa s[8:9], v16, v14 src0_sel:BYTE_0 src1_sel:DWORD
	s_andn2_b64 s[4:5], s[4:5], exec
	s_and_b64 s[8:9], s[8:9], exec
	s_or_b64 s[4:5], s[4:5], s[8:9]
	s_or_b64 exec, exec, s[6:7]
	v_or_b32_sdwa v12, v16, v12 dst_sel:DWORD dst_unused:UNUSED_PAD src0_sel:WORD_0 src1_sel:DWORD
	s_and_saveexec_b64 s[6:7], s[4:5]
	s_cbranch_execz .LBB1_9059
; %bb.14017:
	s_getpc_b64 s[14:15]
.Lpost_getpc2912:
	s_add_u32 s14, s14, (.LBB1_1735-.Lpost_getpc2912)&4294967295
	s_addc_u32 s15, s15, (.LBB1_1735-.Lpost_getpc2912)>>32
	s_setpc_b64 s[14:15]
.LBB1_9059:
	s_getpc_b64 s[14:15]
.Lpost_getpc433:
	s_add_u32 s14, s14, (.LBB1_1736-.Lpost_getpc433)&4294967295
	s_addc_u32 s15, s15, (.LBB1_1736-.Lpost_getpc433)>>32
	s_setpc_b64 s[14:15]
.LBB1_5833:
	s_movk_i32 s4, 0x80
	v_cmp_eq_u16_sdwa s[12:13], v14, s4 src0_sel:BYTE_0 src1_sel:DWORD
	s_mov_b64 s[4:5], -1
                                        ; implicit-def: $sgpr10
	s_and_saveexec_b64 s[8:9], s[12:13]
; %bb.5834:
	s_mov_b32 s10, 0x7f800001
	s_xor_b64 s[4:5], exec, -1
; %bb.5835:
	s_or_b64 exec, exec, s[8:9]
	s_and_b64 s[4:5], s[4:5], exec
	s_or_saveexec_b64 s[6:7], s[6:7]
	v_mov_b32_e32 v13, s10
	s_xor_b64 exec, exec, s[6:7]
	s_cbranch_execnz .LBB1_5836
; %bb.14019:
	s_getpc_b64 s[14:15]
.Lpost_getpc2913:
	s_add_u32 s14, s14, (.LBB1_1738-.Lpost_getpc2913)&4294967295
	s_addc_u32 s15, s15, (.LBB1_1738-.Lpost_getpc2913)>>32
	s_setpc_b64 s[14:15]
.LBB1_5836:
	v_mov_b32_e32 v13, 0
	v_cmp_ne_u16_sdwa s[8:9], v14, v13 src0_sel:BYTE_0 src1_sel:DWORD
	s_andn2_b64 s[4:5], s[4:5], exec
	s_and_b64 s[8:9], s[8:9], exec
	s_or_b64 s[4:5], s[4:5], s[8:9]
	s_or_b64 exec, exec, s[6:7]
	s_and_saveexec_b64 s[6:7], s[4:5]
	s_cbranch_execz .LBB1_9061
; %bb.14021:
	s_getpc_b64 s[14:15]
.Lpost_getpc2914:
	s_add_u32 s14, s14, (.LBB1_1739-.Lpost_getpc2914)&4294967295
	s_addc_u32 s15, s15, (.LBB1_1739-.Lpost_getpc2914)>>32
	s_setpc_b64 s[14:15]
.LBB1_9061:
	s_getpc_b64 s[14:15]
.Lpost_getpc434:
	s_add_u32 s14, s14, (.LBB1_1740-.Lpost_getpc434)&4294967295
	s_addc_u32 s15, s15, (.LBB1_1740-.Lpost_getpc434)>>32
	s_setpc_b64 s[14:15]
.LBB1_5837:
	s_movk_i32 s4, 0x80
	v_cmp_eq_u16_sdwa s[12:13], v14, s4 src0_sel:BYTE_0 src1_sel:DWORD
	s_mov_b64 s[4:5], -1
                                        ; implicit-def: $sgpr10
	s_and_saveexec_b64 s[8:9], s[12:13]
; %bb.5838:
	s_mov_b32 s10, 0x7f800001
	s_xor_b64 s[4:5], exec, -1
; %bb.5839:
	s_or_b64 exec, exec, s[8:9]
	s_and_b64 s[4:5], s[4:5], exec
	s_or_saveexec_b64 s[6:7], s[6:7]
	v_mov_b32_e32 v16, s10
	s_xor_b64 exec, exec, s[6:7]
	s_cbranch_execnz .LBB1_5840
; %bb.14023:
	s_getpc_b64 s[14:15]
.Lpost_getpc2915:
	s_add_u32 s14, s14, (.LBB1_1742-.Lpost_getpc2915)&4294967295
	s_addc_u32 s15, s15, (.LBB1_1742-.Lpost_getpc2915)>>32
	s_setpc_b64 s[14:15]
.LBB1_5840:
	v_mov_b32_e32 v16, 0
	v_cmp_ne_u16_sdwa s[8:9], v14, v16 src0_sel:BYTE_0 src1_sel:DWORD
	s_andn2_b64 s[4:5], s[4:5], exec
	s_and_b64 s[8:9], s[8:9], exec
	s_or_b64 s[4:5], s[4:5], s[8:9]
	s_or_b64 exec, exec, s[6:7]
	s_and_saveexec_b64 s[6:7], s[4:5]
	s_cbranch_execz .LBB1_9063
; %bb.14025:
	s_getpc_b64 s[14:15]
.Lpost_getpc2916:
	s_add_u32 s14, s14, (.LBB1_1743-.Lpost_getpc2916)&4294967295
	s_addc_u32 s15, s15, (.LBB1_1743-.Lpost_getpc2916)>>32
	s_setpc_b64 s[14:15]
.LBB1_9063:
	s_getpc_b64 s[14:15]
.Lpost_getpc435:
	s_add_u32 s14, s14, (.LBB1_1744-.Lpost_getpc435)&4294967295
	s_addc_u32 s15, s15, (.LBB1_1744-.Lpost_getpc435)>>32
	s_setpc_b64 s[14:15]
.LBB1_5841:
	s_movk_i32 s4, 0x80
	v_cmp_eq_u16_e32 vcc, s4, v14
	s_mov_b64 s[4:5], -1
                                        ; implicit-def: $sgpr10
	s_and_saveexec_b64 s[8:9], vcc
; %bb.5842:
	s_mov_b32 s10, 0x7f800001
	s_xor_b64 s[4:5], exec, -1
; %bb.5843:
	s_or_b64 exec, exec, s[8:9]
	s_and_b64 s[4:5], s[4:5], exec
                                        ; implicit-def: $vgpr14
	s_or_saveexec_b64 s[6:7], s[6:7]
	v_mov_b32_e32 v13, s10
	s_xor_b64 exec, exec, s[6:7]
	s_cbranch_execnz .LBB1_5844
; %bb.14027:
	s_getpc_b64 s[14:15]
.Lpost_getpc2917:
	s_add_u32 s14, s14, (.LBB1_1746-.Lpost_getpc2917)&4294967295
	s_addc_u32 s15, s15, (.LBB1_1746-.Lpost_getpc2917)>>32
	s_setpc_b64 s[14:15]
.LBB1_5844:
	v_cmp_ne_u16_e32 vcc, 0, v14
	s_andn2_b64 s[4:5], s[4:5], exec
	s_and_b64 s[8:9], vcc, exec
	v_mov_b32_e32 v13, 0
	s_or_b64 s[4:5], s[4:5], s[8:9]
	s_or_b64 exec, exec, s[6:7]
	s_and_saveexec_b64 s[6:7], s[4:5]
	s_cbranch_execz .LBB1_9065
; %bb.14029:
	s_getpc_b64 s[14:15]
.Lpost_getpc2918:
	s_add_u32 s14, s14, (.LBB1_1747-.Lpost_getpc2918)&4294967295
	s_addc_u32 s15, s15, (.LBB1_1747-.Lpost_getpc2918)>>32
	s_setpc_b64 s[14:15]
.LBB1_9065:
	s_getpc_b64 s[14:15]
.Lpost_getpc436:
	s_add_u32 s14, s14, (.LBB1_1748-.Lpost_getpc436)&4294967295
	s_addc_u32 s15, s15, (.LBB1_1748-.Lpost_getpc436)>>32
	s_setpc_b64 s[14:15]
.LBB1_5845:
	s_movk_i32 s4, 0x80
	v_cmp_eq_u16_e32 vcc, s4, v14
	s_mov_b64 s[4:5], -1
                                        ; implicit-def: $sgpr10
	s_and_saveexec_b64 s[8:9], vcc
; %bb.5846:
	s_mov_b32 s10, 0x7f800001
	s_xor_b64 s[4:5], exec, -1
; %bb.5847:
	s_or_b64 exec, exec, s[8:9]
	s_and_b64 s[4:5], s[4:5], exec
                                        ; implicit-def: $vgpr14
	s_or_saveexec_b64 s[6:7], s[6:7]
	v_mov_b32_e32 v16, s10
	s_xor_b64 exec, exec, s[6:7]
	s_cbranch_execnz .LBB1_5848
; %bb.14031:
	s_getpc_b64 s[14:15]
.Lpost_getpc2919:
	s_add_u32 s14, s14, (.LBB1_1750-.Lpost_getpc2919)&4294967295
	s_addc_u32 s15, s15, (.LBB1_1750-.Lpost_getpc2919)>>32
	s_setpc_b64 s[14:15]
.LBB1_5848:
	v_cmp_ne_u16_e32 vcc, 0, v14
	s_andn2_b64 s[4:5], s[4:5], exec
	s_and_b64 s[8:9], vcc, exec
	v_mov_b32_e32 v16, 0
	s_or_b64 s[4:5], s[4:5], s[8:9]
	s_or_b64 exec, exec, s[6:7]
	s_and_saveexec_b64 s[6:7], s[4:5]
	s_cbranch_execz .LBB1_9067
; %bb.14033:
	s_getpc_b64 s[14:15]
.Lpost_getpc2920:
	s_add_u32 s14, s14, (.LBB1_1751-.Lpost_getpc2920)&4294967295
	s_addc_u32 s15, s15, (.LBB1_1751-.Lpost_getpc2920)>>32
	s_setpc_b64 s[14:15]
.LBB1_9067:
	s_getpc_b64 s[14:15]
.Lpost_getpc437:
	s_add_u32 s14, s14, (.LBB1_1752-.Lpost_getpc437)&4294967295
	s_addc_u32 s15, s15, (.LBB1_1752-.Lpost_getpc437)>>32
	s_setpc_b64 s[14:15]
.LBB1_5849:
	s_movk_i32 s4, 0x80
	v_cmp_eq_u16_sdwa s[12:13], v18, s4 src0_sel:BYTE_3 src1_sel:DWORD
	s_mov_b64 s[4:5], -1
                                        ; implicit-def: $sgpr10
	s_and_saveexec_b64 s[8:9], s[12:13]
; %bb.5850:
	s_mov_b32 s10, 0x7f800001
	s_xor_b64 s[4:5], exec, -1
; %bb.5851:
	s_or_b64 exec, exec, s[8:9]
	s_and_b64 s[4:5], s[4:5], exec
	s_or_saveexec_b64 s[6:7], s[6:7]
	v_mov_b32_e32 v13, s10
	s_xor_b64 exec, exec, s[6:7]
	s_cbranch_execnz .LBB1_5852
; %bb.14035:
	s_getpc_b64 s[14:15]
.Lpost_getpc2921:
	s_add_u32 s14, s14, (.LBB1_1754-.Lpost_getpc2921)&4294967295
	s_addc_u32 s15, s15, (.LBB1_1754-.Lpost_getpc2921)>>32
	s_setpc_b64 s[14:15]
.LBB1_5852:
	v_mov_b32_e32 v13, 0
	v_cmp_ne_u16_sdwa s[8:9], v18, v13 src0_sel:BYTE_3 src1_sel:DWORD
	s_andn2_b64 s[4:5], s[4:5], exec
	s_and_b64 s[8:9], s[8:9], exec
	s_or_b64 s[4:5], s[4:5], s[8:9]
	s_or_b64 exec, exec, s[6:7]
	s_and_saveexec_b64 s[6:7], s[4:5]
	s_cbranch_execz .LBB1_9069
; %bb.14037:
	s_getpc_b64 s[14:15]
.Lpost_getpc2922:
	s_add_u32 s14, s14, (.LBB1_1755-.Lpost_getpc2922)&4294967295
	s_addc_u32 s15, s15, (.LBB1_1755-.Lpost_getpc2922)>>32
	s_setpc_b64 s[14:15]
.LBB1_9069:
	s_getpc_b64 s[14:15]
.Lpost_getpc438:
	s_add_u32 s14, s14, (.LBB1_1756-.Lpost_getpc438)&4294967295
	s_addc_u32 s15, s15, (.LBB1_1756-.Lpost_getpc438)>>32
	s_setpc_b64 s[14:15]
.LBB1_5853:
	s_movk_i32 s4, 0x80
	v_cmp_eq_u16_sdwa s[12:13], v12, s4 src0_sel:BYTE_3 src1_sel:DWORD
	s_mov_b64 s[4:5], -1
                                        ; implicit-def: $sgpr10
	s_and_saveexec_b64 s[8:9], s[12:13]
; %bb.5854:
	s_mov_b32 s10, 0x7f800001
	s_xor_b64 s[4:5], exec, -1
; %bb.5855:
	s_or_b64 exec, exec, s[8:9]
	s_and_b64 s[4:5], s[4:5], exec
	s_or_saveexec_b64 s[6:7], s[6:7]
	v_mov_b32_e32 v14, s10
	s_xor_b64 exec, exec, s[6:7]
	s_cbranch_execnz .LBB1_5856
; %bb.14039:
	s_getpc_b64 s[14:15]
.Lpost_getpc2923:
	s_add_u32 s14, s14, (.LBB1_1758-.Lpost_getpc2923)&4294967295
	s_addc_u32 s15, s15, (.LBB1_1758-.Lpost_getpc2923)>>32
	s_setpc_b64 s[14:15]
.LBB1_5856:
	v_mov_b32_e32 v14, 0
	v_cmp_ne_u16_sdwa s[8:9], v12, v14 src0_sel:BYTE_3 src1_sel:DWORD
	s_andn2_b64 s[4:5], s[4:5], exec
	s_and_b64 s[8:9], s[8:9], exec
	s_or_b64 s[4:5], s[4:5], s[8:9]
	s_or_b64 exec, exec, s[6:7]
	s_and_saveexec_b64 s[6:7], s[4:5]
	s_cbranch_execz .LBB1_9071
; %bb.14041:
	s_getpc_b64 s[14:15]
.Lpost_getpc2924:
	s_add_u32 s14, s14, (.LBB1_1759-.Lpost_getpc2924)&4294967295
	s_addc_u32 s15, s15, (.LBB1_1759-.Lpost_getpc2924)>>32
	s_setpc_b64 s[14:15]
.LBB1_9071:
	s_getpc_b64 s[14:15]
.Lpost_getpc439:
	s_add_u32 s14, s14, (.LBB1_1760-.Lpost_getpc439)&4294967295
	s_addc_u32 s15, s15, (.LBB1_1760-.Lpost_getpc439)>>32
	s_setpc_b64 s[14:15]
.LBB1_5857:
	s_movk_i32 s4, 0x80
	v_cmp_eq_u16_sdwa s[12:13], v19, s4 src0_sel:BYTE_0 src1_sel:DWORD
	s_mov_b64 s[4:5], -1
                                        ; implicit-def: $sgpr10
	s_and_saveexec_b64 s[8:9], s[12:13]
; %bb.5858:
	s_mov_b32 s10, 0x7f800001
	s_xor_b64 s[4:5], exec, -1
; %bb.5859:
	s_or_b64 exec, exec, s[8:9]
	s_and_b64 s[4:5], s[4:5], exec
	s_or_saveexec_b64 s[6:7], s[6:7]
	v_mov_b32_e32 v12, s10
	s_xor_b64 exec, exec, s[6:7]
	s_cbranch_execnz .LBB1_5860
; %bb.14043:
	s_getpc_b64 s[14:15]
.Lpost_getpc2925:
	s_add_u32 s14, s14, (.LBB1_1762-.Lpost_getpc2925)&4294967295
	s_addc_u32 s15, s15, (.LBB1_1762-.Lpost_getpc2925)>>32
	s_setpc_b64 s[14:15]
.LBB1_5860:
	v_mov_b32_e32 v12, 0
	v_cmp_ne_u16_sdwa s[8:9], v19, v12 src0_sel:BYTE_0 src1_sel:DWORD
	s_andn2_b64 s[4:5], s[4:5], exec
	s_and_b64 s[8:9], s[8:9], exec
	s_or_b64 s[4:5], s[4:5], s[8:9]
	s_or_b64 exec, exec, s[6:7]
	s_and_saveexec_b64 s[6:7], s[4:5]
	s_cbranch_execz .LBB1_9073
; %bb.14045:
	s_getpc_b64 s[14:15]
.Lpost_getpc2926:
	s_add_u32 s14, s14, (.LBB1_1763-.Lpost_getpc2926)&4294967295
	s_addc_u32 s15, s15, (.LBB1_1763-.Lpost_getpc2926)>>32
	s_setpc_b64 s[14:15]
.LBB1_9073:
	s_getpc_b64 s[14:15]
.Lpost_getpc440:
	s_add_u32 s14, s14, (.LBB1_1764-.Lpost_getpc440)&4294967295
	s_addc_u32 s15, s15, (.LBB1_1764-.Lpost_getpc440)>>32
	s_setpc_b64 s[14:15]
.LBB1_5861:
	s_movk_i32 s4, 0x80
	v_cmp_eq_u16_sdwa s[12:13], v15, s4 src0_sel:BYTE_0 src1_sel:DWORD
	s_mov_b64 s[4:5], -1
                                        ; implicit-def: $sgpr10
	s_and_saveexec_b64 s[8:9], s[12:13]
; %bb.5862:
	s_mov_b32 s10, 0x7f800001
	s_xor_b64 s[4:5], exec, -1
; %bb.5863:
	s_or_b64 exec, exec, s[8:9]
	s_and_b64 s[4:5], s[4:5], exec
	s_or_saveexec_b64 s[6:7], s[6:7]
	v_mov_b32_e32 v13, s10
	s_xor_b64 exec, exec, s[6:7]
	s_cbranch_execnz .LBB1_5864
; %bb.14047:
	s_getpc_b64 s[14:15]
.Lpost_getpc2927:
	s_add_u32 s14, s14, (.LBB1_1766-.Lpost_getpc2927)&4294967295
	s_addc_u32 s15, s15, (.LBB1_1766-.Lpost_getpc2927)>>32
	s_setpc_b64 s[14:15]
.LBB1_5864:
	v_mov_b32_e32 v13, 0
	v_cmp_ne_u16_sdwa s[8:9], v15, v13 src0_sel:BYTE_0 src1_sel:DWORD
	s_andn2_b64 s[4:5], s[4:5], exec
	s_and_b64 s[8:9], s[8:9], exec
	s_or_b64 s[4:5], s[4:5], s[8:9]
	s_or_b64 exec, exec, s[6:7]
	s_and_saveexec_b64 s[6:7], s[4:5]
	s_cbranch_execz .LBB1_9075
; %bb.14049:
	s_getpc_b64 s[14:15]
.Lpost_getpc2928:
	s_add_u32 s14, s14, (.LBB1_1767-.Lpost_getpc2928)&4294967295
	s_addc_u32 s15, s15, (.LBB1_1767-.Lpost_getpc2928)>>32
	s_setpc_b64 s[14:15]
.LBB1_9075:
	s_getpc_b64 s[14:15]
.Lpost_getpc441:
	s_add_u32 s14, s14, (.LBB1_1768-.Lpost_getpc441)&4294967295
	s_addc_u32 s15, s15, (.LBB1_1768-.Lpost_getpc441)>>32
	s_setpc_b64 s[14:15]
.LBB1_5865:
	s_movk_i32 s4, 0x80
	v_cmp_eq_u16_sdwa s[12:13], v13, s4 src0_sel:BYTE_0 src1_sel:DWORD
	s_mov_b64 s[4:5], -1
                                        ; implicit-def: $sgpr10
	s_and_saveexec_b64 s[8:9], s[12:13]
; %bb.5866:
	s_mov_b32 s10, 0x7f800001
	s_xor_b64 s[4:5], exec, -1
; %bb.5867:
	s_or_b64 exec, exec, s[8:9]
	s_and_b64 s[4:5], s[4:5], exec
	s_or_saveexec_b64 s[6:7], s[6:7]
	v_mov_b32_e32 v12, s10
	s_xor_b64 exec, exec, s[6:7]
	s_cbranch_execnz .LBB1_5868
; %bb.14051:
	s_getpc_b64 s[14:15]
.Lpost_getpc2929:
	s_add_u32 s14, s14, (.LBB1_1770-.Lpost_getpc2929)&4294967295
	s_addc_u32 s15, s15, (.LBB1_1770-.Lpost_getpc2929)>>32
	s_setpc_b64 s[14:15]
.LBB1_5868:
	v_mov_b32_e32 v12, 0
	v_cmp_ne_u16_sdwa s[8:9], v13, v12 src0_sel:BYTE_0 src1_sel:DWORD
	s_andn2_b64 s[4:5], s[4:5], exec
	s_and_b64 s[8:9], s[8:9], exec
	s_or_b64 s[4:5], s[4:5], s[8:9]
	s_or_b64 exec, exec, s[6:7]
	s_and_saveexec_b64 s[6:7], s[4:5]
	s_cbranch_execz .LBB1_9077
; %bb.14053:
	s_getpc_b64 s[14:15]
.Lpost_getpc2930:
	s_add_u32 s14, s14, (.LBB1_1771-.Lpost_getpc2930)&4294967295
	s_addc_u32 s15, s15, (.LBB1_1771-.Lpost_getpc2930)>>32
	s_setpc_b64 s[14:15]
.LBB1_9077:
	s_getpc_b64 s[14:15]
.Lpost_getpc442:
	s_add_u32 s14, s14, (.LBB1_1772-.Lpost_getpc442)&4294967295
	s_addc_u32 s15, s15, (.LBB1_1772-.Lpost_getpc442)>>32
	s_setpc_b64 s[14:15]
.LBB1_5869:
	s_movk_i32 s4, 0x80
	v_cmp_eq_u16_sdwa s[12:13], v13, s4 src0_sel:BYTE_0 src1_sel:DWORD
	s_mov_b64 s[4:5], -1
                                        ; implicit-def: $sgpr10
	s_and_saveexec_b64 s[8:9], s[12:13]
; %bb.5870:
	s_mov_b32 s10, 0x7f800001
	s_xor_b64 s[4:5], exec, -1
; %bb.5871:
	s_or_b64 exec, exec, s[8:9]
	s_and_b64 s[4:5], s[4:5], exec
	s_or_saveexec_b64 s[6:7], s[6:7]
	v_mov_b32_e32 v14, s10
	s_xor_b64 exec, exec, s[6:7]
	s_cbranch_execnz .LBB1_5872
; %bb.14055:
	s_getpc_b64 s[14:15]
.Lpost_getpc2931:
	s_add_u32 s14, s14, (.LBB1_1774-.Lpost_getpc2931)&4294967295
	s_addc_u32 s15, s15, (.LBB1_1774-.Lpost_getpc2931)>>32
	s_setpc_b64 s[14:15]
.LBB1_5872:
	v_mov_b32_e32 v14, 0
	v_cmp_ne_u16_sdwa s[8:9], v13, v14 src0_sel:BYTE_0 src1_sel:DWORD
	s_andn2_b64 s[4:5], s[4:5], exec
	s_and_b64 s[8:9], s[8:9], exec
	s_or_b64 s[4:5], s[4:5], s[8:9]
	s_or_b64 exec, exec, s[6:7]
	s_and_saveexec_b64 s[6:7], s[4:5]
	s_cbranch_execz .LBB1_9079
; %bb.14057:
	s_getpc_b64 s[14:15]
.Lpost_getpc2932:
	s_add_u32 s14, s14, (.LBB1_1775-.Lpost_getpc2932)&4294967295
	s_addc_u32 s15, s15, (.LBB1_1775-.Lpost_getpc2932)>>32
	s_setpc_b64 s[14:15]
.LBB1_9079:
	s_getpc_b64 s[14:15]
.Lpost_getpc443:
	s_add_u32 s14, s14, (.LBB1_1776-.Lpost_getpc443)&4294967295
	s_addc_u32 s15, s15, (.LBB1_1776-.Lpost_getpc443)>>32
	s_setpc_b64 s[14:15]
.LBB1_5873:
	s_movk_i32 s4, 0x80
	v_cmp_eq_u16_e32 vcc, s4, v13
	s_mov_b64 s[4:5], -1
                                        ; implicit-def: $sgpr10
	s_and_saveexec_b64 s[8:9], vcc
; %bb.5874:
	s_mov_b32 s10, 0x7f800001
	s_xor_b64 s[4:5], exec, -1
; %bb.5875:
	s_or_b64 exec, exec, s[8:9]
	s_and_b64 s[4:5], s[4:5], exec
                                        ; implicit-def: $vgpr13
	s_or_saveexec_b64 s[6:7], s[6:7]
	v_mov_b32_e32 v12, s10
	s_xor_b64 exec, exec, s[6:7]
	s_cbranch_execnz .LBB1_5876
; %bb.14059:
	s_getpc_b64 s[14:15]
.Lpost_getpc2933:
	s_add_u32 s14, s14, (.LBB1_1778-.Lpost_getpc2933)&4294967295
	s_addc_u32 s15, s15, (.LBB1_1778-.Lpost_getpc2933)>>32
	s_setpc_b64 s[14:15]
.LBB1_5876:
	v_cmp_ne_u16_e32 vcc, 0, v13
	s_andn2_b64 s[4:5], s[4:5], exec
	s_and_b64 s[8:9], vcc, exec
	v_mov_b32_e32 v12, 0
	s_or_b64 s[4:5], s[4:5], s[8:9]
	s_or_b64 exec, exec, s[6:7]
	s_and_saveexec_b64 s[6:7], s[4:5]
	s_cbranch_execz .LBB1_9081
; %bb.14061:
	s_getpc_b64 s[14:15]
.Lpost_getpc2934:
	s_add_u32 s14, s14, (.LBB1_1779-.Lpost_getpc2934)&4294967295
	s_addc_u32 s15, s15, (.LBB1_1779-.Lpost_getpc2934)>>32
	s_setpc_b64 s[14:15]
.LBB1_9081:
	s_getpc_b64 s[14:15]
.Lpost_getpc444:
	s_add_u32 s14, s14, (.LBB1_1780-.Lpost_getpc444)&4294967295
	s_addc_u32 s15, s15, (.LBB1_1780-.Lpost_getpc444)>>32
	s_setpc_b64 s[14:15]
.LBB1_5877:
	s_movk_i32 s4, 0x80
	v_cmp_eq_u16_e32 vcc, s4, v13
	s_mov_b64 s[4:5], -1
                                        ; implicit-def: $sgpr10
	s_and_saveexec_b64 s[8:9], vcc
; %bb.5878:
	s_mov_b32 s10, 0x7f800001
	s_xor_b64 s[4:5], exec, -1
; %bb.5879:
	s_or_b64 exec, exec, s[8:9]
	s_and_b64 s[4:5], s[4:5], exec
                                        ; implicit-def: $vgpr13
	s_or_saveexec_b64 s[6:7], s[6:7]
	v_mov_b32_e32 v14, s10
	s_xor_b64 exec, exec, s[6:7]
	s_cbranch_execnz .LBB1_5880
; %bb.14063:
	s_getpc_b64 s[14:15]
.Lpost_getpc2935:
	s_add_u32 s14, s14, (.LBB1_1782-.Lpost_getpc2935)&4294967295
	s_addc_u32 s15, s15, (.LBB1_1782-.Lpost_getpc2935)>>32
	s_setpc_b64 s[14:15]
.LBB1_5880:
	v_cmp_ne_u16_e32 vcc, 0, v13
	s_andn2_b64 s[4:5], s[4:5], exec
	s_and_b64 s[8:9], vcc, exec
	v_mov_b32_e32 v14, 0
	s_or_b64 s[4:5], s[4:5], s[8:9]
	s_or_b64 exec, exec, s[6:7]
	s_and_saveexec_b64 s[6:7], s[4:5]
	s_cbranch_execz .LBB1_9083
; %bb.14065:
	s_getpc_b64 s[14:15]
.Lpost_getpc2936:
	s_add_u32 s14, s14, (.LBB1_1783-.Lpost_getpc2936)&4294967295
	s_addc_u32 s15, s15, (.LBB1_1783-.Lpost_getpc2936)>>32
	s_setpc_b64 s[14:15]
.LBB1_9083:
	s_getpc_b64 s[14:15]
.Lpost_getpc445:
	s_add_u32 s14, s14, (.LBB1_1784-.Lpost_getpc445)&4294967295
	s_addc_u32 s15, s15, (.LBB1_1784-.Lpost_getpc445)>>32
	s_setpc_b64 s[14:15]
.LBB1_5881:
	s_movk_i32 s4, 0x80
	v_cmp_eq_u16_sdwa s[12:13], v19, s4 src0_sel:BYTE_3 src1_sel:DWORD
	s_mov_b64 s[4:5], -1
                                        ; implicit-def: $sgpr10
	s_and_saveexec_b64 s[8:9], s[12:13]
; %bb.5882:
	s_mov_b32 s10, 0x7f800001
	s_xor_b64 s[4:5], exec, -1
; %bb.5883:
	s_or_b64 exec, exec, s[8:9]
	s_and_b64 s[4:5], s[4:5], exec
	s_or_saveexec_b64 s[6:7], s[6:7]
	v_mov_b32_e32 v12, s10
	s_xor_b64 exec, exec, s[6:7]
	s_cbranch_execnz .LBB1_5884
; %bb.14067:
	s_getpc_b64 s[14:15]
.Lpost_getpc2937:
	s_add_u32 s14, s14, (.LBB1_1786-.Lpost_getpc2937)&4294967295
	s_addc_u32 s15, s15, (.LBB1_1786-.Lpost_getpc2937)>>32
	s_setpc_b64 s[14:15]
.LBB1_5884:
	v_mov_b32_e32 v12, 0
	v_cmp_ne_u16_sdwa s[8:9], v19, v12 src0_sel:BYTE_3 src1_sel:DWORD
	s_andn2_b64 s[4:5], s[4:5], exec
	s_and_b64 s[8:9], s[8:9], exec
	s_or_b64 s[4:5], s[4:5], s[8:9]
	s_or_b64 exec, exec, s[6:7]
	s_and_saveexec_b64 s[6:7], s[4:5]
	s_cbranch_execz .LBB1_9085
; %bb.14069:
	s_getpc_b64 s[14:15]
.Lpost_getpc2938:
	s_add_u32 s14, s14, (.LBB1_1787-.Lpost_getpc2938)&4294967295
	s_addc_u32 s15, s15, (.LBB1_1787-.Lpost_getpc2938)>>32
	s_setpc_b64 s[14:15]
.LBB1_9085:
	s_getpc_b64 s[14:15]
.Lpost_getpc446:
	s_add_u32 s14, s14, (.LBB1_1788-.Lpost_getpc446)&4294967295
	s_addc_u32 s15, s15, (.LBB1_1788-.Lpost_getpc446)>>32
	s_setpc_b64 s[14:15]
.LBB1_5885:
	s_movk_i32 s4, 0x80
	v_cmp_eq_u16_sdwa s[12:13], v15, s4 src0_sel:BYTE_3 src1_sel:DWORD
	s_mov_b64 s[4:5], -1
                                        ; implicit-def: $sgpr10
	s_and_saveexec_b64 s[8:9], s[12:13]
; %bb.5886:
	s_mov_b32 s10, 0x7f800001
	s_xor_b64 s[4:5], exec, -1
; %bb.5887:
	s_or_b64 exec, exec, s[8:9]
	s_and_b64 s[4:5], s[4:5], exec
	s_or_saveexec_b64 s[6:7], s[6:7]
	v_mov_b32_e32 v13, s10
	s_xor_b64 exec, exec, s[6:7]
	s_cbranch_execnz .LBB1_5888
; %bb.14071:
	s_getpc_b64 s[14:15]
.Lpost_getpc2939:
	s_add_u32 s14, s14, (.LBB1_1790-.Lpost_getpc2939)&4294967295
	s_addc_u32 s15, s15, (.LBB1_1790-.Lpost_getpc2939)>>32
	s_setpc_b64 s[14:15]
.LBB1_5888:
	v_mov_b32_e32 v13, 0
	v_cmp_ne_u16_sdwa s[8:9], v15, v13 src0_sel:BYTE_3 src1_sel:DWORD
	s_andn2_b64 s[4:5], s[4:5], exec
	s_and_b64 s[8:9], s[8:9], exec
	s_or_b64 s[4:5], s[4:5], s[8:9]
	s_or_b64 exec, exec, s[6:7]
	s_and_saveexec_b64 s[6:7], s[4:5]
	s_cbranch_execz .LBB1_9087
; %bb.14073:
	s_getpc_b64 s[14:15]
.Lpost_getpc2940:
	s_add_u32 s14, s14, (.LBB1_1791-.Lpost_getpc2940)&4294967295
	s_addc_u32 s15, s15, (.LBB1_1791-.Lpost_getpc2940)>>32
	s_setpc_b64 s[14:15]
.LBB1_9087:
	s_getpc_b64 s[14:15]
.Lpost_getpc447:
	s_add_u32 s14, s14, (.LBB1_1792-.Lpost_getpc447)&4294967295
	s_addc_u32 s15, s15, (.LBB1_1792-.Lpost_getpc447)>>32
	s_setpc_b64 s[14:15]
.LBB1_5889:
	s_movk_i32 s4, 0x80
	v_cmp_eq_u16_sdwa s[12:13], v16, s4 src0_sel:BYTE_0 src1_sel:DWORD
	s_mov_b64 s[4:5], -1
                                        ; implicit-def: $sgpr10
	s_and_saveexec_b64 s[8:9], s[12:13]
; %bb.5890:
	s_mov_b32 s10, 0x7f800001
	s_xor_b64 s[4:5], exec, -1
; %bb.5891:
	s_or_b64 exec, exec, s[8:9]
	s_and_b64 s[4:5], s[4:5], exec
	s_or_saveexec_b64 s[6:7], s[6:7]
	v_mov_b32_e32 v21, s10
	s_xor_b64 exec, exec, s[6:7]
	s_cbranch_execnz .LBB1_5892
; %bb.14075:
	s_getpc_b64 s[14:15]
.Lpost_getpc2941:
	s_add_u32 s14, s14, (.LBB1_1794-.Lpost_getpc2941)&4294967295
	s_addc_u32 s15, s15, (.LBB1_1794-.Lpost_getpc2941)>>32
	s_setpc_b64 s[14:15]
.LBB1_5892:
	v_mov_b32_e32 v21, 0
	v_cmp_ne_u16_sdwa s[8:9], v16, v21 src0_sel:BYTE_0 src1_sel:DWORD
	s_andn2_b64 s[4:5], s[4:5], exec
	s_and_b64 s[8:9], s[8:9], exec
	s_or_b64 s[4:5], s[4:5], s[8:9]
	s_or_b64 exec, exec, s[6:7]
	s_and_saveexec_b64 s[6:7], s[4:5]
	s_cbranch_execz .LBB1_9089
; %bb.14077:
	s_getpc_b64 s[14:15]
.Lpost_getpc2942:
	s_add_u32 s14, s14, (.LBB1_1795-.Lpost_getpc2942)&4294967295
	s_addc_u32 s15, s15, (.LBB1_1795-.Lpost_getpc2942)>>32
	s_setpc_b64 s[14:15]
.LBB1_9089:
	s_getpc_b64 s[14:15]
.Lpost_getpc448:
	s_add_u32 s14, s14, (.LBB1_1796-.Lpost_getpc448)&4294967295
	s_addc_u32 s15, s15, (.LBB1_1796-.Lpost_getpc448)>>32
	s_setpc_b64 s[14:15]
.LBB1_5893:
	s_movk_i32 s4, 0x80
	v_cmp_eq_u16_sdwa s[12:13], v12, s4 src0_sel:BYTE_0 src1_sel:DWORD
	s_mov_b64 s[4:5], -1
                                        ; implicit-def: $sgpr10
	s_and_saveexec_b64 s[8:9], s[12:13]
; %bb.5894:
	s_mov_b32 s10, 0x7f800001
	s_xor_b64 s[4:5], exec, -1
; %bb.5895:
	s_or_b64 exec, exec, s[8:9]
	s_and_b64 s[4:5], s[4:5], exec
	s_or_saveexec_b64 s[6:7], s[6:7]
	v_mov_b32_e32 v22, s10
	s_xor_b64 exec, exec, s[6:7]
	s_cbranch_execnz .LBB1_5896
; %bb.14079:
	s_getpc_b64 s[14:15]
.Lpost_getpc2943:
	s_add_u32 s14, s14, (.LBB1_1798-.Lpost_getpc2943)&4294967295
	s_addc_u32 s15, s15, (.LBB1_1798-.Lpost_getpc2943)>>32
	s_setpc_b64 s[14:15]
.LBB1_5896:
	v_mov_b32_e32 v22, 0
	v_cmp_ne_u16_sdwa s[8:9], v12, v22 src0_sel:BYTE_0 src1_sel:DWORD
	s_andn2_b64 s[4:5], s[4:5], exec
	s_and_b64 s[8:9], s[8:9], exec
	s_or_b64 s[4:5], s[4:5], s[8:9]
	s_or_b64 exec, exec, s[6:7]
	s_and_saveexec_b64 s[6:7], s[4:5]
	s_cbranch_execz .LBB1_9091
; %bb.14081:
	s_getpc_b64 s[14:15]
.Lpost_getpc2944:
	s_add_u32 s14, s14, (.LBB1_1799-.Lpost_getpc2944)&4294967295
	s_addc_u32 s15, s15, (.LBB1_1799-.Lpost_getpc2944)>>32
	s_setpc_b64 s[14:15]
.LBB1_9091:
	s_getpc_b64 s[14:15]
.Lpost_getpc449:
	s_add_u32 s14, s14, (.LBB1_1800-.Lpost_getpc449)&4294967295
	s_addc_u32 s15, s15, (.LBB1_1800-.Lpost_getpc449)>>32
	s_setpc_b64 s[14:15]
.LBB1_5897:
	s_movk_i32 s4, 0x80
	v_cmp_eq_u16_sdwa s[12:13], v22, s4 src0_sel:BYTE_0 src1_sel:DWORD
	s_mov_b64 s[4:5], -1
                                        ; implicit-def: $sgpr10
	s_and_saveexec_b64 s[8:9], s[12:13]
; %bb.5898:
	s_mov_b32 s10, 0x7f800001
	s_xor_b64 s[4:5], exec, -1
; %bb.5899:
	s_or_b64 exec, exec, s[8:9]
	s_and_b64 s[4:5], s[4:5], exec
	s_or_saveexec_b64 s[6:7], s[6:7]
	v_mov_b32_e32 v21, s10
	s_xor_b64 exec, exec, s[6:7]
	s_cbranch_execnz .LBB1_5900
; %bb.14083:
	s_getpc_b64 s[14:15]
.Lpost_getpc2945:
	s_add_u32 s14, s14, (.LBB1_1802-.Lpost_getpc2945)&4294967295
	s_addc_u32 s15, s15, (.LBB1_1802-.Lpost_getpc2945)>>32
	s_setpc_b64 s[14:15]
.LBB1_5900:
	v_mov_b32_e32 v21, 0
	v_cmp_ne_u16_sdwa s[8:9], v22, v21 src0_sel:BYTE_0 src1_sel:DWORD
	s_andn2_b64 s[4:5], s[4:5], exec
	s_and_b64 s[8:9], s[8:9], exec
	s_or_b64 s[4:5], s[4:5], s[8:9]
	s_or_b64 exec, exec, s[6:7]
	s_and_saveexec_b64 s[6:7], s[4:5]
	s_cbranch_execz .LBB1_9093
; %bb.14085:
	s_getpc_b64 s[14:15]
.Lpost_getpc2946:
	s_add_u32 s14, s14, (.LBB1_1803-.Lpost_getpc2946)&4294967295
	s_addc_u32 s15, s15, (.LBB1_1803-.Lpost_getpc2946)>>32
	s_setpc_b64 s[14:15]
.LBB1_9093:
	s_getpc_b64 s[14:15]
.Lpost_getpc450:
	s_add_u32 s14, s14, (.LBB1_1804-.Lpost_getpc450)&4294967295
	s_addc_u32 s15, s15, (.LBB1_1804-.Lpost_getpc450)>>32
	s_setpc_b64 s[14:15]
.LBB1_5901:
	s_movk_i32 s4, 0x80
	v_cmp_eq_u16_sdwa s[12:13], v22, s4 src0_sel:BYTE_0 src1_sel:DWORD
	s_mov_b64 s[4:5], -1
                                        ; implicit-def: $sgpr10
	s_and_saveexec_b64 s[8:9], s[12:13]
; %bb.5902:
	s_mov_b32 s10, 0x7f800001
	s_xor_b64 s[4:5], exec, -1
; %bb.5903:
	s_or_b64 exec, exec, s[8:9]
	s_and_b64 s[4:5], s[4:5], exec
	s_or_saveexec_b64 s[6:7], s[6:7]
	v_mov_b32_e32 v23, s10
	s_xor_b64 exec, exec, s[6:7]
	s_cbranch_execnz .LBB1_5904
; %bb.14087:
	s_getpc_b64 s[14:15]
.Lpost_getpc2947:
	s_add_u32 s14, s14, (.LBB1_1806-.Lpost_getpc2947)&4294967295
	s_addc_u32 s15, s15, (.LBB1_1806-.Lpost_getpc2947)>>32
	s_setpc_b64 s[14:15]
.LBB1_5904:
	v_mov_b32_e32 v23, 0
	v_cmp_ne_u16_sdwa s[8:9], v22, v23 src0_sel:BYTE_0 src1_sel:DWORD
	s_andn2_b64 s[4:5], s[4:5], exec
	s_and_b64 s[8:9], s[8:9], exec
	s_or_b64 s[4:5], s[4:5], s[8:9]
	s_or_b64 exec, exec, s[6:7]
	s_and_saveexec_b64 s[6:7], s[4:5]
	s_cbranch_execz .LBB1_9095
; %bb.14089:
	s_getpc_b64 s[14:15]
.Lpost_getpc2948:
	s_add_u32 s14, s14, (.LBB1_1807-.Lpost_getpc2948)&4294967295
	s_addc_u32 s15, s15, (.LBB1_1807-.Lpost_getpc2948)>>32
	s_setpc_b64 s[14:15]
.LBB1_9095:
	s_getpc_b64 s[14:15]
.Lpost_getpc451:
	s_add_u32 s14, s14, (.LBB1_1808-.Lpost_getpc451)&4294967295
	s_addc_u32 s15, s15, (.LBB1_1808-.Lpost_getpc451)>>32
	s_setpc_b64 s[14:15]
.LBB1_5905:
	s_movk_i32 s4, 0x80
	v_cmp_eq_u16_e32 vcc, s4, v22
	s_mov_b64 s[4:5], -1
                                        ; implicit-def: $sgpr10
	s_and_saveexec_b64 s[8:9], vcc
; %bb.5906:
	s_mov_b32 s10, 0x7f800001
	s_xor_b64 s[4:5], exec, -1
; %bb.5907:
	s_or_b64 exec, exec, s[8:9]
	s_and_b64 s[4:5], s[4:5], exec
                                        ; implicit-def: $vgpr22
	s_or_saveexec_b64 s[6:7], s[6:7]
	v_mov_b32_e32 v21, s10
	s_xor_b64 exec, exec, s[6:7]
	s_cbranch_execnz .LBB1_5908
; %bb.14091:
	s_getpc_b64 s[14:15]
.Lpost_getpc2949:
	s_add_u32 s14, s14, (.LBB1_1810-.Lpost_getpc2949)&4294967295
	s_addc_u32 s15, s15, (.LBB1_1810-.Lpost_getpc2949)>>32
	s_setpc_b64 s[14:15]
.LBB1_5908:
	v_cmp_ne_u16_e32 vcc, 0, v22
	s_andn2_b64 s[4:5], s[4:5], exec
	s_and_b64 s[8:9], vcc, exec
	v_mov_b32_e32 v21, 0
	s_or_b64 s[4:5], s[4:5], s[8:9]
	s_or_b64 exec, exec, s[6:7]
	s_and_saveexec_b64 s[6:7], s[4:5]
	s_cbranch_execz .LBB1_9097
; %bb.14093:
	s_getpc_b64 s[14:15]
.Lpost_getpc2950:
	s_add_u32 s14, s14, (.LBB1_1811-.Lpost_getpc2950)&4294967295
	s_addc_u32 s15, s15, (.LBB1_1811-.Lpost_getpc2950)>>32
	s_setpc_b64 s[14:15]
.LBB1_9097:
	s_getpc_b64 s[14:15]
.Lpost_getpc452:
	s_add_u32 s14, s14, (.LBB1_1812-.Lpost_getpc452)&4294967295
	s_addc_u32 s15, s15, (.LBB1_1812-.Lpost_getpc452)>>32
	s_setpc_b64 s[14:15]
.LBB1_5909:
	s_movk_i32 s4, 0x80
	v_cmp_eq_u16_e32 vcc, s4, v22
	s_mov_b64 s[4:5], -1
                                        ; implicit-def: $sgpr10
	s_and_saveexec_b64 s[8:9], vcc
; %bb.5910:
	s_mov_b32 s10, 0x7f800001
	s_xor_b64 s[4:5], exec, -1
; %bb.5911:
	s_or_b64 exec, exec, s[8:9]
	s_and_b64 s[4:5], s[4:5], exec
                                        ; implicit-def: $vgpr22
	s_or_saveexec_b64 s[6:7], s[6:7]
	v_mov_b32_e32 v23, s10
	s_xor_b64 exec, exec, s[6:7]
	s_cbranch_execnz .LBB1_5912
; %bb.14095:
	s_getpc_b64 s[14:15]
.Lpost_getpc2951:
	s_add_u32 s14, s14, (.LBB1_1814-.Lpost_getpc2951)&4294967295
	s_addc_u32 s15, s15, (.LBB1_1814-.Lpost_getpc2951)>>32
	s_setpc_b64 s[14:15]
.LBB1_5912:
	v_cmp_ne_u16_e32 vcc, 0, v22
	s_andn2_b64 s[4:5], s[4:5], exec
	s_and_b64 s[8:9], vcc, exec
	v_mov_b32_e32 v23, 0
	s_or_b64 s[4:5], s[4:5], s[8:9]
	s_or_b64 exec, exec, s[6:7]
	s_and_saveexec_b64 s[6:7], s[4:5]
	s_cbranch_execz .LBB1_9099
; %bb.14097:
	s_getpc_b64 s[14:15]
.Lpost_getpc2952:
	s_add_u32 s14, s14, (.LBB1_1815-.Lpost_getpc2952)&4294967295
	s_addc_u32 s15, s15, (.LBB1_1815-.Lpost_getpc2952)>>32
	s_setpc_b64 s[14:15]
.LBB1_9099:
	s_getpc_b64 s[14:15]
.Lpost_getpc453:
	s_add_u32 s14, s14, (.LBB1_1816-.Lpost_getpc453)&4294967295
	s_addc_u32 s15, s15, (.LBB1_1816-.Lpost_getpc453)>>32
	s_setpc_b64 s[14:15]
.LBB1_5913:
	s_movk_i32 s4, 0x80
	v_cmp_eq_u16_sdwa s[12:13], v16, s4 src0_sel:BYTE_3 src1_sel:DWORD
	s_mov_b64 s[4:5], -1
                                        ; implicit-def: $sgpr10
	s_and_saveexec_b64 s[8:9], s[12:13]
; %bb.5914:
	s_mov_b32 s10, 0x7f800001
	s_xor_b64 s[4:5], exec, -1
; %bb.5915:
	s_or_b64 exec, exec, s[8:9]
	s_and_b64 s[4:5], s[4:5], exec
	s_or_saveexec_b64 s[6:7], s[6:7]
	v_mov_b32_e32 v21, s10
	s_xor_b64 exec, exec, s[6:7]
	s_cbranch_execnz .LBB1_5916
; %bb.14099:
	s_getpc_b64 s[14:15]
.Lpost_getpc2953:
	s_add_u32 s14, s14, (.LBB1_1818-.Lpost_getpc2953)&4294967295
	s_addc_u32 s15, s15, (.LBB1_1818-.Lpost_getpc2953)>>32
	s_setpc_b64 s[14:15]
.LBB1_5916:
	v_mov_b32_e32 v21, 0
	v_cmp_ne_u16_sdwa s[8:9], v16, v21 src0_sel:BYTE_3 src1_sel:DWORD
	s_andn2_b64 s[4:5], s[4:5], exec
	s_and_b64 s[8:9], s[8:9], exec
	s_or_b64 s[4:5], s[4:5], s[8:9]
	s_or_b64 exec, exec, s[6:7]
	s_and_saveexec_b64 s[6:7], s[4:5]
	s_cbranch_execz .LBB1_9101
; %bb.14101:
	s_getpc_b64 s[14:15]
.Lpost_getpc2954:
	s_add_u32 s14, s14, (.LBB1_1819-.Lpost_getpc2954)&4294967295
	s_addc_u32 s15, s15, (.LBB1_1819-.Lpost_getpc2954)>>32
	s_setpc_b64 s[14:15]
.LBB1_9101:
	s_getpc_b64 s[14:15]
.Lpost_getpc454:
	s_add_u32 s14, s14, (.LBB1_1820-.Lpost_getpc454)&4294967295
	s_addc_u32 s15, s15, (.LBB1_1820-.Lpost_getpc454)>>32
	s_setpc_b64 s[14:15]
.LBB1_5917:
	s_movk_i32 s4, 0x80
	v_cmp_eq_u16_sdwa s[12:13], v12, s4 src0_sel:BYTE_3 src1_sel:DWORD
	s_mov_b64 s[4:5], -1
                                        ; implicit-def: $sgpr10
	s_and_saveexec_b64 s[8:9], s[12:13]
; %bb.5918:
	s_mov_b32 s10, 0x7f800001
	s_xor_b64 s[4:5], exec, -1
; %bb.5919:
	s_or_b64 exec, exec, s[8:9]
	s_and_b64 s[4:5], s[4:5], exec
	s_or_saveexec_b64 s[6:7], s[6:7]
	v_mov_b32_e32 v16, s10
	s_xor_b64 exec, exec, s[6:7]
	s_cbranch_execnz .LBB1_5920
; %bb.14103:
	s_getpc_b64 s[14:15]
.Lpost_getpc2955:
	s_add_u32 s14, s14, (.LBB1_1822-.Lpost_getpc2955)&4294967295
	s_addc_u32 s15, s15, (.LBB1_1822-.Lpost_getpc2955)>>32
	s_setpc_b64 s[14:15]
.LBB1_5920:
	v_mov_b32_e32 v16, 0
	v_cmp_ne_u16_sdwa s[8:9], v12, v16 src0_sel:BYTE_3 src1_sel:DWORD
	s_andn2_b64 s[4:5], s[4:5], exec
	s_and_b64 s[8:9], s[8:9], exec
	s_or_b64 s[4:5], s[4:5], s[8:9]
	s_or_b64 exec, exec, s[6:7]
	s_and_saveexec_b64 s[6:7], s[4:5]
	s_cbranch_execz .LBB1_9103
; %bb.14105:
	s_getpc_b64 s[14:15]
.Lpost_getpc2956:
	s_add_u32 s14, s14, (.LBB1_1823-.Lpost_getpc2956)&4294967295
	s_addc_u32 s15, s15, (.LBB1_1823-.Lpost_getpc2956)>>32
	s_setpc_b64 s[14:15]
.LBB1_9103:
	s_getpc_b64 s[14:15]
.Lpost_getpc455:
	s_add_u32 s14, s14, (.LBB1_1824-.Lpost_getpc455)&4294967295
	s_addc_u32 s15, s15, (.LBB1_1824-.Lpost_getpc455)>>32
	s_setpc_b64 s[14:15]
.LBB1_5921:
	s_movk_i32 s4, 0x80
	v_cmp_eq_u16_sdwa s[12:13], v17, s4 src0_sel:BYTE_0 src1_sel:DWORD
	s_mov_b64 s[4:5], -1
                                        ; implicit-def: $sgpr10
	s_and_saveexec_b64 s[8:9], s[12:13]
; %bb.5922:
	s_mov_b32 s10, 0x7f800001
	s_xor_b64 s[4:5], exec, -1
; %bb.5923:
	s_or_b64 exec, exec, s[8:9]
	s_and_b64 s[4:5], s[4:5], exec
	s_or_saveexec_b64 s[6:7], s[6:7]
	v_mov_b32_e32 v12, s10
	s_xor_b64 exec, exec, s[6:7]
	s_cbranch_execnz .LBB1_5924
; %bb.14107:
	s_getpc_b64 s[14:15]
.Lpost_getpc2957:
	s_add_u32 s14, s14, (.LBB1_1826-.Lpost_getpc2957)&4294967295
	s_addc_u32 s15, s15, (.LBB1_1826-.Lpost_getpc2957)>>32
	s_setpc_b64 s[14:15]
.LBB1_5924:
	v_mov_b32_e32 v12, 0
	v_cmp_ne_u16_sdwa s[8:9], v17, v12 src0_sel:BYTE_0 src1_sel:DWORD
	s_andn2_b64 s[4:5], s[4:5], exec
	s_and_b64 s[8:9], s[8:9], exec
	s_or_b64 s[4:5], s[4:5], s[8:9]
	s_or_b64 exec, exec, s[6:7]
	s_and_saveexec_b64 s[6:7], s[4:5]
	s_cbranch_execz .LBB1_9105
; %bb.14109:
	s_getpc_b64 s[14:15]
.Lpost_getpc2958:
	s_add_u32 s14, s14, (.LBB1_1827-.Lpost_getpc2958)&4294967295
	s_addc_u32 s15, s15, (.LBB1_1827-.Lpost_getpc2958)>>32
	s_setpc_b64 s[14:15]
.LBB1_9105:
	s_getpc_b64 s[14:15]
.Lpost_getpc456:
	s_add_u32 s14, s14, (.LBB1_1828-.Lpost_getpc456)&4294967295
	s_addc_u32 s15, s15, (.LBB1_1828-.Lpost_getpc456)>>32
	s_setpc_b64 s[14:15]
.LBB1_5925:
	s_movk_i32 s4, 0x80
	v_cmp_eq_u16_sdwa s[12:13], v13, s4 src0_sel:BYTE_0 src1_sel:DWORD
	s_mov_b64 s[4:5], -1
                                        ; implicit-def: $sgpr10
	s_and_saveexec_b64 s[8:9], s[12:13]
; %bb.5926:
	s_mov_b32 s10, 0x7f800001
	s_xor_b64 s[4:5], exec, -1
; %bb.5927:
	s_or_b64 exec, exec, s[8:9]
	s_and_b64 s[4:5], s[4:5], exec
	s_or_saveexec_b64 s[6:7], s[6:7]
	v_mov_b32_e32 v16, s10
	s_xor_b64 exec, exec, s[6:7]
	s_cbranch_execnz .LBB1_5928
; %bb.14111:
	s_getpc_b64 s[14:15]
.Lpost_getpc2959:
	s_add_u32 s14, s14, (.LBB1_1830-.Lpost_getpc2959)&4294967295
	s_addc_u32 s15, s15, (.LBB1_1830-.Lpost_getpc2959)>>32
	s_setpc_b64 s[14:15]
.LBB1_5928:
	v_mov_b32_e32 v16, 0
	v_cmp_ne_u16_sdwa s[8:9], v13, v16 src0_sel:BYTE_0 src1_sel:DWORD
	s_andn2_b64 s[4:5], s[4:5], exec
	s_and_b64 s[8:9], s[8:9], exec
	s_or_b64 s[4:5], s[4:5], s[8:9]
	s_or_b64 exec, exec, s[6:7]
	s_and_saveexec_b64 s[6:7], s[4:5]
	s_cbranch_execz .LBB1_9107
; %bb.14113:
	s_getpc_b64 s[14:15]
.Lpost_getpc2960:
	s_add_u32 s14, s14, (.LBB1_1831-.Lpost_getpc2960)&4294967295
	s_addc_u32 s15, s15, (.LBB1_1831-.Lpost_getpc2960)>>32
	s_setpc_b64 s[14:15]
.LBB1_9107:
	s_getpc_b64 s[14:15]
.Lpost_getpc457:
	s_add_u32 s14, s14, (.LBB1_1832-.Lpost_getpc457)&4294967295
	s_addc_u32 s15, s15, (.LBB1_1832-.Lpost_getpc457)>>32
	s_setpc_b64 s[14:15]
.LBB1_5929:
	s_movk_i32 s4, 0x80
	v_cmp_eq_u16_sdwa s[12:13], v16, s4 src0_sel:BYTE_0 src1_sel:DWORD
	s_mov_b64 s[4:5], -1
                                        ; implicit-def: $sgpr10
	s_and_saveexec_b64 s[8:9], s[12:13]
; %bb.5930:
	s_mov_b32 s10, 0x7f800001
	s_xor_b64 s[4:5], exec, -1
; %bb.5931:
	s_or_b64 exec, exec, s[8:9]
	s_and_b64 s[4:5], s[4:5], exec
	s_or_saveexec_b64 s[6:7], s[6:7]
	v_mov_b32_e32 v12, s10
	s_xor_b64 exec, exec, s[6:7]
	s_cbranch_execnz .LBB1_5932
; %bb.14115:
	s_getpc_b64 s[14:15]
.Lpost_getpc2961:
	s_add_u32 s14, s14, (.LBB1_1834-.Lpost_getpc2961)&4294967295
	s_addc_u32 s15, s15, (.LBB1_1834-.Lpost_getpc2961)>>32
	s_setpc_b64 s[14:15]
.LBB1_5932:
	v_mov_b32_e32 v12, 0
	v_cmp_ne_u16_sdwa s[8:9], v16, v12 src0_sel:BYTE_0 src1_sel:DWORD
	s_andn2_b64 s[4:5], s[4:5], exec
	s_and_b64 s[8:9], s[8:9], exec
	s_or_b64 s[4:5], s[4:5], s[8:9]
	s_or_b64 exec, exec, s[6:7]
	s_and_saveexec_b64 s[6:7], s[4:5]
	s_cbranch_execz .LBB1_9109
; %bb.14117:
	s_getpc_b64 s[14:15]
.Lpost_getpc2962:
	s_add_u32 s14, s14, (.LBB1_1835-.Lpost_getpc2962)&4294967295
	s_addc_u32 s15, s15, (.LBB1_1835-.Lpost_getpc2962)>>32
	s_setpc_b64 s[14:15]
.LBB1_9109:
	s_getpc_b64 s[14:15]
.Lpost_getpc458:
	s_add_u32 s14, s14, (.LBB1_1836-.Lpost_getpc458)&4294967295
	s_addc_u32 s15, s15, (.LBB1_1836-.Lpost_getpc458)>>32
	s_setpc_b64 s[14:15]
.LBB1_5933:
	s_movk_i32 s4, 0x80
	v_cmp_eq_u16_sdwa s[12:13], v16, s4 src0_sel:BYTE_0 src1_sel:DWORD
	s_mov_b64 s[4:5], -1
                                        ; implicit-def: $sgpr10
	s_and_saveexec_b64 s[8:9], s[12:13]
; %bb.5934:
	s_mov_b32 s10, 0x7f800001
	s_xor_b64 s[4:5], exec, -1
; %bb.5935:
	s_or_b64 exec, exec, s[8:9]
	s_and_b64 s[4:5], s[4:5], exec
	s_or_saveexec_b64 s[6:7], s[6:7]
	v_mov_b32_e32 v21, s10
	s_xor_b64 exec, exec, s[6:7]
	s_cbranch_execnz .LBB1_5936
; %bb.14119:
	s_getpc_b64 s[14:15]
.Lpost_getpc2963:
	s_add_u32 s14, s14, (.LBB1_1838-.Lpost_getpc2963)&4294967295
	s_addc_u32 s15, s15, (.LBB1_1838-.Lpost_getpc2963)>>32
	s_setpc_b64 s[14:15]
.LBB1_5936:
	v_mov_b32_e32 v21, 0
	v_cmp_ne_u16_sdwa s[8:9], v16, v21 src0_sel:BYTE_0 src1_sel:DWORD
	s_andn2_b64 s[4:5], s[4:5], exec
	s_and_b64 s[8:9], s[8:9], exec
	s_or_b64 s[4:5], s[4:5], s[8:9]
	s_or_b64 exec, exec, s[6:7]
	s_and_saveexec_b64 s[6:7], s[4:5]
	s_cbranch_execz .LBB1_9111
; %bb.14121:
	s_getpc_b64 s[14:15]
.Lpost_getpc2964:
	s_add_u32 s14, s14, (.LBB1_1839-.Lpost_getpc2964)&4294967295
	s_addc_u32 s15, s15, (.LBB1_1839-.Lpost_getpc2964)>>32
	s_setpc_b64 s[14:15]
.LBB1_9111:
	s_getpc_b64 s[14:15]
.Lpost_getpc459:
	s_add_u32 s14, s14, (.LBB1_1840-.Lpost_getpc459)&4294967295
	s_addc_u32 s15, s15, (.LBB1_1840-.Lpost_getpc459)>>32
	s_setpc_b64 s[14:15]
.LBB1_5937:
	s_movk_i32 s4, 0x80
	v_cmp_eq_u16_e32 vcc, s4, v16
	s_mov_b64 s[4:5], -1
                                        ; implicit-def: $sgpr10
	s_and_saveexec_b64 s[8:9], vcc
; %bb.5938:
	s_mov_b32 s10, 0x7f800001
	s_xor_b64 s[4:5], exec, -1
; %bb.5939:
	s_or_b64 exec, exec, s[8:9]
	s_and_b64 s[4:5], s[4:5], exec
                                        ; implicit-def: $vgpr16
	s_or_saveexec_b64 s[6:7], s[6:7]
	v_mov_b32_e32 v12, s10
	s_xor_b64 exec, exec, s[6:7]
	s_cbranch_execnz .LBB1_5940
; %bb.14123:
	s_getpc_b64 s[14:15]
.Lpost_getpc2965:
	s_add_u32 s14, s14, (.LBB1_1842-.Lpost_getpc2965)&4294967295
	s_addc_u32 s15, s15, (.LBB1_1842-.Lpost_getpc2965)>>32
	s_setpc_b64 s[14:15]
.LBB1_5940:
	v_cmp_ne_u16_e32 vcc, 0, v16
	s_andn2_b64 s[4:5], s[4:5], exec
	s_and_b64 s[8:9], vcc, exec
	v_mov_b32_e32 v12, 0
	s_or_b64 s[4:5], s[4:5], s[8:9]
	s_or_b64 exec, exec, s[6:7]
	s_and_saveexec_b64 s[6:7], s[4:5]
	s_cbranch_execz .LBB1_9113
; %bb.14125:
	s_getpc_b64 s[14:15]
.Lpost_getpc2966:
	s_add_u32 s14, s14, (.LBB1_1843-.Lpost_getpc2966)&4294967295
	s_addc_u32 s15, s15, (.LBB1_1843-.Lpost_getpc2966)>>32
	s_setpc_b64 s[14:15]
.LBB1_9113:
	s_getpc_b64 s[14:15]
.Lpost_getpc460:
	s_add_u32 s14, s14, (.LBB1_1844-.Lpost_getpc460)&4294967295
	s_addc_u32 s15, s15, (.LBB1_1844-.Lpost_getpc460)>>32
	s_setpc_b64 s[14:15]
.LBB1_5941:
	s_movk_i32 s4, 0x80
	v_cmp_eq_u16_e32 vcc, s4, v16
	s_mov_b64 s[4:5], -1
                                        ; implicit-def: $sgpr10
	s_and_saveexec_b64 s[8:9], vcc
; %bb.5942:
	s_mov_b32 s10, 0x7f800001
	s_xor_b64 s[4:5], exec, -1
; %bb.5943:
	s_or_b64 exec, exec, s[8:9]
	s_and_b64 s[4:5], s[4:5], exec
                                        ; implicit-def: $vgpr16
	s_or_saveexec_b64 s[6:7], s[6:7]
	v_mov_b32_e32 v21, s10
	s_xor_b64 exec, exec, s[6:7]
	s_cbranch_execnz .LBB1_5944
; %bb.14127:
	s_getpc_b64 s[14:15]
.Lpost_getpc2967:
	s_add_u32 s14, s14, (.LBB1_1846-.Lpost_getpc2967)&4294967295
	s_addc_u32 s15, s15, (.LBB1_1846-.Lpost_getpc2967)>>32
	s_setpc_b64 s[14:15]
.LBB1_5944:
	v_cmp_ne_u16_e32 vcc, 0, v16
	s_andn2_b64 s[4:5], s[4:5], exec
	s_and_b64 s[8:9], vcc, exec
	v_mov_b32_e32 v21, 0
	s_or_b64 s[4:5], s[4:5], s[8:9]
	s_or_b64 exec, exec, s[6:7]
	s_and_saveexec_b64 s[6:7], s[4:5]
	s_cbranch_execz .LBB1_9115
; %bb.14129:
	s_getpc_b64 s[14:15]
.Lpost_getpc2968:
	s_add_u32 s14, s14, (.LBB1_1847-.Lpost_getpc2968)&4294967295
	s_addc_u32 s15, s15, (.LBB1_1847-.Lpost_getpc2968)>>32
	s_setpc_b64 s[14:15]
.LBB1_9115:
	s_getpc_b64 s[14:15]
.Lpost_getpc461:
	s_add_u32 s14, s14, (.LBB1_1848-.Lpost_getpc461)&4294967295
	s_addc_u32 s15, s15, (.LBB1_1848-.Lpost_getpc461)>>32
	s_setpc_b64 s[14:15]
.LBB1_5945:
	s_movk_i32 s4, 0x80
	v_cmp_eq_u16_sdwa s[12:13], v17, s4 src0_sel:BYTE_3 src1_sel:DWORD
	s_mov_b64 s[4:5], -1
                                        ; implicit-def: $sgpr10
	s_and_saveexec_b64 s[8:9], s[12:13]
; %bb.5946:
	s_mov_b32 s10, 0x7f800001
	s_xor_b64 s[4:5], exec, -1
; %bb.5947:
	s_or_b64 exec, exec, s[8:9]
	s_and_b64 s[4:5], s[4:5], exec
	s_or_saveexec_b64 s[6:7], s[6:7]
	v_mov_b32_e32 v12, s10
	s_xor_b64 exec, exec, s[6:7]
	s_cbranch_execnz .LBB1_5948
; %bb.14131:
	s_getpc_b64 s[14:15]
.Lpost_getpc2969:
	s_add_u32 s14, s14, (.LBB1_1850-.Lpost_getpc2969)&4294967295
	s_addc_u32 s15, s15, (.LBB1_1850-.Lpost_getpc2969)>>32
	s_setpc_b64 s[14:15]
.LBB1_5948:
	v_mov_b32_e32 v12, 0
	v_cmp_ne_u16_sdwa s[8:9], v17, v12 src0_sel:BYTE_3 src1_sel:DWORD
	s_andn2_b64 s[4:5], s[4:5], exec
	s_and_b64 s[8:9], s[8:9], exec
	s_or_b64 s[4:5], s[4:5], s[8:9]
	s_or_b64 exec, exec, s[6:7]
	s_and_saveexec_b64 s[6:7], s[4:5]
	s_cbranch_execz .LBB1_9117
; %bb.14133:
	s_getpc_b64 s[14:15]
.Lpost_getpc2970:
	s_add_u32 s14, s14, (.LBB1_1851-.Lpost_getpc2970)&4294967295
	s_addc_u32 s15, s15, (.LBB1_1851-.Lpost_getpc2970)>>32
	s_setpc_b64 s[14:15]
.LBB1_9117:
	s_getpc_b64 s[14:15]
.Lpost_getpc462:
	s_add_u32 s14, s14, (.LBB1_1852-.Lpost_getpc462)&4294967295
	s_addc_u32 s15, s15, (.LBB1_1852-.Lpost_getpc462)>>32
	s_setpc_b64 s[14:15]
.LBB1_5949:
	s_movk_i32 s4, 0x80
	v_cmp_eq_u16_sdwa s[12:13], v13, s4 src0_sel:BYTE_3 src1_sel:DWORD
	s_mov_b64 s[4:5], -1
                                        ; implicit-def: $sgpr10
	s_and_saveexec_b64 s[8:9], s[12:13]
; %bb.5950:
	s_mov_b32 s10, 0x7f800001
	s_xor_b64 s[4:5], exec, -1
; %bb.5951:
	s_or_b64 exec, exec, s[8:9]
	s_and_b64 s[4:5], s[4:5], exec
	s_or_saveexec_b64 s[6:7], s[6:7]
	v_mov_b32_e32 v16, s10
	s_xor_b64 exec, exec, s[6:7]
	s_cbranch_execnz .LBB1_5952
; %bb.14135:
	s_getpc_b64 s[14:15]
.Lpost_getpc2971:
	s_add_u32 s14, s14, (.LBB1_1854-.Lpost_getpc2971)&4294967295
	s_addc_u32 s15, s15, (.LBB1_1854-.Lpost_getpc2971)>>32
	s_setpc_b64 s[14:15]
.LBB1_5952:
	v_mov_b32_e32 v16, 0
	v_cmp_ne_u16_sdwa s[8:9], v13, v16 src0_sel:BYTE_3 src1_sel:DWORD
	s_andn2_b64 s[4:5], s[4:5], exec
	s_and_b64 s[8:9], s[8:9], exec
	s_or_b64 s[4:5], s[4:5], s[8:9]
	s_or_b64 exec, exec, s[6:7]
	s_and_saveexec_b64 s[6:7], s[4:5]
	s_cbranch_execz .LBB1_9119
; %bb.14137:
	s_getpc_b64 s[14:15]
.Lpost_getpc2972:
	s_add_u32 s14, s14, (.LBB1_1855-.Lpost_getpc2972)&4294967295
	s_addc_u32 s15, s15, (.LBB1_1855-.Lpost_getpc2972)>>32
	s_setpc_b64 s[14:15]
.LBB1_9119:
	s_getpc_b64 s[14:15]
.Lpost_getpc463:
	s_add_u32 s14, s14, (.LBB1_1856-.Lpost_getpc463)&4294967295
	s_addc_u32 s15, s15, (.LBB1_1856-.Lpost_getpc463)>>32
	s_setpc_b64 s[14:15]
.LBB1_5953:
	s_movk_i32 s4, 0x80
	v_cmp_eq_u16_sdwa s[12:13], v18, s4 src0_sel:BYTE_0 src1_sel:DWORD
	s_mov_b64 s[4:5], -1
                                        ; implicit-def: $sgpr10
	s_and_saveexec_b64 s[8:9], s[12:13]
; %bb.5954:
	s_mov_b32 s10, 0x7f800001
	s_xor_b64 s[4:5], exec, -1
; %bb.5955:
	s_or_b64 exec, exec, s[8:9]
	s_and_b64 s[4:5], s[4:5], exec
	s_or_saveexec_b64 s[6:7], s[6:7]
	v_mov_b32_e32 v13, s10
	s_xor_b64 exec, exec, s[6:7]
	s_cbranch_execnz .LBB1_5956
; %bb.14139:
	s_getpc_b64 s[14:15]
.Lpost_getpc2973:
	s_add_u32 s14, s14, (.LBB1_1858-.Lpost_getpc2973)&4294967295
	s_addc_u32 s15, s15, (.LBB1_1858-.Lpost_getpc2973)>>32
	s_setpc_b64 s[14:15]
.LBB1_5956:
	v_mov_b32_e32 v13, 0
	v_cmp_ne_u16_sdwa s[8:9], v18, v13 src0_sel:BYTE_0 src1_sel:DWORD
	s_andn2_b64 s[4:5], s[4:5], exec
	s_and_b64 s[8:9], s[8:9], exec
	s_or_b64 s[4:5], s[4:5], s[8:9]
	s_or_b64 exec, exec, s[6:7]
	s_and_saveexec_b64 s[6:7], s[4:5]
	s_cbranch_execz .LBB1_9121
; %bb.14141:
	s_getpc_b64 s[14:15]
.Lpost_getpc2974:
	s_add_u32 s14, s14, (.LBB1_1859-.Lpost_getpc2974)&4294967295
	s_addc_u32 s15, s15, (.LBB1_1859-.Lpost_getpc2974)>>32
	s_setpc_b64 s[14:15]
.LBB1_9121:
	s_getpc_b64 s[14:15]
.Lpost_getpc464:
	s_add_u32 s14, s14, (.LBB1_1860-.Lpost_getpc464)&4294967295
	s_addc_u32 s15, s15, (.LBB1_1860-.Lpost_getpc464)>>32
	s_setpc_b64 s[14:15]
.LBB1_5957:
	s_movk_i32 s4, 0x80
	v_cmp_eq_u16_sdwa s[12:13], v16, s4 src0_sel:BYTE_0 src1_sel:DWORD
	s_mov_b64 s[4:5], -1
                                        ; implicit-def: $sgpr10
	s_and_saveexec_b64 s[8:9], s[12:13]
; %bb.5958:
	s_mov_b32 s10, 0x7f800001
	s_xor_b64 s[4:5], exec, -1
; %bb.5959:
	s_or_b64 exec, exec, s[8:9]
	s_and_b64 s[4:5], s[4:5], exec
	s_or_saveexec_b64 s[6:7], s[6:7]
	v_mov_b32_e32 v14, s10
	s_xor_b64 exec, exec, s[6:7]
	s_cbranch_execnz .LBB1_5960
; %bb.14143:
	s_getpc_b64 s[14:15]
.Lpost_getpc2975:
	s_add_u32 s14, s14, (.LBB1_1862-.Lpost_getpc2975)&4294967295
	s_addc_u32 s15, s15, (.LBB1_1862-.Lpost_getpc2975)>>32
	s_setpc_b64 s[14:15]
.LBB1_5960:
	v_mov_b32_e32 v14, 0
	v_cmp_ne_u16_sdwa s[8:9], v16, v14 src0_sel:BYTE_0 src1_sel:DWORD
	s_andn2_b64 s[4:5], s[4:5], exec
	s_and_b64 s[8:9], s[8:9], exec
	s_or_b64 s[4:5], s[4:5], s[8:9]
	s_or_b64 exec, exec, s[6:7]
	v_or_b32_sdwa v12, v16, v12 dst_sel:DWORD dst_unused:UNUSED_PAD src0_sel:WORD_0 src1_sel:DWORD
	s_and_saveexec_b64 s[6:7], s[4:5]
	s_cbranch_execz .LBB1_9123
; %bb.14145:
	s_getpc_b64 s[14:15]
.Lpost_getpc2976:
	s_add_u32 s14, s14, (.LBB1_1863-.Lpost_getpc2976)&4294967295
	s_addc_u32 s15, s15, (.LBB1_1863-.Lpost_getpc2976)>>32
	s_setpc_b64 s[14:15]
.LBB1_9123:
	s_getpc_b64 s[14:15]
.Lpost_getpc465:
	s_add_u32 s14, s14, (.LBB1_1864-.Lpost_getpc465)&4294967295
	s_addc_u32 s15, s15, (.LBB1_1864-.Lpost_getpc465)>>32
	s_setpc_b64 s[14:15]
.LBB1_5961:
	s_movk_i32 s4, 0x80
	v_cmp_eq_u16_sdwa s[12:13], v14, s4 src0_sel:BYTE_0 src1_sel:DWORD
	s_mov_b64 s[4:5], -1
                                        ; implicit-def: $sgpr10
	s_and_saveexec_b64 s[8:9], s[12:13]
; %bb.5962:
	s_mov_b32 s10, 0x7f800001
	s_xor_b64 s[4:5], exec, -1
; %bb.5963:
	s_or_b64 exec, exec, s[8:9]
	s_and_b64 s[4:5], s[4:5], exec
	s_or_saveexec_b64 s[6:7], s[6:7]
	v_mov_b32_e32 v13, s10
	s_xor_b64 exec, exec, s[6:7]
	s_cbranch_execnz .LBB1_5964
; %bb.14147:
	s_getpc_b64 s[14:15]
.Lpost_getpc2977:
	s_add_u32 s14, s14, (.LBB1_1866-.Lpost_getpc2977)&4294967295
	s_addc_u32 s15, s15, (.LBB1_1866-.Lpost_getpc2977)>>32
	s_setpc_b64 s[14:15]
.LBB1_5964:
	v_mov_b32_e32 v13, 0
	v_cmp_ne_u16_sdwa s[8:9], v14, v13 src0_sel:BYTE_0 src1_sel:DWORD
	s_andn2_b64 s[4:5], s[4:5], exec
	s_and_b64 s[8:9], s[8:9], exec
	s_or_b64 s[4:5], s[4:5], s[8:9]
	s_or_b64 exec, exec, s[6:7]
	s_and_saveexec_b64 s[6:7], s[4:5]
	s_cbranch_execz .LBB1_9125
; %bb.14149:
	s_getpc_b64 s[14:15]
.Lpost_getpc2978:
	s_add_u32 s14, s14, (.LBB1_1867-.Lpost_getpc2978)&4294967295
	s_addc_u32 s15, s15, (.LBB1_1867-.Lpost_getpc2978)>>32
	s_setpc_b64 s[14:15]
.LBB1_9125:
	s_getpc_b64 s[14:15]
.Lpost_getpc466:
	s_add_u32 s14, s14, (.LBB1_1868-.Lpost_getpc466)&4294967295
	s_addc_u32 s15, s15, (.LBB1_1868-.Lpost_getpc466)>>32
	s_setpc_b64 s[14:15]
.LBB1_5965:
	s_movk_i32 s4, 0x80
	v_cmp_eq_u16_sdwa s[12:13], v14, s4 src0_sel:BYTE_0 src1_sel:DWORD
	s_mov_b64 s[4:5], -1
                                        ; implicit-def: $sgpr10
	s_and_saveexec_b64 s[8:9], s[12:13]
; %bb.5966:
	s_mov_b32 s10, 0x7f800001
	s_xor_b64 s[4:5], exec, -1
; %bb.5967:
	s_or_b64 exec, exec, s[8:9]
	s_and_b64 s[4:5], s[4:5], exec
	s_or_saveexec_b64 s[6:7], s[6:7]
	v_mov_b32_e32 v16, s10
	s_xor_b64 exec, exec, s[6:7]
	s_cbranch_execnz .LBB1_5968
; %bb.14151:
	s_getpc_b64 s[14:15]
.Lpost_getpc2979:
	s_add_u32 s14, s14, (.LBB1_1870-.Lpost_getpc2979)&4294967295
	s_addc_u32 s15, s15, (.LBB1_1870-.Lpost_getpc2979)>>32
	s_setpc_b64 s[14:15]
.LBB1_5968:
	v_mov_b32_e32 v16, 0
	v_cmp_ne_u16_sdwa s[8:9], v14, v16 src0_sel:BYTE_0 src1_sel:DWORD
	s_andn2_b64 s[4:5], s[4:5], exec
	s_and_b64 s[8:9], s[8:9], exec
	s_or_b64 s[4:5], s[4:5], s[8:9]
	s_or_b64 exec, exec, s[6:7]
	s_and_saveexec_b64 s[6:7], s[4:5]
	s_cbranch_execz .LBB1_9127
; %bb.14153:
	s_getpc_b64 s[14:15]
.Lpost_getpc2980:
	s_add_u32 s14, s14, (.LBB1_1871-.Lpost_getpc2980)&4294967295
	s_addc_u32 s15, s15, (.LBB1_1871-.Lpost_getpc2980)>>32
	s_setpc_b64 s[14:15]
.LBB1_9127:
	s_getpc_b64 s[14:15]
.Lpost_getpc467:
	s_add_u32 s14, s14, (.LBB1_1872-.Lpost_getpc467)&4294967295
	s_addc_u32 s15, s15, (.LBB1_1872-.Lpost_getpc467)>>32
	s_setpc_b64 s[14:15]
.LBB1_5969:
	s_movk_i32 s4, 0x80
	v_cmp_eq_u16_e32 vcc, s4, v14
	s_mov_b64 s[4:5], -1
                                        ; implicit-def: $sgpr10
	s_and_saveexec_b64 s[8:9], vcc
; %bb.5970:
	s_mov_b32 s10, 0x7f800001
	s_xor_b64 s[4:5], exec, -1
; %bb.5971:
	s_or_b64 exec, exec, s[8:9]
	s_and_b64 s[4:5], s[4:5], exec
                                        ; implicit-def: $vgpr14
	s_or_saveexec_b64 s[6:7], s[6:7]
	v_mov_b32_e32 v13, s10
	s_xor_b64 exec, exec, s[6:7]
	s_cbranch_execnz .LBB1_5972
; %bb.14155:
	s_getpc_b64 s[14:15]
.Lpost_getpc2981:
	s_add_u32 s14, s14, (.LBB1_1874-.Lpost_getpc2981)&4294967295
	s_addc_u32 s15, s15, (.LBB1_1874-.Lpost_getpc2981)>>32
	s_setpc_b64 s[14:15]
.LBB1_5972:
	v_cmp_ne_u16_e32 vcc, 0, v14
	s_andn2_b64 s[4:5], s[4:5], exec
	s_and_b64 s[8:9], vcc, exec
	v_mov_b32_e32 v13, 0
	s_or_b64 s[4:5], s[4:5], s[8:9]
	s_or_b64 exec, exec, s[6:7]
	s_and_saveexec_b64 s[6:7], s[4:5]
	s_cbranch_execz .LBB1_9129
; %bb.14157:
	s_getpc_b64 s[14:15]
.Lpost_getpc2982:
	s_add_u32 s14, s14, (.LBB1_1875-.Lpost_getpc2982)&4294967295
	s_addc_u32 s15, s15, (.LBB1_1875-.Lpost_getpc2982)>>32
	s_setpc_b64 s[14:15]
.LBB1_9129:
	s_getpc_b64 s[14:15]
.Lpost_getpc468:
	s_add_u32 s14, s14, (.LBB1_1876-.Lpost_getpc468)&4294967295
	s_addc_u32 s15, s15, (.LBB1_1876-.Lpost_getpc468)>>32
	s_setpc_b64 s[14:15]
.LBB1_5973:
	s_movk_i32 s4, 0x80
	v_cmp_eq_u16_e32 vcc, s4, v14
	s_mov_b64 s[4:5], -1
                                        ; implicit-def: $sgpr10
	s_and_saveexec_b64 s[8:9], vcc
; %bb.5974:
	s_mov_b32 s10, 0x7f800001
	s_xor_b64 s[4:5], exec, -1
; %bb.5975:
	s_or_b64 exec, exec, s[8:9]
	s_and_b64 s[4:5], s[4:5], exec
                                        ; implicit-def: $vgpr14
	s_or_saveexec_b64 s[6:7], s[6:7]
	v_mov_b32_e32 v16, s10
	s_xor_b64 exec, exec, s[6:7]
	s_cbranch_execnz .LBB1_5976
; %bb.14159:
	s_getpc_b64 s[14:15]
.Lpost_getpc2983:
	s_add_u32 s14, s14, (.LBB1_1878-.Lpost_getpc2983)&4294967295
	s_addc_u32 s15, s15, (.LBB1_1878-.Lpost_getpc2983)>>32
	s_setpc_b64 s[14:15]
.LBB1_5976:
	v_cmp_ne_u16_e32 vcc, 0, v14
	s_andn2_b64 s[4:5], s[4:5], exec
	s_and_b64 s[8:9], vcc, exec
	v_mov_b32_e32 v16, 0
	s_or_b64 s[4:5], s[4:5], s[8:9]
	s_or_b64 exec, exec, s[6:7]
	s_and_saveexec_b64 s[6:7], s[4:5]
	s_cbranch_execz .LBB1_9131
; %bb.14161:
	s_getpc_b64 s[14:15]
.Lpost_getpc2984:
	s_add_u32 s14, s14, (.LBB1_1879-.Lpost_getpc2984)&4294967295
	s_addc_u32 s15, s15, (.LBB1_1879-.Lpost_getpc2984)>>32
	s_setpc_b64 s[14:15]
.LBB1_9131:
	s_getpc_b64 s[14:15]
.Lpost_getpc469:
	s_add_u32 s14, s14, (.LBB1_1880-.Lpost_getpc469)&4294967295
	s_addc_u32 s15, s15, (.LBB1_1880-.Lpost_getpc469)>>32
	s_setpc_b64 s[14:15]
.LBB1_5977:
	s_movk_i32 s4, 0x80
	v_cmp_eq_u16_sdwa s[12:13], v18, s4 src0_sel:BYTE_3 src1_sel:DWORD
	s_mov_b64 s[4:5], -1
                                        ; implicit-def: $sgpr10
	s_and_saveexec_b64 s[8:9], s[12:13]
; %bb.5978:
	s_mov_b32 s10, 0x7f800001
	s_xor_b64 s[4:5], exec, -1
; %bb.5979:
	s_or_b64 exec, exec, s[8:9]
	s_and_b64 s[4:5], s[4:5], exec
	s_or_saveexec_b64 s[6:7], s[6:7]
	v_mov_b32_e32 v13, s10
	s_xor_b64 exec, exec, s[6:7]
	s_cbranch_execnz .LBB1_5980
; %bb.14163:
	s_getpc_b64 s[14:15]
.Lpost_getpc2985:
	s_add_u32 s14, s14, (.LBB1_1882-.Lpost_getpc2985)&4294967295
	s_addc_u32 s15, s15, (.LBB1_1882-.Lpost_getpc2985)>>32
	s_setpc_b64 s[14:15]
.LBB1_5980:
	v_mov_b32_e32 v13, 0
	v_cmp_ne_u16_sdwa s[8:9], v18, v13 src0_sel:BYTE_3 src1_sel:DWORD
	s_andn2_b64 s[4:5], s[4:5], exec
	s_and_b64 s[8:9], s[8:9], exec
	s_or_b64 s[4:5], s[4:5], s[8:9]
	s_or_b64 exec, exec, s[6:7]
	s_and_saveexec_b64 s[6:7], s[4:5]
	s_cbranch_execz .LBB1_9133
; %bb.14165:
	s_getpc_b64 s[14:15]
.Lpost_getpc2986:
	s_add_u32 s14, s14, (.LBB1_1883-.Lpost_getpc2986)&4294967295
	s_addc_u32 s15, s15, (.LBB1_1883-.Lpost_getpc2986)>>32
	s_setpc_b64 s[14:15]
.LBB1_9133:
	s_getpc_b64 s[14:15]
.Lpost_getpc470:
	s_add_u32 s14, s14, (.LBB1_1884-.Lpost_getpc470)&4294967295
	s_addc_u32 s15, s15, (.LBB1_1884-.Lpost_getpc470)>>32
	s_setpc_b64 s[14:15]
.LBB1_5981:
	s_movk_i32 s4, 0x80
	v_cmp_eq_u16_sdwa s[12:13], v12, s4 src0_sel:BYTE_3 src1_sel:DWORD
	s_mov_b64 s[4:5], -1
                                        ; implicit-def: $sgpr10
	s_and_saveexec_b64 s[8:9], s[12:13]
; %bb.5982:
	s_mov_b32 s10, 0x7f800001
	s_xor_b64 s[4:5], exec, -1
; %bb.5983:
	s_or_b64 exec, exec, s[8:9]
	s_and_b64 s[4:5], s[4:5], exec
	s_or_saveexec_b64 s[6:7], s[6:7]
	v_mov_b32_e32 v14, s10
	s_xor_b64 exec, exec, s[6:7]
	s_cbranch_execnz .LBB1_5984
; %bb.14167:
	s_getpc_b64 s[14:15]
.Lpost_getpc2987:
	s_add_u32 s14, s14, (.LBB1_1886-.Lpost_getpc2987)&4294967295
	s_addc_u32 s15, s15, (.LBB1_1886-.Lpost_getpc2987)>>32
	s_setpc_b64 s[14:15]
.LBB1_5984:
	v_mov_b32_e32 v14, 0
	v_cmp_ne_u16_sdwa s[8:9], v12, v14 src0_sel:BYTE_3 src1_sel:DWORD
	s_andn2_b64 s[4:5], s[4:5], exec
	s_and_b64 s[8:9], s[8:9], exec
	s_or_b64 s[4:5], s[4:5], s[8:9]
	s_or_b64 exec, exec, s[6:7]
	s_and_saveexec_b64 s[6:7], s[4:5]
	s_cbranch_execz .LBB1_9135
; %bb.14169:
	s_getpc_b64 s[14:15]
.Lpost_getpc2988:
	s_add_u32 s14, s14, (.LBB1_1887-.Lpost_getpc2988)&4294967295
	s_addc_u32 s15, s15, (.LBB1_1887-.Lpost_getpc2988)>>32
	s_setpc_b64 s[14:15]
.LBB1_9135:
	s_getpc_b64 s[14:15]
.Lpost_getpc471:
	s_add_u32 s14, s14, (.LBB1_1888-.Lpost_getpc471)&4294967295
	s_addc_u32 s15, s15, (.LBB1_1888-.Lpost_getpc471)>>32
	s_setpc_b64 s[14:15]
.LBB1_5985:
	s_movk_i32 s4, 0x80
	v_cmp_eq_u16_sdwa s[12:13], v19, s4 src0_sel:BYTE_0 src1_sel:DWORD
	s_mov_b64 s[4:5], -1
                                        ; implicit-def: $sgpr10
	s_and_saveexec_b64 s[8:9], s[12:13]
; %bb.5986:
	s_mov_b32 s10, 0x7f800001
	s_xor_b64 s[4:5], exec, -1
; %bb.5987:
	s_or_b64 exec, exec, s[8:9]
	s_and_b64 s[4:5], s[4:5], exec
	s_or_saveexec_b64 s[6:7], s[6:7]
	v_mov_b32_e32 v12, s10
	s_xor_b64 exec, exec, s[6:7]
	s_cbranch_execnz .LBB1_5988
; %bb.14171:
	s_getpc_b64 s[14:15]
.Lpost_getpc2989:
	s_add_u32 s14, s14, (.LBB1_1890-.Lpost_getpc2989)&4294967295
	s_addc_u32 s15, s15, (.LBB1_1890-.Lpost_getpc2989)>>32
	s_setpc_b64 s[14:15]
.LBB1_5988:
	v_mov_b32_e32 v12, 0
	v_cmp_ne_u16_sdwa s[8:9], v19, v12 src0_sel:BYTE_0 src1_sel:DWORD
	s_andn2_b64 s[4:5], s[4:5], exec
	s_and_b64 s[8:9], s[8:9], exec
	s_or_b64 s[4:5], s[4:5], s[8:9]
	s_or_b64 exec, exec, s[6:7]
	s_and_saveexec_b64 s[6:7], s[4:5]
	s_cbranch_execz .LBB1_9137
; %bb.14173:
	s_getpc_b64 s[14:15]
.Lpost_getpc2990:
	s_add_u32 s14, s14, (.LBB1_1891-.Lpost_getpc2990)&4294967295
	s_addc_u32 s15, s15, (.LBB1_1891-.Lpost_getpc2990)>>32
	s_setpc_b64 s[14:15]
.LBB1_9137:
	s_getpc_b64 s[14:15]
.Lpost_getpc472:
	s_add_u32 s14, s14, (.LBB1_1892-.Lpost_getpc472)&4294967295
	s_addc_u32 s15, s15, (.LBB1_1892-.Lpost_getpc472)>>32
	s_setpc_b64 s[14:15]
.LBB1_5989:
	s_movk_i32 s4, 0x80
	v_cmp_eq_u16_sdwa s[12:13], v15, s4 src0_sel:BYTE_0 src1_sel:DWORD
	s_mov_b64 s[4:5], -1
                                        ; implicit-def: $sgpr10
	s_and_saveexec_b64 s[8:9], s[12:13]
; %bb.5990:
	s_mov_b32 s10, 0x7f800001
	s_xor_b64 s[4:5], exec, -1
; %bb.5991:
	s_or_b64 exec, exec, s[8:9]
	s_and_b64 s[4:5], s[4:5], exec
	s_or_saveexec_b64 s[6:7], s[6:7]
	v_mov_b32_e32 v13, s10
	s_xor_b64 exec, exec, s[6:7]
	s_cbranch_execnz .LBB1_5992
; %bb.14175:
	s_getpc_b64 s[14:15]
.Lpost_getpc2991:
	s_add_u32 s14, s14, (.LBB1_1894-.Lpost_getpc2991)&4294967295
	s_addc_u32 s15, s15, (.LBB1_1894-.Lpost_getpc2991)>>32
	s_setpc_b64 s[14:15]
.LBB1_5992:
	v_mov_b32_e32 v13, 0
	v_cmp_ne_u16_sdwa s[8:9], v15, v13 src0_sel:BYTE_0 src1_sel:DWORD
	s_andn2_b64 s[4:5], s[4:5], exec
	s_and_b64 s[8:9], s[8:9], exec
	s_or_b64 s[4:5], s[4:5], s[8:9]
	s_or_b64 exec, exec, s[6:7]
	s_and_saveexec_b64 s[6:7], s[4:5]
	s_cbranch_execz .LBB1_9139
; %bb.14177:
	s_getpc_b64 s[14:15]
.Lpost_getpc2992:
	s_add_u32 s14, s14, (.LBB1_1895-.Lpost_getpc2992)&4294967295
	s_addc_u32 s15, s15, (.LBB1_1895-.Lpost_getpc2992)>>32
	s_setpc_b64 s[14:15]
.LBB1_9139:
	s_getpc_b64 s[14:15]
.Lpost_getpc473:
	s_add_u32 s14, s14, (.LBB1_1896-.Lpost_getpc473)&4294967295
	s_addc_u32 s15, s15, (.LBB1_1896-.Lpost_getpc473)>>32
	s_setpc_b64 s[14:15]
.LBB1_5993:
	s_movk_i32 s4, 0x80
	v_cmp_eq_u16_sdwa s[12:13], v13, s4 src0_sel:BYTE_0 src1_sel:DWORD
	s_mov_b64 s[4:5], -1
                                        ; implicit-def: $sgpr10
	s_and_saveexec_b64 s[8:9], s[12:13]
; %bb.5994:
	s_mov_b32 s10, 0x7f800001
	s_xor_b64 s[4:5], exec, -1
; %bb.5995:
	s_or_b64 exec, exec, s[8:9]
	s_and_b64 s[4:5], s[4:5], exec
	s_or_saveexec_b64 s[6:7], s[6:7]
	v_mov_b32_e32 v12, s10
	s_xor_b64 exec, exec, s[6:7]
	s_cbranch_execnz .LBB1_5996
; %bb.14179:
	s_getpc_b64 s[14:15]
.Lpost_getpc2993:
	s_add_u32 s14, s14, (.LBB1_1898-.Lpost_getpc2993)&4294967295
	s_addc_u32 s15, s15, (.LBB1_1898-.Lpost_getpc2993)>>32
	s_setpc_b64 s[14:15]
.LBB1_5996:
	v_mov_b32_e32 v12, 0
	v_cmp_ne_u16_sdwa s[8:9], v13, v12 src0_sel:BYTE_0 src1_sel:DWORD
	s_andn2_b64 s[4:5], s[4:5], exec
	s_and_b64 s[8:9], s[8:9], exec
	s_or_b64 s[4:5], s[4:5], s[8:9]
	s_or_b64 exec, exec, s[6:7]
	s_and_saveexec_b64 s[6:7], s[4:5]
	s_cbranch_execz .LBB1_9141
; %bb.14181:
	s_getpc_b64 s[14:15]
.Lpost_getpc2994:
	s_add_u32 s14, s14, (.LBB1_1899-.Lpost_getpc2994)&4294967295
	s_addc_u32 s15, s15, (.LBB1_1899-.Lpost_getpc2994)>>32
	s_setpc_b64 s[14:15]
.LBB1_9141:
	s_getpc_b64 s[14:15]
.Lpost_getpc474:
	s_add_u32 s14, s14, (.LBB1_1900-.Lpost_getpc474)&4294967295
	s_addc_u32 s15, s15, (.LBB1_1900-.Lpost_getpc474)>>32
	s_setpc_b64 s[14:15]
.LBB1_5997:
	s_movk_i32 s4, 0x80
	v_cmp_eq_u16_sdwa s[12:13], v13, s4 src0_sel:BYTE_0 src1_sel:DWORD
	s_mov_b64 s[4:5], -1
                                        ; implicit-def: $sgpr10
	s_and_saveexec_b64 s[8:9], s[12:13]
; %bb.5998:
	s_mov_b32 s10, 0x7f800001
	s_xor_b64 s[4:5], exec, -1
; %bb.5999:
	s_or_b64 exec, exec, s[8:9]
	s_and_b64 s[4:5], s[4:5], exec
	s_or_saveexec_b64 s[6:7], s[6:7]
	v_mov_b32_e32 v14, s10
	s_xor_b64 exec, exec, s[6:7]
	s_cbranch_execnz .LBB1_6000
; %bb.14183:
	s_getpc_b64 s[14:15]
.Lpost_getpc2995:
	s_add_u32 s14, s14, (.LBB1_1902-.Lpost_getpc2995)&4294967295
	s_addc_u32 s15, s15, (.LBB1_1902-.Lpost_getpc2995)>>32
	s_setpc_b64 s[14:15]
.LBB1_6000:
	v_mov_b32_e32 v14, 0
	v_cmp_ne_u16_sdwa s[8:9], v13, v14 src0_sel:BYTE_0 src1_sel:DWORD
	s_andn2_b64 s[4:5], s[4:5], exec
	s_and_b64 s[8:9], s[8:9], exec
	s_or_b64 s[4:5], s[4:5], s[8:9]
	s_or_b64 exec, exec, s[6:7]
	s_and_saveexec_b64 s[6:7], s[4:5]
	s_cbranch_execz .LBB1_9143
; %bb.14185:
	s_getpc_b64 s[14:15]
.Lpost_getpc2996:
	s_add_u32 s14, s14, (.LBB1_1903-.Lpost_getpc2996)&4294967295
	s_addc_u32 s15, s15, (.LBB1_1903-.Lpost_getpc2996)>>32
	s_setpc_b64 s[14:15]
.LBB1_9143:
	s_getpc_b64 s[14:15]
.Lpost_getpc475:
	s_add_u32 s14, s14, (.LBB1_1904-.Lpost_getpc475)&4294967295
	s_addc_u32 s15, s15, (.LBB1_1904-.Lpost_getpc475)>>32
	s_setpc_b64 s[14:15]
.LBB1_6001:
	s_movk_i32 s4, 0x80
	v_cmp_eq_u16_e32 vcc, s4, v13
	s_mov_b64 s[4:5], -1
                                        ; implicit-def: $sgpr10
	s_and_saveexec_b64 s[8:9], vcc
; %bb.6002:
	s_mov_b32 s10, 0x7f800001
	s_xor_b64 s[4:5], exec, -1
; %bb.6003:
	s_or_b64 exec, exec, s[8:9]
	s_and_b64 s[4:5], s[4:5], exec
                                        ; implicit-def: $vgpr13
	s_or_saveexec_b64 s[6:7], s[6:7]
	v_mov_b32_e32 v12, s10
	s_xor_b64 exec, exec, s[6:7]
	s_cbranch_execnz .LBB1_6004
; %bb.14187:
	s_getpc_b64 s[14:15]
.Lpost_getpc2997:
	s_add_u32 s14, s14, (.LBB1_1906-.Lpost_getpc2997)&4294967295
	s_addc_u32 s15, s15, (.LBB1_1906-.Lpost_getpc2997)>>32
	s_setpc_b64 s[14:15]
.LBB1_6004:
	v_cmp_ne_u16_e32 vcc, 0, v13
	s_andn2_b64 s[4:5], s[4:5], exec
	s_and_b64 s[8:9], vcc, exec
	v_mov_b32_e32 v12, 0
	s_or_b64 s[4:5], s[4:5], s[8:9]
	s_or_b64 exec, exec, s[6:7]
	s_and_saveexec_b64 s[6:7], s[4:5]
	s_cbranch_execz .LBB1_9145
; %bb.14189:
	s_getpc_b64 s[14:15]
.Lpost_getpc2998:
	s_add_u32 s14, s14, (.LBB1_1907-.Lpost_getpc2998)&4294967295
	s_addc_u32 s15, s15, (.LBB1_1907-.Lpost_getpc2998)>>32
	s_setpc_b64 s[14:15]
.LBB1_9145:
	s_getpc_b64 s[14:15]
.Lpost_getpc476:
	s_add_u32 s14, s14, (.LBB1_1908-.Lpost_getpc476)&4294967295
	s_addc_u32 s15, s15, (.LBB1_1908-.Lpost_getpc476)>>32
	s_setpc_b64 s[14:15]
.LBB1_6005:
	s_movk_i32 s4, 0x80
	v_cmp_eq_u16_e32 vcc, s4, v13
	s_mov_b64 s[4:5], -1
                                        ; implicit-def: $sgpr10
	s_and_saveexec_b64 s[8:9], vcc
; %bb.6006:
	s_mov_b32 s10, 0x7f800001
	s_xor_b64 s[4:5], exec, -1
; %bb.6007:
	s_or_b64 exec, exec, s[8:9]
	s_and_b64 s[4:5], s[4:5], exec
                                        ; implicit-def: $vgpr13
	s_or_saveexec_b64 s[6:7], s[6:7]
	v_mov_b32_e32 v14, s10
	s_xor_b64 exec, exec, s[6:7]
	s_cbranch_execnz .LBB1_6008
; %bb.14191:
	s_getpc_b64 s[14:15]
.Lpost_getpc2999:
	s_add_u32 s14, s14, (.LBB1_1910-.Lpost_getpc2999)&4294967295
	s_addc_u32 s15, s15, (.LBB1_1910-.Lpost_getpc2999)>>32
	s_setpc_b64 s[14:15]
.LBB1_6008:
	v_cmp_ne_u16_e32 vcc, 0, v13
	s_andn2_b64 s[4:5], s[4:5], exec
	s_and_b64 s[8:9], vcc, exec
	v_mov_b32_e32 v14, 0
	s_or_b64 s[4:5], s[4:5], s[8:9]
	s_or_b64 exec, exec, s[6:7]
	s_and_saveexec_b64 s[6:7], s[4:5]
	s_cbranch_execz .LBB1_9147
; %bb.14193:
	s_getpc_b64 s[14:15]
.Lpost_getpc3000:
	s_add_u32 s14, s14, (.LBB1_1911-.Lpost_getpc3000)&4294967295
	s_addc_u32 s15, s15, (.LBB1_1911-.Lpost_getpc3000)>>32
	s_setpc_b64 s[14:15]
.LBB1_9147:
	s_getpc_b64 s[14:15]
.Lpost_getpc477:
	s_add_u32 s14, s14, (.LBB1_1912-.Lpost_getpc477)&4294967295
	s_addc_u32 s15, s15, (.LBB1_1912-.Lpost_getpc477)>>32
	s_setpc_b64 s[14:15]
.LBB1_6009:
	s_movk_i32 s4, 0x80
	v_cmp_eq_u16_sdwa s[12:13], v19, s4 src0_sel:BYTE_3 src1_sel:DWORD
	s_mov_b64 s[4:5], -1
                                        ; implicit-def: $sgpr10
	s_and_saveexec_b64 s[8:9], s[12:13]
; %bb.6010:
	s_mov_b32 s10, 0x7f800001
	s_xor_b64 s[4:5], exec, -1
; %bb.6011:
	s_or_b64 exec, exec, s[8:9]
	s_and_b64 s[4:5], s[4:5], exec
	s_or_saveexec_b64 s[6:7], s[6:7]
	v_mov_b32_e32 v12, s10
	s_xor_b64 exec, exec, s[6:7]
	s_cbranch_execnz .LBB1_6012
; %bb.14195:
	s_getpc_b64 s[14:15]
.Lpost_getpc3001:
	s_add_u32 s14, s14, (.LBB1_1914-.Lpost_getpc3001)&4294967295
	s_addc_u32 s15, s15, (.LBB1_1914-.Lpost_getpc3001)>>32
	s_setpc_b64 s[14:15]
.LBB1_6012:
	v_mov_b32_e32 v12, 0
	v_cmp_ne_u16_sdwa s[8:9], v19, v12 src0_sel:BYTE_3 src1_sel:DWORD
	s_andn2_b64 s[4:5], s[4:5], exec
	s_and_b64 s[8:9], s[8:9], exec
	s_or_b64 s[4:5], s[4:5], s[8:9]
	s_or_b64 exec, exec, s[6:7]
	s_and_saveexec_b64 s[6:7], s[4:5]
	s_cbranch_execz .LBB1_9149
; %bb.14197:
	s_getpc_b64 s[14:15]
.Lpost_getpc3002:
	s_add_u32 s14, s14, (.LBB1_1915-.Lpost_getpc3002)&4294967295
	s_addc_u32 s15, s15, (.LBB1_1915-.Lpost_getpc3002)>>32
	s_setpc_b64 s[14:15]
.LBB1_9149:
	s_getpc_b64 s[14:15]
.Lpost_getpc478:
	s_add_u32 s14, s14, (.LBB1_1916-.Lpost_getpc478)&4294967295
	s_addc_u32 s15, s15, (.LBB1_1916-.Lpost_getpc478)>>32
	s_setpc_b64 s[14:15]
.LBB1_6013:
	s_movk_i32 s4, 0x80
	v_cmp_eq_u16_sdwa s[12:13], v15, s4 src0_sel:BYTE_3 src1_sel:DWORD
	s_mov_b64 s[4:5], -1
                                        ; implicit-def: $sgpr10
	s_and_saveexec_b64 s[8:9], s[12:13]
; %bb.6014:
	s_mov_b32 s10, 0x7f800001
	s_xor_b64 s[4:5], exec, -1
; %bb.6015:
	s_or_b64 exec, exec, s[8:9]
	s_and_b64 s[4:5], s[4:5], exec
	s_or_saveexec_b64 s[6:7], s[6:7]
	v_mov_b32_e32 v13, s10
	s_xor_b64 exec, exec, s[6:7]
	s_cbranch_execnz .LBB1_6016
; %bb.14199:
	s_getpc_b64 s[14:15]
.Lpost_getpc3003:
	s_add_u32 s14, s14, (.LBB1_1918-.Lpost_getpc3003)&4294967295
	s_addc_u32 s15, s15, (.LBB1_1918-.Lpost_getpc3003)>>32
	s_setpc_b64 s[14:15]
.LBB1_6016:
	v_mov_b32_e32 v13, 0
	v_cmp_ne_u16_sdwa s[8:9], v15, v13 src0_sel:BYTE_3 src1_sel:DWORD
	s_andn2_b64 s[4:5], s[4:5], exec
	s_and_b64 s[8:9], s[8:9], exec
	s_or_b64 s[4:5], s[4:5], s[8:9]
	s_or_b64 exec, exec, s[6:7]
	s_and_saveexec_b64 s[6:7], s[4:5]
	s_cbranch_execz .LBB1_9151
; %bb.14201:
	s_getpc_b64 s[14:15]
.Lpost_getpc3004:
	s_add_u32 s14, s14, (.LBB1_1919-.Lpost_getpc3004)&4294967295
	s_addc_u32 s15, s15, (.LBB1_1919-.Lpost_getpc3004)>>32
	s_setpc_b64 s[14:15]
.LBB1_9151:
	s_getpc_b64 s[14:15]
.Lpost_getpc479:
	s_add_u32 s14, s14, (.LBB1_1920-.Lpost_getpc479)&4294967295
	s_addc_u32 s15, s15, (.LBB1_1920-.Lpost_getpc479)>>32
	s_setpc_b64 s[14:15]
.LBB1_6017:
	s_movk_i32 s4, 0x80
	v_cmp_eq_u16_sdwa s[12:13], v16, s4 src0_sel:BYTE_0 src1_sel:DWORD
	s_mov_b64 s[4:5], -1
                                        ; implicit-def: $sgpr10
	s_and_saveexec_b64 s[8:9], s[12:13]
; %bb.6018:
	s_mov_b32 s10, 0x7f800001
	s_xor_b64 s[4:5], exec, -1
; %bb.6019:
	s_or_b64 exec, exec, s[8:9]
	s_and_b64 s[4:5], s[4:5], exec
	s_or_saveexec_b64 s[6:7], s[6:7]
	v_mov_b32_e32 v21, s10
	s_xor_b64 exec, exec, s[6:7]
	s_cbranch_execnz .LBB1_6020
; %bb.14203:
	s_getpc_b64 s[14:15]
.Lpost_getpc3005:
	s_add_u32 s14, s14, (.LBB1_1922-.Lpost_getpc3005)&4294967295
	s_addc_u32 s15, s15, (.LBB1_1922-.Lpost_getpc3005)>>32
	s_setpc_b64 s[14:15]
.LBB1_6020:
	v_mov_b32_e32 v21, 0
	v_cmp_ne_u16_sdwa s[8:9], v16, v21 src0_sel:BYTE_0 src1_sel:DWORD
	s_andn2_b64 s[4:5], s[4:5], exec
	s_and_b64 s[8:9], s[8:9], exec
	s_or_b64 s[4:5], s[4:5], s[8:9]
	s_or_b64 exec, exec, s[6:7]
	s_and_saveexec_b64 s[6:7], s[4:5]
	s_cbranch_execz .LBB1_9153
; %bb.14205:
	s_getpc_b64 s[14:15]
.Lpost_getpc3006:
	s_add_u32 s14, s14, (.LBB1_1923-.Lpost_getpc3006)&4294967295
	s_addc_u32 s15, s15, (.LBB1_1923-.Lpost_getpc3006)>>32
	s_setpc_b64 s[14:15]
.LBB1_9153:
	s_getpc_b64 s[14:15]
.Lpost_getpc480:
	s_add_u32 s14, s14, (.LBB1_1924-.Lpost_getpc480)&4294967295
	s_addc_u32 s15, s15, (.LBB1_1924-.Lpost_getpc480)>>32
	s_setpc_b64 s[14:15]
.LBB1_6021:
	s_movk_i32 s4, 0x80
	v_cmp_eq_u16_sdwa s[12:13], v12, s4 src0_sel:BYTE_0 src1_sel:DWORD
	s_mov_b64 s[4:5], -1
                                        ; implicit-def: $sgpr10
	s_and_saveexec_b64 s[8:9], s[12:13]
; %bb.6022:
	s_mov_b32 s10, 0x7f800001
	s_xor_b64 s[4:5], exec, -1
; %bb.6023:
	s_or_b64 exec, exec, s[8:9]
	s_and_b64 s[4:5], s[4:5], exec
	s_or_saveexec_b64 s[6:7], s[6:7]
	v_mov_b32_e32 v22, s10
	s_xor_b64 exec, exec, s[6:7]
	s_cbranch_execnz .LBB1_6024
; %bb.14207:
	s_getpc_b64 s[14:15]
.Lpost_getpc3007:
	s_add_u32 s14, s14, (.LBB1_1926-.Lpost_getpc3007)&4294967295
	s_addc_u32 s15, s15, (.LBB1_1926-.Lpost_getpc3007)>>32
	s_setpc_b64 s[14:15]
.LBB1_6024:
	v_mov_b32_e32 v22, 0
	v_cmp_ne_u16_sdwa s[8:9], v12, v22 src0_sel:BYTE_0 src1_sel:DWORD
	s_andn2_b64 s[4:5], s[4:5], exec
	s_and_b64 s[8:9], s[8:9], exec
	s_or_b64 s[4:5], s[4:5], s[8:9]
	s_or_b64 exec, exec, s[6:7]
	s_and_saveexec_b64 s[6:7], s[4:5]
	s_cbranch_execz .LBB1_9155
; %bb.14209:
	s_getpc_b64 s[14:15]
.Lpost_getpc3008:
	s_add_u32 s14, s14, (.LBB1_1927-.Lpost_getpc3008)&4294967295
	s_addc_u32 s15, s15, (.LBB1_1927-.Lpost_getpc3008)>>32
	s_setpc_b64 s[14:15]
.LBB1_9155:
	s_getpc_b64 s[14:15]
.Lpost_getpc481:
	s_add_u32 s14, s14, (.LBB1_1928-.Lpost_getpc481)&4294967295
	s_addc_u32 s15, s15, (.LBB1_1928-.Lpost_getpc481)>>32
	s_setpc_b64 s[14:15]
.LBB1_6025:
	s_movk_i32 s4, 0x80
	v_cmp_eq_u16_sdwa s[12:13], v22, s4 src0_sel:BYTE_0 src1_sel:DWORD
	s_mov_b64 s[4:5], -1
                                        ; implicit-def: $sgpr10
	s_and_saveexec_b64 s[8:9], s[12:13]
; %bb.6026:
	s_mov_b32 s10, 0x7f800001
	s_xor_b64 s[4:5], exec, -1
; %bb.6027:
	s_or_b64 exec, exec, s[8:9]
	s_and_b64 s[4:5], s[4:5], exec
	s_or_saveexec_b64 s[6:7], s[6:7]
	v_mov_b32_e32 v21, s10
	s_xor_b64 exec, exec, s[6:7]
	s_cbranch_execnz .LBB1_6028
; %bb.14211:
	s_getpc_b64 s[14:15]
.Lpost_getpc3009:
	s_add_u32 s14, s14, (.LBB1_1930-.Lpost_getpc3009)&4294967295
	s_addc_u32 s15, s15, (.LBB1_1930-.Lpost_getpc3009)>>32
	s_setpc_b64 s[14:15]
.LBB1_6028:
	v_mov_b32_e32 v21, 0
	v_cmp_ne_u16_sdwa s[8:9], v22, v21 src0_sel:BYTE_0 src1_sel:DWORD
	s_andn2_b64 s[4:5], s[4:5], exec
	s_and_b64 s[8:9], s[8:9], exec
	s_or_b64 s[4:5], s[4:5], s[8:9]
	s_or_b64 exec, exec, s[6:7]
	s_and_saveexec_b64 s[6:7], s[4:5]
	s_cbranch_execz .LBB1_9157
; %bb.14213:
	s_getpc_b64 s[14:15]
.Lpost_getpc3010:
	s_add_u32 s14, s14, (.LBB1_1931-.Lpost_getpc3010)&4294967295
	s_addc_u32 s15, s15, (.LBB1_1931-.Lpost_getpc3010)>>32
	s_setpc_b64 s[14:15]
.LBB1_9157:
	s_getpc_b64 s[14:15]
.Lpost_getpc482:
	s_add_u32 s14, s14, (.LBB1_1932-.Lpost_getpc482)&4294967295
	s_addc_u32 s15, s15, (.LBB1_1932-.Lpost_getpc482)>>32
	s_setpc_b64 s[14:15]
.LBB1_6029:
	s_movk_i32 s4, 0x80
	v_cmp_eq_u16_sdwa s[12:13], v22, s4 src0_sel:BYTE_0 src1_sel:DWORD
	s_mov_b64 s[4:5], -1
                                        ; implicit-def: $sgpr10
	s_and_saveexec_b64 s[8:9], s[12:13]
; %bb.6030:
	s_mov_b32 s10, 0x7f800001
	s_xor_b64 s[4:5], exec, -1
; %bb.6031:
	s_or_b64 exec, exec, s[8:9]
	s_and_b64 s[4:5], s[4:5], exec
	s_or_saveexec_b64 s[6:7], s[6:7]
	v_mov_b32_e32 v23, s10
	s_xor_b64 exec, exec, s[6:7]
	s_cbranch_execnz .LBB1_6032
; %bb.14215:
	s_getpc_b64 s[14:15]
.Lpost_getpc3011:
	s_add_u32 s14, s14, (.LBB1_1934-.Lpost_getpc3011)&4294967295
	s_addc_u32 s15, s15, (.LBB1_1934-.Lpost_getpc3011)>>32
	s_setpc_b64 s[14:15]
.LBB1_6032:
	v_mov_b32_e32 v23, 0
	v_cmp_ne_u16_sdwa s[8:9], v22, v23 src0_sel:BYTE_0 src1_sel:DWORD
	s_andn2_b64 s[4:5], s[4:5], exec
	s_and_b64 s[8:9], s[8:9], exec
	s_or_b64 s[4:5], s[4:5], s[8:9]
	s_or_b64 exec, exec, s[6:7]
	s_and_saveexec_b64 s[6:7], s[4:5]
	s_cbranch_execz .LBB1_9159
; %bb.14217:
	s_getpc_b64 s[14:15]
.Lpost_getpc3012:
	s_add_u32 s14, s14, (.LBB1_1935-.Lpost_getpc3012)&4294967295
	s_addc_u32 s15, s15, (.LBB1_1935-.Lpost_getpc3012)>>32
	s_setpc_b64 s[14:15]
.LBB1_9159:
	s_getpc_b64 s[14:15]
.Lpost_getpc483:
	s_add_u32 s14, s14, (.LBB1_1936-.Lpost_getpc483)&4294967295
	s_addc_u32 s15, s15, (.LBB1_1936-.Lpost_getpc483)>>32
	s_setpc_b64 s[14:15]
.LBB1_6033:
	s_movk_i32 s4, 0x80
	v_cmp_eq_u16_e32 vcc, s4, v22
	s_mov_b64 s[4:5], -1
                                        ; implicit-def: $sgpr10
	s_and_saveexec_b64 s[8:9], vcc
; %bb.6034:
	s_mov_b32 s10, 0x7f800001
	s_xor_b64 s[4:5], exec, -1
; %bb.6035:
	s_or_b64 exec, exec, s[8:9]
	s_and_b64 s[4:5], s[4:5], exec
                                        ; implicit-def: $vgpr22
	s_or_saveexec_b64 s[6:7], s[6:7]
	v_mov_b32_e32 v21, s10
	s_xor_b64 exec, exec, s[6:7]
	s_cbranch_execnz .LBB1_6036
; %bb.14219:
	s_getpc_b64 s[14:15]
.Lpost_getpc3013:
	s_add_u32 s14, s14, (.LBB1_1938-.Lpost_getpc3013)&4294967295
	s_addc_u32 s15, s15, (.LBB1_1938-.Lpost_getpc3013)>>32
	s_setpc_b64 s[14:15]
.LBB1_6036:
	v_cmp_ne_u16_e32 vcc, 0, v22
	s_andn2_b64 s[4:5], s[4:5], exec
	s_and_b64 s[8:9], vcc, exec
	v_mov_b32_e32 v21, 0
	s_or_b64 s[4:5], s[4:5], s[8:9]
	s_or_b64 exec, exec, s[6:7]
	s_and_saveexec_b64 s[6:7], s[4:5]
	s_cbranch_execz .LBB1_9161
; %bb.14221:
	s_getpc_b64 s[14:15]
.Lpost_getpc3014:
	s_add_u32 s14, s14, (.LBB1_1939-.Lpost_getpc3014)&4294967295
	s_addc_u32 s15, s15, (.LBB1_1939-.Lpost_getpc3014)>>32
	s_setpc_b64 s[14:15]
.LBB1_9161:
	s_getpc_b64 s[14:15]
.Lpost_getpc484:
	s_add_u32 s14, s14, (.LBB1_1940-.Lpost_getpc484)&4294967295
	s_addc_u32 s15, s15, (.LBB1_1940-.Lpost_getpc484)>>32
	s_setpc_b64 s[14:15]
.LBB1_6037:
	s_movk_i32 s4, 0x80
	v_cmp_eq_u16_e32 vcc, s4, v22
	s_mov_b64 s[4:5], -1
                                        ; implicit-def: $sgpr10
	s_and_saveexec_b64 s[8:9], vcc
; %bb.6038:
	s_mov_b32 s10, 0x7f800001
	s_xor_b64 s[4:5], exec, -1
; %bb.6039:
	s_or_b64 exec, exec, s[8:9]
	s_and_b64 s[4:5], s[4:5], exec
                                        ; implicit-def: $vgpr22
	s_or_saveexec_b64 s[6:7], s[6:7]
	v_mov_b32_e32 v23, s10
	s_xor_b64 exec, exec, s[6:7]
	s_cbranch_execnz .LBB1_6040
; %bb.14223:
	s_getpc_b64 s[14:15]
.Lpost_getpc3015:
	s_add_u32 s14, s14, (.LBB1_1942-.Lpost_getpc3015)&4294967295
	s_addc_u32 s15, s15, (.LBB1_1942-.Lpost_getpc3015)>>32
	s_setpc_b64 s[14:15]
.LBB1_6040:
	v_cmp_ne_u16_e32 vcc, 0, v22
	s_andn2_b64 s[4:5], s[4:5], exec
	s_and_b64 s[8:9], vcc, exec
	v_mov_b32_e32 v23, 0
	s_or_b64 s[4:5], s[4:5], s[8:9]
	s_or_b64 exec, exec, s[6:7]
	s_and_saveexec_b64 s[6:7], s[4:5]
	s_cbranch_execz .LBB1_9163
; %bb.14225:
	s_getpc_b64 s[14:15]
.Lpost_getpc3016:
	s_add_u32 s14, s14, (.LBB1_1943-.Lpost_getpc3016)&4294967295
	s_addc_u32 s15, s15, (.LBB1_1943-.Lpost_getpc3016)>>32
	s_setpc_b64 s[14:15]
.LBB1_9163:
	s_getpc_b64 s[14:15]
.Lpost_getpc485:
	s_add_u32 s14, s14, (.LBB1_1944-.Lpost_getpc485)&4294967295
	s_addc_u32 s15, s15, (.LBB1_1944-.Lpost_getpc485)>>32
	s_setpc_b64 s[14:15]
.LBB1_6041:
	s_movk_i32 s4, 0x80
	v_cmp_eq_u16_sdwa s[12:13], v16, s4 src0_sel:BYTE_3 src1_sel:DWORD
	s_mov_b64 s[4:5], -1
                                        ; implicit-def: $sgpr10
	s_and_saveexec_b64 s[8:9], s[12:13]
; %bb.6042:
	s_mov_b32 s10, 0x7f800001
	s_xor_b64 s[4:5], exec, -1
; %bb.6043:
	s_or_b64 exec, exec, s[8:9]
	s_and_b64 s[4:5], s[4:5], exec
	s_or_saveexec_b64 s[6:7], s[6:7]
	v_mov_b32_e32 v21, s10
	s_xor_b64 exec, exec, s[6:7]
	s_cbranch_execnz .LBB1_6044
; %bb.14227:
	s_getpc_b64 s[14:15]
.Lpost_getpc3017:
	s_add_u32 s14, s14, (.LBB1_1946-.Lpost_getpc3017)&4294967295
	s_addc_u32 s15, s15, (.LBB1_1946-.Lpost_getpc3017)>>32
	s_setpc_b64 s[14:15]
.LBB1_6044:
	v_mov_b32_e32 v21, 0
	v_cmp_ne_u16_sdwa s[8:9], v16, v21 src0_sel:BYTE_3 src1_sel:DWORD
	s_andn2_b64 s[4:5], s[4:5], exec
	s_and_b64 s[8:9], s[8:9], exec
	s_or_b64 s[4:5], s[4:5], s[8:9]
	s_or_b64 exec, exec, s[6:7]
	s_and_saveexec_b64 s[6:7], s[4:5]
	s_cbranch_execz .LBB1_9165
; %bb.14229:
	s_getpc_b64 s[14:15]
.Lpost_getpc3018:
	s_add_u32 s14, s14, (.LBB1_1947-.Lpost_getpc3018)&4294967295
	s_addc_u32 s15, s15, (.LBB1_1947-.Lpost_getpc3018)>>32
	s_setpc_b64 s[14:15]
.LBB1_9165:
	s_getpc_b64 s[14:15]
.Lpost_getpc486:
	s_add_u32 s14, s14, (.LBB1_1948-.Lpost_getpc486)&4294967295
	s_addc_u32 s15, s15, (.LBB1_1948-.Lpost_getpc486)>>32
	s_setpc_b64 s[14:15]
.LBB1_6045:
	s_movk_i32 s4, 0x80
	v_cmp_eq_u16_sdwa s[12:13], v12, s4 src0_sel:BYTE_3 src1_sel:DWORD
	s_mov_b64 s[4:5], -1
                                        ; implicit-def: $sgpr10
	s_and_saveexec_b64 s[8:9], s[12:13]
; %bb.6046:
	s_mov_b32 s10, 0x7f800001
	s_xor_b64 s[4:5], exec, -1
; %bb.6047:
	s_or_b64 exec, exec, s[8:9]
	s_and_b64 s[4:5], s[4:5], exec
	s_or_saveexec_b64 s[6:7], s[6:7]
	v_mov_b32_e32 v16, s10
	s_xor_b64 exec, exec, s[6:7]
	s_cbranch_execnz .LBB1_6048
; %bb.14231:
	s_getpc_b64 s[14:15]
.Lpost_getpc3019:
	s_add_u32 s14, s14, (.LBB1_1950-.Lpost_getpc3019)&4294967295
	s_addc_u32 s15, s15, (.LBB1_1950-.Lpost_getpc3019)>>32
	s_setpc_b64 s[14:15]
.LBB1_6048:
	v_mov_b32_e32 v16, 0
	v_cmp_ne_u16_sdwa s[8:9], v12, v16 src0_sel:BYTE_3 src1_sel:DWORD
	s_andn2_b64 s[4:5], s[4:5], exec
	s_and_b64 s[8:9], s[8:9], exec
	s_or_b64 s[4:5], s[4:5], s[8:9]
	s_or_b64 exec, exec, s[6:7]
	s_and_saveexec_b64 s[6:7], s[4:5]
	s_cbranch_execz .LBB1_9167
; %bb.14233:
	s_getpc_b64 s[14:15]
.Lpost_getpc3020:
	s_add_u32 s14, s14, (.LBB1_1951-.Lpost_getpc3020)&4294967295
	s_addc_u32 s15, s15, (.LBB1_1951-.Lpost_getpc3020)>>32
	s_setpc_b64 s[14:15]
.LBB1_9167:
	s_getpc_b64 s[14:15]
.Lpost_getpc487:
	s_add_u32 s14, s14, (.LBB1_1952-.Lpost_getpc487)&4294967295
	s_addc_u32 s15, s15, (.LBB1_1952-.Lpost_getpc487)>>32
	s_setpc_b64 s[14:15]
.LBB1_6049:
	s_movk_i32 s4, 0x80
	v_cmp_eq_u16_sdwa s[12:13], v17, s4 src0_sel:BYTE_0 src1_sel:DWORD
	s_mov_b64 s[4:5], -1
                                        ; implicit-def: $sgpr10
	s_and_saveexec_b64 s[8:9], s[12:13]
; %bb.6050:
	s_mov_b32 s10, 0x7f800001
	s_xor_b64 s[4:5], exec, -1
; %bb.6051:
	s_or_b64 exec, exec, s[8:9]
	s_and_b64 s[4:5], s[4:5], exec
	s_or_saveexec_b64 s[6:7], s[6:7]
	v_mov_b32_e32 v12, s10
	s_xor_b64 exec, exec, s[6:7]
	s_cbranch_execnz .LBB1_6052
; %bb.14235:
	s_getpc_b64 s[14:15]
.Lpost_getpc3021:
	s_add_u32 s14, s14, (.LBB1_1954-.Lpost_getpc3021)&4294967295
	s_addc_u32 s15, s15, (.LBB1_1954-.Lpost_getpc3021)>>32
	s_setpc_b64 s[14:15]
.LBB1_6052:
	v_mov_b32_e32 v12, 0
	v_cmp_ne_u16_sdwa s[8:9], v17, v12 src0_sel:BYTE_0 src1_sel:DWORD
	s_andn2_b64 s[4:5], s[4:5], exec
	s_and_b64 s[8:9], s[8:9], exec
	s_or_b64 s[4:5], s[4:5], s[8:9]
	s_or_b64 exec, exec, s[6:7]
	s_and_saveexec_b64 s[6:7], s[4:5]
	s_cbranch_execz .LBB1_9169
; %bb.14237:
	s_getpc_b64 s[14:15]
.Lpost_getpc3022:
	s_add_u32 s14, s14, (.LBB1_1955-.Lpost_getpc3022)&4294967295
	s_addc_u32 s15, s15, (.LBB1_1955-.Lpost_getpc3022)>>32
	s_setpc_b64 s[14:15]
.LBB1_9169:
	s_getpc_b64 s[14:15]
.Lpost_getpc488:
	s_add_u32 s14, s14, (.LBB1_1956-.Lpost_getpc488)&4294967295
	s_addc_u32 s15, s15, (.LBB1_1956-.Lpost_getpc488)>>32
	s_setpc_b64 s[14:15]
.LBB1_6053:
	s_movk_i32 s4, 0x80
	v_cmp_eq_u16_sdwa s[12:13], v13, s4 src0_sel:BYTE_0 src1_sel:DWORD
	s_mov_b64 s[4:5], -1
                                        ; implicit-def: $sgpr10
	s_and_saveexec_b64 s[8:9], s[12:13]
; %bb.6054:
	s_mov_b32 s10, 0x7f800001
	s_xor_b64 s[4:5], exec, -1
; %bb.6055:
	s_or_b64 exec, exec, s[8:9]
	s_and_b64 s[4:5], s[4:5], exec
	s_or_saveexec_b64 s[6:7], s[6:7]
	v_mov_b32_e32 v16, s10
	s_xor_b64 exec, exec, s[6:7]
	s_cbranch_execnz .LBB1_6056
; %bb.14239:
	s_getpc_b64 s[14:15]
.Lpost_getpc3023:
	s_add_u32 s14, s14, (.LBB1_1958-.Lpost_getpc3023)&4294967295
	s_addc_u32 s15, s15, (.LBB1_1958-.Lpost_getpc3023)>>32
	s_setpc_b64 s[14:15]
.LBB1_6056:
	v_mov_b32_e32 v16, 0
	v_cmp_ne_u16_sdwa s[8:9], v13, v16 src0_sel:BYTE_0 src1_sel:DWORD
	s_andn2_b64 s[4:5], s[4:5], exec
	s_and_b64 s[8:9], s[8:9], exec
	s_or_b64 s[4:5], s[4:5], s[8:9]
	s_or_b64 exec, exec, s[6:7]
	s_and_saveexec_b64 s[6:7], s[4:5]
	s_cbranch_execz .LBB1_9171
; %bb.14241:
	s_getpc_b64 s[14:15]
.Lpost_getpc3024:
	s_add_u32 s14, s14, (.LBB1_1959-.Lpost_getpc3024)&4294967295
	s_addc_u32 s15, s15, (.LBB1_1959-.Lpost_getpc3024)>>32
	s_setpc_b64 s[14:15]
.LBB1_9171:
	s_getpc_b64 s[14:15]
.Lpost_getpc489:
	s_add_u32 s14, s14, (.LBB1_1960-.Lpost_getpc489)&4294967295
	s_addc_u32 s15, s15, (.LBB1_1960-.Lpost_getpc489)>>32
	s_setpc_b64 s[14:15]
.LBB1_6057:
	s_movk_i32 s4, 0x80
	v_cmp_eq_u16_sdwa s[12:13], v16, s4 src0_sel:BYTE_0 src1_sel:DWORD
	s_mov_b64 s[4:5], -1
                                        ; implicit-def: $sgpr10
	s_and_saveexec_b64 s[8:9], s[12:13]
; %bb.6058:
	s_mov_b32 s10, 0x7f800001
	s_xor_b64 s[4:5], exec, -1
; %bb.6059:
	s_or_b64 exec, exec, s[8:9]
	s_and_b64 s[4:5], s[4:5], exec
	s_or_saveexec_b64 s[6:7], s[6:7]
	v_mov_b32_e32 v12, s10
	s_xor_b64 exec, exec, s[6:7]
	s_cbranch_execnz .LBB1_6060
; %bb.14243:
	s_getpc_b64 s[14:15]
.Lpost_getpc3025:
	s_add_u32 s14, s14, (.LBB1_1962-.Lpost_getpc3025)&4294967295
	s_addc_u32 s15, s15, (.LBB1_1962-.Lpost_getpc3025)>>32
	s_setpc_b64 s[14:15]
.LBB1_6060:
	v_mov_b32_e32 v12, 0
	v_cmp_ne_u16_sdwa s[8:9], v16, v12 src0_sel:BYTE_0 src1_sel:DWORD
	s_andn2_b64 s[4:5], s[4:5], exec
	s_and_b64 s[8:9], s[8:9], exec
	s_or_b64 s[4:5], s[4:5], s[8:9]
	s_or_b64 exec, exec, s[6:7]
	s_and_saveexec_b64 s[6:7], s[4:5]
	s_cbranch_execz .LBB1_9173
; %bb.14245:
	s_getpc_b64 s[14:15]
.Lpost_getpc3026:
	s_add_u32 s14, s14, (.LBB1_1963-.Lpost_getpc3026)&4294967295
	s_addc_u32 s15, s15, (.LBB1_1963-.Lpost_getpc3026)>>32
	s_setpc_b64 s[14:15]
.LBB1_9173:
	s_getpc_b64 s[14:15]
.Lpost_getpc490:
	s_add_u32 s14, s14, (.LBB1_1964-.Lpost_getpc490)&4294967295
	s_addc_u32 s15, s15, (.LBB1_1964-.Lpost_getpc490)>>32
	s_setpc_b64 s[14:15]
.LBB1_6061:
	s_movk_i32 s4, 0x80
	v_cmp_eq_u16_sdwa s[12:13], v16, s4 src0_sel:BYTE_0 src1_sel:DWORD
	s_mov_b64 s[4:5], -1
                                        ; implicit-def: $sgpr10
	s_and_saveexec_b64 s[8:9], s[12:13]
; %bb.6062:
	s_mov_b32 s10, 0x7f800001
	s_xor_b64 s[4:5], exec, -1
; %bb.6063:
	s_or_b64 exec, exec, s[8:9]
	s_and_b64 s[4:5], s[4:5], exec
	s_or_saveexec_b64 s[6:7], s[6:7]
	v_mov_b32_e32 v21, s10
	s_xor_b64 exec, exec, s[6:7]
	s_cbranch_execnz .LBB1_6064
; %bb.14247:
	s_getpc_b64 s[14:15]
.Lpost_getpc3027:
	s_add_u32 s14, s14, (.LBB1_1966-.Lpost_getpc3027)&4294967295
	s_addc_u32 s15, s15, (.LBB1_1966-.Lpost_getpc3027)>>32
	s_setpc_b64 s[14:15]
.LBB1_6064:
	v_mov_b32_e32 v21, 0
	v_cmp_ne_u16_sdwa s[8:9], v16, v21 src0_sel:BYTE_0 src1_sel:DWORD
	s_andn2_b64 s[4:5], s[4:5], exec
	s_and_b64 s[8:9], s[8:9], exec
	s_or_b64 s[4:5], s[4:5], s[8:9]
	s_or_b64 exec, exec, s[6:7]
	s_and_saveexec_b64 s[6:7], s[4:5]
	s_cbranch_execz .LBB1_9175
; %bb.14249:
	s_getpc_b64 s[14:15]
.Lpost_getpc3028:
	s_add_u32 s14, s14, (.LBB1_1967-.Lpost_getpc3028)&4294967295
	s_addc_u32 s15, s15, (.LBB1_1967-.Lpost_getpc3028)>>32
	s_setpc_b64 s[14:15]
.LBB1_9175:
	s_getpc_b64 s[14:15]
.Lpost_getpc491:
	s_add_u32 s14, s14, (.LBB1_1968-.Lpost_getpc491)&4294967295
	s_addc_u32 s15, s15, (.LBB1_1968-.Lpost_getpc491)>>32
	s_setpc_b64 s[14:15]
.LBB1_6065:
	s_movk_i32 s4, 0x80
	v_cmp_eq_u16_e32 vcc, s4, v16
	s_mov_b64 s[4:5], -1
                                        ; implicit-def: $sgpr10
	s_and_saveexec_b64 s[8:9], vcc
; %bb.6066:
	s_mov_b32 s10, 0x7f800001
	s_xor_b64 s[4:5], exec, -1
; %bb.6067:
	s_or_b64 exec, exec, s[8:9]
	s_and_b64 s[4:5], s[4:5], exec
                                        ; implicit-def: $vgpr16
	s_or_saveexec_b64 s[6:7], s[6:7]
	v_mov_b32_e32 v12, s10
	s_xor_b64 exec, exec, s[6:7]
	s_cbranch_execnz .LBB1_6068
; %bb.14251:
	s_getpc_b64 s[14:15]
.Lpost_getpc3029:
	s_add_u32 s14, s14, (.LBB1_1970-.Lpost_getpc3029)&4294967295
	s_addc_u32 s15, s15, (.LBB1_1970-.Lpost_getpc3029)>>32
	s_setpc_b64 s[14:15]
.LBB1_6068:
	v_cmp_ne_u16_e32 vcc, 0, v16
	s_andn2_b64 s[4:5], s[4:5], exec
	s_and_b64 s[8:9], vcc, exec
	v_mov_b32_e32 v12, 0
	s_or_b64 s[4:5], s[4:5], s[8:9]
	s_or_b64 exec, exec, s[6:7]
	s_and_saveexec_b64 s[6:7], s[4:5]
	s_cbranch_execz .LBB1_9177
; %bb.14253:
	s_getpc_b64 s[14:15]
.Lpost_getpc3030:
	s_add_u32 s14, s14, (.LBB1_1971-.Lpost_getpc3030)&4294967295
	s_addc_u32 s15, s15, (.LBB1_1971-.Lpost_getpc3030)>>32
	s_setpc_b64 s[14:15]
.LBB1_9177:
	s_getpc_b64 s[14:15]
.Lpost_getpc492:
	s_add_u32 s14, s14, (.LBB1_1972-.Lpost_getpc492)&4294967295
	s_addc_u32 s15, s15, (.LBB1_1972-.Lpost_getpc492)>>32
	s_setpc_b64 s[14:15]
.LBB1_6069:
	s_movk_i32 s4, 0x80
	v_cmp_eq_u16_e32 vcc, s4, v16
	s_mov_b64 s[4:5], -1
                                        ; implicit-def: $sgpr10
	s_and_saveexec_b64 s[8:9], vcc
; %bb.6070:
	s_mov_b32 s10, 0x7f800001
	s_xor_b64 s[4:5], exec, -1
; %bb.6071:
	s_or_b64 exec, exec, s[8:9]
	s_and_b64 s[4:5], s[4:5], exec
                                        ; implicit-def: $vgpr16
	s_or_saveexec_b64 s[6:7], s[6:7]
	v_mov_b32_e32 v21, s10
	s_xor_b64 exec, exec, s[6:7]
	s_cbranch_execnz .LBB1_6072
; %bb.14255:
	s_getpc_b64 s[14:15]
.Lpost_getpc3031:
	s_add_u32 s14, s14, (.LBB1_1974-.Lpost_getpc3031)&4294967295
	s_addc_u32 s15, s15, (.LBB1_1974-.Lpost_getpc3031)>>32
	s_setpc_b64 s[14:15]
.LBB1_6072:
	v_cmp_ne_u16_e32 vcc, 0, v16
	s_andn2_b64 s[4:5], s[4:5], exec
	s_and_b64 s[8:9], vcc, exec
	v_mov_b32_e32 v21, 0
	s_or_b64 s[4:5], s[4:5], s[8:9]
	s_or_b64 exec, exec, s[6:7]
	s_and_saveexec_b64 s[6:7], s[4:5]
	s_cbranch_execz .LBB1_9179
; %bb.14257:
	s_getpc_b64 s[14:15]
.Lpost_getpc3032:
	s_add_u32 s14, s14, (.LBB1_1975-.Lpost_getpc3032)&4294967295
	s_addc_u32 s15, s15, (.LBB1_1975-.Lpost_getpc3032)>>32
	s_setpc_b64 s[14:15]
.LBB1_9179:
	s_getpc_b64 s[14:15]
.Lpost_getpc493:
	s_add_u32 s14, s14, (.LBB1_1976-.Lpost_getpc493)&4294967295
	s_addc_u32 s15, s15, (.LBB1_1976-.Lpost_getpc493)>>32
	s_setpc_b64 s[14:15]
.LBB1_6073:
	s_movk_i32 s4, 0x80
	v_cmp_eq_u16_sdwa s[12:13], v17, s4 src0_sel:BYTE_3 src1_sel:DWORD
	s_mov_b64 s[4:5], -1
                                        ; implicit-def: $sgpr10
	s_and_saveexec_b64 s[8:9], s[12:13]
; %bb.6074:
	s_mov_b32 s10, 0x7f800001
	s_xor_b64 s[4:5], exec, -1
; %bb.6075:
	s_or_b64 exec, exec, s[8:9]
	s_and_b64 s[4:5], s[4:5], exec
	s_or_saveexec_b64 s[6:7], s[6:7]
	v_mov_b32_e32 v12, s10
	s_xor_b64 exec, exec, s[6:7]
	s_cbranch_execnz .LBB1_6076
; %bb.14259:
	s_getpc_b64 s[14:15]
.Lpost_getpc3033:
	s_add_u32 s14, s14, (.LBB1_1978-.Lpost_getpc3033)&4294967295
	s_addc_u32 s15, s15, (.LBB1_1978-.Lpost_getpc3033)>>32
	s_setpc_b64 s[14:15]
.LBB1_6076:
	v_mov_b32_e32 v12, 0
	v_cmp_ne_u16_sdwa s[8:9], v17, v12 src0_sel:BYTE_3 src1_sel:DWORD
	s_andn2_b64 s[4:5], s[4:5], exec
	s_and_b64 s[8:9], s[8:9], exec
	s_or_b64 s[4:5], s[4:5], s[8:9]
	s_or_b64 exec, exec, s[6:7]
	s_and_saveexec_b64 s[6:7], s[4:5]
	s_cbranch_execz .LBB1_9181
; %bb.14261:
	s_getpc_b64 s[14:15]
.Lpost_getpc3034:
	s_add_u32 s14, s14, (.LBB1_1979-.Lpost_getpc3034)&4294967295
	s_addc_u32 s15, s15, (.LBB1_1979-.Lpost_getpc3034)>>32
	s_setpc_b64 s[14:15]
.LBB1_9181:
	s_getpc_b64 s[14:15]
.Lpost_getpc494:
	s_add_u32 s14, s14, (.LBB1_1980-.Lpost_getpc494)&4294967295
	s_addc_u32 s15, s15, (.LBB1_1980-.Lpost_getpc494)>>32
	s_setpc_b64 s[14:15]
.LBB1_6077:
	s_movk_i32 s4, 0x80
	v_cmp_eq_u16_sdwa s[12:13], v13, s4 src0_sel:BYTE_3 src1_sel:DWORD
	s_mov_b64 s[4:5], -1
                                        ; implicit-def: $sgpr10
	s_and_saveexec_b64 s[8:9], s[12:13]
; %bb.6078:
	s_mov_b32 s10, 0x7f800001
	s_xor_b64 s[4:5], exec, -1
; %bb.6079:
	s_or_b64 exec, exec, s[8:9]
	s_and_b64 s[4:5], s[4:5], exec
	s_or_saveexec_b64 s[6:7], s[6:7]
	v_mov_b32_e32 v16, s10
	s_xor_b64 exec, exec, s[6:7]
	s_cbranch_execnz .LBB1_6080
; %bb.14263:
	s_getpc_b64 s[14:15]
.Lpost_getpc3035:
	s_add_u32 s14, s14, (.LBB1_1982-.Lpost_getpc3035)&4294967295
	s_addc_u32 s15, s15, (.LBB1_1982-.Lpost_getpc3035)>>32
	s_setpc_b64 s[14:15]
.LBB1_6080:
	v_mov_b32_e32 v16, 0
	v_cmp_ne_u16_sdwa s[8:9], v13, v16 src0_sel:BYTE_3 src1_sel:DWORD
	s_andn2_b64 s[4:5], s[4:5], exec
	s_and_b64 s[8:9], s[8:9], exec
	s_or_b64 s[4:5], s[4:5], s[8:9]
	s_or_b64 exec, exec, s[6:7]
	s_and_saveexec_b64 s[6:7], s[4:5]
	s_cbranch_execz .LBB1_9183
; %bb.14265:
	s_getpc_b64 s[14:15]
.Lpost_getpc3036:
	s_add_u32 s14, s14, (.LBB1_1983-.Lpost_getpc3036)&4294967295
	s_addc_u32 s15, s15, (.LBB1_1983-.Lpost_getpc3036)>>32
	s_setpc_b64 s[14:15]
.LBB1_9183:
	s_getpc_b64 s[14:15]
.Lpost_getpc495:
	s_add_u32 s14, s14, (.LBB1_1984-.Lpost_getpc495)&4294967295
	s_addc_u32 s15, s15, (.LBB1_1984-.Lpost_getpc495)>>32
	s_setpc_b64 s[14:15]
.LBB1_6081:
	s_movk_i32 s4, 0x80
	v_cmp_eq_u16_sdwa s[12:13], v18, s4 src0_sel:BYTE_0 src1_sel:DWORD
	s_mov_b64 s[4:5], -1
                                        ; implicit-def: $sgpr10
	s_and_saveexec_b64 s[8:9], s[12:13]
; %bb.6082:
	s_mov_b32 s10, 0x7f800001
	s_xor_b64 s[4:5], exec, -1
; %bb.6083:
	s_or_b64 exec, exec, s[8:9]
	s_and_b64 s[4:5], s[4:5], exec
	s_or_saveexec_b64 s[6:7], s[6:7]
	v_mov_b32_e32 v13, s10
	s_xor_b64 exec, exec, s[6:7]
	s_cbranch_execnz .LBB1_6084
; %bb.14267:
	s_getpc_b64 s[14:15]
.Lpost_getpc3037:
	s_add_u32 s14, s14, (.LBB1_1986-.Lpost_getpc3037)&4294967295
	s_addc_u32 s15, s15, (.LBB1_1986-.Lpost_getpc3037)>>32
	s_setpc_b64 s[14:15]
.LBB1_6084:
	v_mov_b32_e32 v13, 0
	v_cmp_ne_u16_sdwa s[8:9], v18, v13 src0_sel:BYTE_0 src1_sel:DWORD
	s_andn2_b64 s[4:5], s[4:5], exec
	s_and_b64 s[8:9], s[8:9], exec
	s_or_b64 s[4:5], s[4:5], s[8:9]
	s_or_b64 exec, exec, s[6:7]
	s_and_saveexec_b64 s[6:7], s[4:5]
	s_cbranch_execz .LBB1_9185
; %bb.14269:
	s_getpc_b64 s[14:15]
.Lpost_getpc3038:
	s_add_u32 s14, s14, (.LBB1_1987-.Lpost_getpc3038)&4294967295
	s_addc_u32 s15, s15, (.LBB1_1987-.Lpost_getpc3038)>>32
	s_setpc_b64 s[14:15]
.LBB1_9185:
	s_getpc_b64 s[14:15]
.Lpost_getpc496:
	s_add_u32 s14, s14, (.LBB1_1988-.Lpost_getpc496)&4294967295
	s_addc_u32 s15, s15, (.LBB1_1988-.Lpost_getpc496)>>32
	s_setpc_b64 s[14:15]
.LBB1_6085:
	s_movk_i32 s4, 0x80
	v_cmp_eq_u16_sdwa s[12:13], v16, s4 src0_sel:BYTE_0 src1_sel:DWORD
	s_mov_b64 s[4:5], -1
                                        ; implicit-def: $sgpr10
	s_and_saveexec_b64 s[8:9], s[12:13]
; %bb.6086:
	s_mov_b32 s10, 0x7f800001
	s_xor_b64 s[4:5], exec, -1
; %bb.6087:
	s_or_b64 exec, exec, s[8:9]
	s_and_b64 s[4:5], s[4:5], exec
	s_or_saveexec_b64 s[6:7], s[6:7]
	v_mov_b32_e32 v14, s10
	s_xor_b64 exec, exec, s[6:7]
	s_cbranch_execnz .LBB1_6088
; %bb.14271:
	s_getpc_b64 s[14:15]
.Lpost_getpc3039:
	s_add_u32 s14, s14, (.LBB1_1990-.Lpost_getpc3039)&4294967295
	s_addc_u32 s15, s15, (.LBB1_1990-.Lpost_getpc3039)>>32
	s_setpc_b64 s[14:15]
.LBB1_6088:
	v_mov_b32_e32 v14, 0
	v_cmp_ne_u16_sdwa s[8:9], v16, v14 src0_sel:BYTE_0 src1_sel:DWORD
	s_andn2_b64 s[4:5], s[4:5], exec
	s_and_b64 s[8:9], s[8:9], exec
	s_or_b64 s[4:5], s[4:5], s[8:9]
	s_or_b64 exec, exec, s[6:7]
	v_or_b32_sdwa v12, v16, v12 dst_sel:DWORD dst_unused:UNUSED_PAD src0_sel:WORD_0 src1_sel:DWORD
	s_and_saveexec_b64 s[6:7], s[4:5]
	s_cbranch_execz .LBB1_9187
; %bb.14273:
	s_getpc_b64 s[14:15]
.Lpost_getpc3040:
	s_add_u32 s14, s14, (.LBB1_1991-.Lpost_getpc3040)&4294967295
	s_addc_u32 s15, s15, (.LBB1_1991-.Lpost_getpc3040)>>32
	s_setpc_b64 s[14:15]
.LBB1_9187:
	s_getpc_b64 s[14:15]
.Lpost_getpc497:
	s_add_u32 s14, s14, (.LBB1_1992-.Lpost_getpc497)&4294967295
	s_addc_u32 s15, s15, (.LBB1_1992-.Lpost_getpc497)>>32
	s_setpc_b64 s[14:15]
.LBB1_6089:
	s_movk_i32 s4, 0x80
	v_cmp_eq_u16_sdwa s[12:13], v14, s4 src0_sel:BYTE_0 src1_sel:DWORD
	s_mov_b64 s[4:5], -1
                                        ; implicit-def: $sgpr10
	s_and_saveexec_b64 s[8:9], s[12:13]
; %bb.6090:
	s_mov_b32 s10, 0x7f800001
	s_xor_b64 s[4:5], exec, -1
; %bb.6091:
	s_or_b64 exec, exec, s[8:9]
	s_and_b64 s[4:5], s[4:5], exec
	s_or_saveexec_b64 s[6:7], s[6:7]
	v_mov_b32_e32 v13, s10
	s_xor_b64 exec, exec, s[6:7]
	s_cbranch_execnz .LBB1_6092
; %bb.14275:
	s_getpc_b64 s[14:15]
.Lpost_getpc3041:
	s_add_u32 s14, s14, (.LBB1_1994-.Lpost_getpc3041)&4294967295
	s_addc_u32 s15, s15, (.LBB1_1994-.Lpost_getpc3041)>>32
	s_setpc_b64 s[14:15]
.LBB1_6092:
	v_mov_b32_e32 v13, 0
	v_cmp_ne_u16_sdwa s[8:9], v14, v13 src0_sel:BYTE_0 src1_sel:DWORD
	s_andn2_b64 s[4:5], s[4:5], exec
	s_and_b64 s[8:9], s[8:9], exec
	s_or_b64 s[4:5], s[4:5], s[8:9]
	s_or_b64 exec, exec, s[6:7]
	s_and_saveexec_b64 s[6:7], s[4:5]
	s_cbranch_execz .LBB1_9189
; %bb.14277:
	s_getpc_b64 s[14:15]
.Lpost_getpc3042:
	s_add_u32 s14, s14, (.LBB1_1995-.Lpost_getpc3042)&4294967295
	s_addc_u32 s15, s15, (.LBB1_1995-.Lpost_getpc3042)>>32
	s_setpc_b64 s[14:15]
.LBB1_9189:
	s_getpc_b64 s[14:15]
.Lpost_getpc498:
	s_add_u32 s14, s14, (.LBB1_1996-.Lpost_getpc498)&4294967295
	s_addc_u32 s15, s15, (.LBB1_1996-.Lpost_getpc498)>>32
	s_setpc_b64 s[14:15]
.LBB1_6093:
	s_movk_i32 s4, 0x80
	v_cmp_eq_u16_sdwa s[12:13], v14, s4 src0_sel:BYTE_0 src1_sel:DWORD
	s_mov_b64 s[4:5], -1
                                        ; implicit-def: $sgpr10
	s_and_saveexec_b64 s[8:9], s[12:13]
; %bb.6094:
	s_mov_b32 s10, 0x7f800001
	s_xor_b64 s[4:5], exec, -1
; %bb.6095:
	s_or_b64 exec, exec, s[8:9]
	s_and_b64 s[4:5], s[4:5], exec
	s_or_saveexec_b64 s[6:7], s[6:7]
	v_mov_b32_e32 v16, s10
	s_xor_b64 exec, exec, s[6:7]
	s_cbranch_execnz .LBB1_6096
; %bb.14279:
	s_getpc_b64 s[14:15]
.Lpost_getpc3043:
	s_add_u32 s14, s14, (.LBB1_1998-.Lpost_getpc3043)&4294967295
	s_addc_u32 s15, s15, (.LBB1_1998-.Lpost_getpc3043)>>32
	s_setpc_b64 s[14:15]
.LBB1_6096:
	v_mov_b32_e32 v16, 0
	v_cmp_ne_u16_sdwa s[8:9], v14, v16 src0_sel:BYTE_0 src1_sel:DWORD
	s_andn2_b64 s[4:5], s[4:5], exec
	s_and_b64 s[8:9], s[8:9], exec
	s_or_b64 s[4:5], s[4:5], s[8:9]
	s_or_b64 exec, exec, s[6:7]
	s_and_saveexec_b64 s[6:7], s[4:5]
	s_cbranch_execz .LBB1_9191
; %bb.14281:
	s_getpc_b64 s[14:15]
.Lpost_getpc3044:
	s_add_u32 s14, s14, (.LBB1_1999-.Lpost_getpc3044)&4294967295
	s_addc_u32 s15, s15, (.LBB1_1999-.Lpost_getpc3044)>>32
	s_setpc_b64 s[14:15]
.LBB1_9191:
	s_getpc_b64 s[14:15]
.Lpost_getpc499:
	s_add_u32 s14, s14, (.LBB1_2000-.Lpost_getpc499)&4294967295
	s_addc_u32 s15, s15, (.LBB1_2000-.Lpost_getpc499)>>32
	s_setpc_b64 s[14:15]
.LBB1_6097:
	s_movk_i32 s4, 0x80
	v_cmp_eq_u16_e32 vcc, s4, v14
	s_mov_b64 s[4:5], -1
                                        ; implicit-def: $sgpr10
	s_and_saveexec_b64 s[8:9], vcc
; %bb.6098:
	s_mov_b32 s10, 0x7f800001
	s_xor_b64 s[4:5], exec, -1
; %bb.6099:
	s_or_b64 exec, exec, s[8:9]
	s_and_b64 s[4:5], s[4:5], exec
                                        ; implicit-def: $vgpr14
	s_or_saveexec_b64 s[6:7], s[6:7]
	v_mov_b32_e32 v13, s10
	s_xor_b64 exec, exec, s[6:7]
	s_cbranch_execnz .LBB1_6100
; %bb.14283:
	s_getpc_b64 s[14:15]
.Lpost_getpc3045:
	s_add_u32 s14, s14, (.LBB1_2002-.Lpost_getpc3045)&4294967295
	s_addc_u32 s15, s15, (.LBB1_2002-.Lpost_getpc3045)>>32
	s_setpc_b64 s[14:15]
.LBB1_6100:
	v_cmp_ne_u16_e32 vcc, 0, v14
	s_andn2_b64 s[4:5], s[4:5], exec
	s_and_b64 s[8:9], vcc, exec
	v_mov_b32_e32 v13, 0
	s_or_b64 s[4:5], s[4:5], s[8:9]
	s_or_b64 exec, exec, s[6:7]
	s_and_saveexec_b64 s[6:7], s[4:5]
	s_cbranch_execz .LBB1_9193
; %bb.14285:
	s_getpc_b64 s[14:15]
.Lpost_getpc3046:
	s_add_u32 s14, s14, (.LBB1_2003-.Lpost_getpc3046)&4294967295
	s_addc_u32 s15, s15, (.LBB1_2003-.Lpost_getpc3046)>>32
	s_setpc_b64 s[14:15]
.LBB1_9193:
	s_getpc_b64 s[14:15]
.Lpost_getpc500:
	s_add_u32 s14, s14, (.LBB1_2004-.Lpost_getpc500)&4294967295
	s_addc_u32 s15, s15, (.LBB1_2004-.Lpost_getpc500)>>32
	s_setpc_b64 s[14:15]
.LBB1_6101:
	s_movk_i32 s4, 0x80
	v_cmp_eq_u16_e32 vcc, s4, v14
	s_mov_b64 s[4:5], -1
                                        ; implicit-def: $sgpr10
	s_and_saveexec_b64 s[8:9], vcc
; %bb.6102:
	s_mov_b32 s10, 0x7f800001
	s_xor_b64 s[4:5], exec, -1
; %bb.6103:
	s_or_b64 exec, exec, s[8:9]
	s_and_b64 s[4:5], s[4:5], exec
                                        ; implicit-def: $vgpr14
	s_or_saveexec_b64 s[6:7], s[6:7]
	v_mov_b32_e32 v16, s10
	s_xor_b64 exec, exec, s[6:7]
	s_cbranch_execnz .LBB1_6104
; %bb.14287:
	s_getpc_b64 s[14:15]
.Lpost_getpc3047:
	s_add_u32 s14, s14, (.LBB1_2006-.Lpost_getpc3047)&4294967295
	s_addc_u32 s15, s15, (.LBB1_2006-.Lpost_getpc3047)>>32
	s_setpc_b64 s[14:15]
.LBB1_6104:
	v_cmp_ne_u16_e32 vcc, 0, v14
	s_andn2_b64 s[4:5], s[4:5], exec
	s_and_b64 s[8:9], vcc, exec
	v_mov_b32_e32 v16, 0
	s_or_b64 s[4:5], s[4:5], s[8:9]
	s_or_b64 exec, exec, s[6:7]
	s_and_saveexec_b64 s[6:7], s[4:5]
	s_cbranch_execz .LBB1_9195
; %bb.14289:
	s_getpc_b64 s[14:15]
.Lpost_getpc3048:
	s_add_u32 s14, s14, (.LBB1_2007-.Lpost_getpc3048)&4294967295
	s_addc_u32 s15, s15, (.LBB1_2007-.Lpost_getpc3048)>>32
	s_setpc_b64 s[14:15]
.LBB1_9195:
	s_getpc_b64 s[14:15]
.Lpost_getpc501:
	s_add_u32 s14, s14, (.LBB1_2008-.Lpost_getpc501)&4294967295
	s_addc_u32 s15, s15, (.LBB1_2008-.Lpost_getpc501)>>32
	s_setpc_b64 s[14:15]
.LBB1_6105:
	s_movk_i32 s4, 0x80
	v_cmp_eq_u16_sdwa s[12:13], v18, s4 src0_sel:BYTE_3 src1_sel:DWORD
	s_mov_b64 s[4:5], -1
                                        ; implicit-def: $sgpr10
	s_and_saveexec_b64 s[8:9], s[12:13]
; %bb.6106:
	s_mov_b32 s10, 0x7f800001
	s_xor_b64 s[4:5], exec, -1
; %bb.6107:
	s_or_b64 exec, exec, s[8:9]
	s_and_b64 s[4:5], s[4:5], exec
	s_or_saveexec_b64 s[6:7], s[6:7]
	v_mov_b32_e32 v13, s10
	s_xor_b64 exec, exec, s[6:7]
	s_cbranch_execnz .LBB1_6108
; %bb.14291:
	s_getpc_b64 s[14:15]
.Lpost_getpc3049:
	s_add_u32 s14, s14, (.LBB1_2010-.Lpost_getpc3049)&4294967295
	s_addc_u32 s15, s15, (.LBB1_2010-.Lpost_getpc3049)>>32
	s_setpc_b64 s[14:15]
.LBB1_6108:
	v_mov_b32_e32 v13, 0
	v_cmp_ne_u16_sdwa s[8:9], v18, v13 src0_sel:BYTE_3 src1_sel:DWORD
	s_andn2_b64 s[4:5], s[4:5], exec
	s_and_b64 s[8:9], s[8:9], exec
	s_or_b64 s[4:5], s[4:5], s[8:9]
	s_or_b64 exec, exec, s[6:7]
	s_and_saveexec_b64 s[6:7], s[4:5]
	s_cbranch_execz .LBB1_9197
; %bb.14293:
	s_getpc_b64 s[14:15]
.Lpost_getpc3050:
	s_add_u32 s14, s14, (.LBB1_2011-.Lpost_getpc3050)&4294967295
	s_addc_u32 s15, s15, (.LBB1_2011-.Lpost_getpc3050)>>32
	s_setpc_b64 s[14:15]
.LBB1_9197:
	s_getpc_b64 s[14:15]
.Lpost_getpc502:
	s_add_u32 s14, s14, (.LBB1_2012-.Lpost_getpc502)&4294967295
	s_addc_u32 s15, s15, (.LBB1_2012-.Lpost_getpc502)>>32
	s_setpc_b64 s[14:15]
.LBB1_6109:
	s_movk_i32 s4, 0x80
	v_cmp_eq_u16_sdwa s[12:13], v12, s4 src0_sel:BYTE_3 src1_sel:DWORD
	s_mov_b64 s[4:5], -1
                                        ; implicit-def: $sgpr10
	s_and_saveexec_b64 s[8:9], s[12:13]
; %bb.6110:
	s_mov_b32 s10, 0x7f800001
	s_xor_b64 s[4:5], exec, -1
; %bb.6111:
	s_or_b64 exec, exec, s[8:9]
	s_and_b64 s[4:5], s[4:5], exec
	s_or_saveexec_b64 s[6:7], s[6:7]
	v_mov_b32_e32 v14, s10
	s_xor_b64 exec, exec, s[6:7]
	s_cbranch_execnz .LBB1_6112
; %bb.14295:
	s_getpc_b64 s[14:15]
.Lpost_getpc3051:
	s_add_u32 s14, s14, (.LBB1_2014-.Lpost_getpc3051)&4294967295
	s_addc_u32 s15, s15, (.LBB1_2014-.Lpost_getpc3051)>>32
	s_setpc_b64 s[14:15]
.LBB1_6112:
	v_mov_b32_e32 v14, 0
	v_cmp_ne_u16_sdwa s[8:9], v12, v14 src0_sel:BYTE_3 src1_sel:DWORD
	s_andn2_b64 s[4:5], s[4:5], exec
	s_and_b64 s[8:9], s[8:9], exec
	s_or_b64 s[4:5], s[4:5], s[8:9]
	s_or_b64 exec, exec, s[6:7]
	s_and_saveexec_b64 s[6:7], s[4:5]
	s_cbranch_execz .LBB1_9199
; %bb.14297:
	s_getpc_b64 s[14:15]
.Lpost_getpc3052:
	s_add_u32 s14, s14, (.LBB1_2015-.Lpost_getpc3052)&4294967295
	s_addc_u32 s15, s15, (.LBB1_2015-.Lpost_getpc3052)>>32
	s_setpc_b64 s[14:15]
.LBB1_9199:
	s_getpc_b64 s[14:15]
.Lpost_getpc503:
	s_add_u32 s14, s14, (.LBB1_2016-.Lpost_getpc503)&4294967295
	s_addc_u32 s15, s15, (.LBB1_2016-.Lpost_getpc503)>>32
	s_setpc_b64 s[14:15]
.LBB1_6113:
	s_movk_i32 s4, 0x80
	v_cmp_eq_u16_sdwa s[12:13], v19, s4 src0_sel:BYTE_0 src1_sel:DWORD
	s_mov_b64 s[4:5], -1
                                        ; implicit-def: $sgpr10
	s_and_saveexec_b64 s[8:9], s[12:13]
; %bb.6114:
	s_mov_b32 s10, 0x7f800001
	s_xor_b64 s[4:5], exec, -1
; %bb.6115:
	s_or_b64 exec, exec, s[8:9]
	s_and_b64 s[4:5], s[4:5], exec
	s_or_saveexec_b64 s[6:7], s[6:7]
	v_mov_b32_e32 v12, s10
	s_xor_b64 exec, exec, s[6:7]
	s_cbranch_execnz .LBB1_6116
; %bb.14299:
	s_getpc_b64 s[14:15]
.Lpost_getpc3053:
	s_add_u32 s14, s14, (.LBB1_2018-.Lpost_getpc3053)&4294967295
	s_addc_u32 s15, s15, (.LBB1_2018-.Lpost_getpc3053)>>32
	s_setpc_b64 s[14:15]
.LBB1_6116:
	v_mov_b32_e32 v12, 0
	v_cmp_ne_u16_sdwa s[8:9], v19, v12 src0_sel:BYTE_0 src1_sel:DWORD
	s_andn2_b64 s[4:5], s[4:5], exec
	s_and_b64 s[8:9], s[8:9], exec
	s_or_b64 s[4:5], s[4:5], s[8:9]
	s_or_b64 exec, exec, s[6:7]
	s_and_saveexec_b64 s[6:7], s[4:5]
	s_cbranch_execz .LBB1_9201
; %bb.14301:
	s_getpc_b64 s[14:15]
.Lpost_getpc3054:
	s_add_u32 s14, s14, (.LBB1_2019-.Lpost_getpc3054)&4294967295
	s_addc_u32 s15, s15, (.LBB1_2019-.Lpost_getpc3054)>>32
	s_setpc_b64 s[14:15]
.LBB1_9201:
	s_getpc_b64 s[14:15]
.Lpost_getpc504:
	s_add_u32 s14, s14, (.LBB1_2020-.Lpost_getpc504)&4294967295
	s_addc_u32 s15, s15, (.LBB1_2020-.Lpost_getpc504)>>32
	s_setpc_b64 s[14:15]
.LBB1_6117:
	s_movk_i32 s4, 0x80
	v_cmp_eq_u16_sdwa s[12:13], v15, s4 src0_sel:BYTE_0 src1_sel:DWORD
	s_mov_b64 s[4:5], -1
                                        ; implicit-def: $sgpr10
	s_and_saveexec_b64 s[8:9], s[12:13]
; %bb.6118:
	s_mov_b32 s10, 0x7f800001
	s_xor_b64 s[4:5], exec, -1
; %bb.6119:
	s_or_b64 exec, exec, s[8:9]
	s_and_b64 s[4:5], s[4:5], exec
	s_or_saveexec_b64 s[6:7], s[6:7]
	v_mov_b32_e32 v13, s10
	s_xor_b64 exec, exec, s[6:7]
	s_cbranch_execnz .LBB1_6120
; %bb.14303:
	s_getpc_b64 s[14:15]
.Lpost_getpc3055:
	s_add_u32 s14, s14, (.LBB1_2022-.Lpost_getpc3055)&4294967295
	s_addc_u32 s15, s15, (.LBB1_2022-.Lpost_getpc3055)>>32
	s_setpc_b64 s[14:15]
.LBB1_6120:
	v_mov_b32_e32 v13, 0
	v_cmp_ne_u16_sdwa s[8:9], v15, v13 src0_sel:BYTE_0 src1_sel:DWORD
	s_andn2_b64 s[4:5], s[4:5], exec
	s_and_b64 s[8:9], s[8:9], exec
	s_or_b64 s[4:5], s[4:5], s[8:9]
	s_or_b64 exec, exec, s[6:7]
	s_and_saveexec_b64 s[6:7], s[4:5]
	s_cbranch_execz .LBB1_9203
; %bb.14305:
	s_getpc_b64 s[14:15]
.Lpost_getpc3056:
	s_add_u32 s14, s14, (.LBB1_2023-.Lpost_getpc3056)&4294967295
	s_addc_u32 s15, s15, (.LBB1_2023-.Lpost_getpc3056)>>32
	s_setpc_b64 s[14:15]
.LBB1_9203:
	s_getpc_b64 s[14:15]
.Lpost_getpc505:
	s_add_u32 s14, s14, (.LBB1_2024-.Lpost_getpc505)&4294967295
	s_addc_u32 s15, s15, (.LBB1_2024-.Lpost_getpc505)>>32
	s_setpc_b64 s[14:15]
.LBB1_6121:
	s_movk_i32 s4, 0x80
	v_cmp_eq_u16_sdwa s[12:13], v13, s4 src0_sel:BYTE_0 src1_sel:DWORD
	s_mov_b64 s[4:5], -1
                                        ; implicit-def: $sgpr10
	s_and_saveexec_b64 s[8:9], s[12:13]
; %bb.6122:
	s_mov_b32 s10, 0x7f800001
	s_xor_b64 s[4:5], exec, -1
; %bb.6123:
	s_or_b64 exec, exec, s[8:9]
	s_and_b64 s[4:5], s[4:5], exec
	s_or_saveexec_b64 s[6:7], s[6:7]
	v_mov_b32_e32 v12, s10
	s_xor_b64 exec, exec, s[6:7]
	s_cbranch_execnz .LBB1_6124
; %bb.14307:
	s_getpc_b64 s[14:15]
.Lpost_getpc3057:
	s_add_u32 s14, s14, (.LBB1_2026-.Lpost_getpc3057)&4294967295
	s_addc_u32 s15, s15, (.LBB1_2026-.Lpost_getpc3057)>>32
	s_setpc_b64 s[14:15]
.LBB1_6124:
	v_mov_b32_e32 v12, 0
	v_cmp_ne_u16_sdwa s[8:9], v13, v12 src0_sel:BYTE_0 src1_sel:DWORD
	s_andn2_b64 s[4:5], s[4:5], exec
	s_and_b64 s[8:9], s[8:9], exec
	s_or_b64 s[4:5], s[4:5], s[8:9]
	s_or_b64 exec, exec, s[6:7]
	s_and_saveexec_b64 s[6:7], s[4:5]
	s_cbranch_execz .LBB1_9205
; %bb.14309:
	s_getpc_b64 s[14:15]
.Lpost_getpc3058:
	s_add_u32 s14, s14, (.LBB1_2027-.Lpost_getpc3058)&4294967295
	s_addc_u32 s15, s15, (.LBB1_2027-.Lpost_getpc3058)>>32
	s_setpc_b64 s[14:15]
.LBB1_9205:
	s_getpc_b64 s[14:15]
.Lpost_getpc506:
	s_add_u32 s14, s14, (.LBB1_2028-.Lpost_getpc506)&4294967295
	s_addc_u32 s15, s15, (.LBB1_2028-.Lpost_getpc506)>>32
	s_setpc_b64 s[14:15]
.LBB1_6125:
	s_movk_i32 s4, 0x80
	v_cmp_eq_u16_sdwa s[12:13], v13, s4 src0_sel:BYTE_0 src1_sel:DWORD
	s_mov_b64 s[4:5], -1
                                        ; implicit-def: $sgpr10
	s_and_saveexec_b64 s[8:9], s[12:13]
; %bb.6126:
	s_mov_b32 s10, 0x7f800001
	s_xor_b64 s[4:5], exec, -1
; %bb.6127:
	s_or_b64 exec, exec, s[8:9]
	s_and_b64 s[4:5], s[4:5], exec
	s_or_saveexec_b64 s[6:7], s[6:7]
	v_mov_b32_e32 v14, s10
	s_xor_b64 exec, exec, s[6:7]
	s_cbranch_execnz .LBB1_6128
; %bb.14311:
	s_getpc_b64 s[14:15]
.Lpost_getpc3059:
	s_add_u32 s14, s14, (.LBB1_2030-.Lpost_getpc3059)&4294967295
	s_addc_u32 s15, s15, (.LBB1_2030-.Lpost_getpc3059)>>32
	s_setpc_b64 s[14:15]
.LBB1_6128:
	v_mov_b32_e32 v14, 0
	v_cmp_ne_u16_sdwa s[8:9], v13, v14 src0_sel:BYTE_0 src1_sel:DWORD
	s_andn2_b64 s[4:5], s[4:5], exec
	s_and_b64 s[8:9], s[8:9], exec
	s_or_b64 s[4:5], s[4:5], s[8:9]
	s_or_b64 exec, exec, s[6:7]
	s_and_saveexec_b64 s[6:7], s[4:5]
	s_cbranch_execz .LBB1_9207
; %bb.14313:
	s_getpc_b64 s[14:15]
.Lpost_getpc3060:
	s_add_u32 s14, s14, (.LBB1_2031-.Lpost_getpc3060)&4294967295
	s_addc_u32 s15, s15, (.LBB1_2031-.Lpost_getpc3060)>>32
	s_setpc_b64 s[14:15]
.LBB1_9207:
	s_getpc_b64 s[14:15]
.Lpost_getpc507:
	s_add_u32 s14, s14, (.LBB1_2032-.Lpost_getpc507)&4294967295
	s_addc_u32 s15, s15, (.LBB1_2032-.Lpost_getpc507)>>32
	s_setpc_b64 s[14:15]
.LBB1_6129:
	s_movk_i32 s4, 0x80
	v_cmp_eq_u16_e32 vcc, s4, v13
	s_mov_b64 s[4:5], -1
                                        ; implicit-def: $sgpr10
	s_and_saveexec_b64 s[8:9], vcc
; %bb.6130:
	s_mov_b32 s10, 0x7f800001
	s_xor_b64 s[4:5], exec, -1
; %bb.6131:
	s_or_b64 exec, exec, s[8:9]
	s_and_b64 s[4:5], s[4:5], exec
                                        ; implicit-def: $vgpr13
	s_or_saveexec_b64 s[6:7], s[6:7]
	v_mov_b32_e32 v12, s10
	s_xor_b64 exec, exec, s[6:7]
	s_cbranch_execnz .LBB1_6132
; %bb.14315:
	s_getpc_b64 s[14:15]
.Lpost_getpc3061:
	s_add_u32 s14, s14, (.LBB1_2034-.Lpost_getpc3061)&4294967295
	s_addc_u32 s15, s15, (.LBB1_2034-.Lpost_getpc3061)>>32
	s_setpc_b64 s[14:15]
.LBB1_6132:
	v_cmp_ne_u16_e32 vcc, 0, v13
	s_andn2_b64 s[4:5], s[4:5], exec
	s_and_b64 s[8:9], vcc, exec
	v_mov_b32_e32 v12, 0
	s_or_b64 s[4:5], s[4:5], s[8:9]
	s_or_b64 exec, exec, s[6:7]
	s_and_saveexec_b64 s[6:7], s[4:5]
	s_cbranch_execz .LBB1_9209
; %bb.14317:
	s_getpc_b64 s[14:15]
.Lpost_getpc3062:
	s_add_u32 s14, s14, (.LBB1_2035-.Lpost_getpc3062)&4294967295
	s_addc_u32 s15, s15, (.LBB1_2035-.Lpost_getpc3062)>>32
	s_setpc_b64 s[14:15]
.LBB1_9209:
	s_getpc_b64 s[14:15]
.Lpost_getpc508:
	s_add_u32 s14, s14, (.LBB1_2036-.Lpost_getpc508)&4294967295
	s_addc_u32 s15, s15, (.LBB1_2036-.Lpost_getpc508)>>32
	s_setpc_b64 s[14:15]
.LBB1_6133:
	s_movk_i32 s4, 0x80
	v_cmp_eq_u16_e32 vcc, s4, v13
	s_mov_b64 s[4:5], -1
                                        ; implicit-def: $sgpr10
	s_and_saveexec_b64 s[8:9], vcc
; %bb.6134:
	s_mov_b32 s10, 0x7f800001
	s_xor_b64 s[4:5], exec, -1
; %bb.6135:
	s_or_b64 exec, exec, s[8:9]
	s_and_b64 s[4:5], s[4:5], exec
                                        ; implicit-def: $vgpr13
	s_or_saveexec_b64 s[6:7], s[6:7]
	v_mov_b32_e32 v14, s10
	s_xor_b64 exec, exec, s[6:7]
	s_cbranch_execnz .LBB1_6136
; %bb.14319:
	s_getpc_b64 s[14:15]
.Lpost_getpc3063:
	s_add_u32 s14, s14, (.LBB1_2038-.Lpost_getpc3063)&4294967295
	s_addc_u32 s15, s15, (.LBB1_2038-.Lpost_getpc3063)>>32
	s_setpc_b64 s[14:15]
.LBB1_6136:
	v_cmp_ne_u16_e32 vcc, 0, v13
	s_andn2_b64 s[4:5], s[4:5], exec
	s_and_b64 s[8:9], vcc, exec
	v_mov_b32_e32 v14, 0
	s_or_b64 s[4:5], s[4:5], s[8:9]
	s_or_b64 exec, exec, s[6:7]
	s_and_saveexec_b64 s[6:7], s[4:5]
	s_cbranch_execz .LBB1_9211
; %bb.14321:
	s_getpc_b64 s[14:15]
.Lpost_getpc3064:
	s_add_u32 s14, s14, (.LBB1_2039-.Lpost_getpc3064)&4294967295
	s_addc_u32 s15, s15, (.LBB1_2039-.Lpost_getpc3064)>>32
	s_setpc_b64 s[14:15]
.LBB1_9211:
	s_getpc_b64 s[14:15]
.Lpost_getpc509:
	s_add_u32 s14, s14, (.LBB1_2040-.Lpost_getpc509)&4294967295
	s_addc_u32 s15, s15, (.LBB1_2040-.Lpost_getpc509)>>32
	s_setpc_b64 s[14:15]
.LBB1_6137:
	s_movk_i32 s4, 0x80
	v_cmp_eq_u16_sdwa s[12:13], v19, s4 src0_sel:BYTE_3 src1_sel:DWORD
	s_mov_b64 s[4:5], -1
                                        ; implicit-def: $sgpr10
	s_and_saveexec_b64 s[8:9], s[12:13]
; %bb.6138:
	s_mov_b32 s10, 0x7f800001
	s_xor_b64 s[4:5], exec, -1
; %bb.6139:
	s_or_b64 exec, exec, s[8:9]
	s_and_b64 s[4:5], s[4:5], exec
	s_or_saveexec_b64 s[6:7], s[6:7]
	v_mov_b32_e32 v12, s10
	s_xor_b64 exec, exec, s[6:7]
	s_cbranch_execnz .LBB1_6140
; %bb.14323:
	s_getpc_b64 s[14:15]
.Lpost_getpc3065:
	s_add_u32 s14, s14, (.LBB1_2042-.Lpost_getpc3065)&4294967295
	s_addc_u32 s15, s15, (.LBB1_2042-.Lpost_getpc3065)>>32
	s_setpc_b64 s[14:15]
.LBB1_6140:
	v_mov_b32_e32 v12, 0
	v_cmp_ne_u16_sdwa s[8:9], v19, v12 src0_sel:BYTE_3 src1_sel:DWORD
	s_andn2_b64 s[4:5], s[4:5], exec
	s_and_b64 s[8:9], s[8:9], exec
	s_or_b64 s[4:5], s[4:5], s[8:9]
	s_or_b64 exec, exec, s[6:7]
	s_and_saveexec_b64 s[6:7], s[4:5]
	s_cbranch_execz .LBB1_9213
; %bb.14325:
	s_getpc_b64 s[14:15]
.Lpost_getpc3066:
	s_add_u32 s14, s14, (.LBB1_2043-.Lpost_getpc3066)&4294967295
	s_addc_u32 s15, s15, (.LBB1_2043-.Lpost_getpc3066)>>32
	s_setpc_b64 s[14:15]
.LBB1_9213:
	s_getpc_b64 s[14:15]
.Lpost_getpc510:
	s_add_u32 s14, s14, (.LBB1_2044-.Lpost_getpc510)&4294967295
	s_addc_u32 s15, s15, (.LBB1_2044-.Lpost_getpc510)>>32
	s_setpc_b64 s[14:15]
.LBB1_6141:
	s_movk_i32 s4, 0x80
	v_cmp_eq_u16_sdwa s[12:13], v15, s4 src0_sel:BYTE_3 src1_sel:DWORD
	s_mov_b64 s[4:5], -1
                                        ; implicit-def: $sgpr10
	s_and_saveexec_b64 s[8:9], s[12:13]
; %bb.6142:
	s_mov_b32 s10, 0x7f800001
	s_xor_b64 s[4:5], exec, -1
; %bb.6143:
	s_or_b64 exec, exec, s[8:9]
	s_and_b64 s[4:5], s[4:5], exec
	s_or_saveexec_b64 s[6:7], s[6:7]
	v_mov_b32_e32 v13, s10
	s_xor_b64 exec, exec, s[6:7]
	s_cbranch_execnz .LBB1_6144
; %bb.14327:
	s_getpc_b64 s[14:15]
.Lpost_getpc3067:
	s_add_u32 s14, s14, (.LBB1_2046-.Lpost_getpc3067)&4294967295
	s_addc_u32 s15, s15, (.LBB1_2046-.Lpost_getpc3067)>>32
	s_setpc_b64 s[14:15]
.LBB1_6144:
	v_mov_b32_e32 v13, 0
	v_cmp_ne_u16_sdwa s[8:9], v15, v13 src0_sel:BYTE_3 src1_sel:DWORD
	s_andn2_b64 s[4:5], s[4:5], exec
	s_and_b64 s[8:9], s[8:9], exec
	s_or_b64 s[4:5], s[4:5], s[8:9]
	s_or_b64 exec, exec, s[6:7]
	s_and_saveexec_b64 s[6:7], s[4:5]
	s_cbranch_execz .LBB1_9215
; %bb.14329:
	s_getpc_b64 s[14:15]
.Lpost_getpc3068:
	s_add_u32 s14, s14, (.LBB1_2047-.Lpost_getpc3068)&4294967295
	s_addc_u32 s15, s15, (.LBB1_2047-.Lpost_getpc3068)>>32
	s_setpc_b64 s[14:15]
.LBB1_9215:
	s_getpc_b64 s[14:15]
.Lpost_getpc511:
	s_add_u32 s14, s14, (.LBB1_2048-.Lpost_getpc511)&4294967295
	s_addc_u32 s15, s15, (.LBB1_2048-.Lpost_getpc511)>>32
	s_setpc_b64 s[14:15]
.LBB1_6145:
	s_movk_i32 s4, 0x80
	v_cmp_eq_u16_sdwa s[12:13], v16, s4 src0_sel:BYTE_0 src1_sel:DWORD
	s_mov_b64 s[4:5], -1
                                        ; implicit-def: $sgpr10
	s_and_saveexec_b64 s[8:9], s[12:13]
; %bb.6146:
	s_mov_b32 s10, 0x7f800001
	s_xor_b64 s[4:5], exec, -1
; %bb.6147:
	s_or_b64 exec, exec, s[8:9]
	s_and_b64 s[4:5], s[4:5], exec
	s_or_saveexec_b64 s[6:7], s[6:7]
	v_mov_b32_e32 v21, s10
	s_xor_b64 exec, exec, s[6:7]
	s_cbranch_execnz .LBB1_6148
; %bb.14331:
	s_getpc_b64 s[14:15]
.Lpost_getpc3069:
	s_add_u32 s14, s14, (.LBB1_2050-.Lpost_getpc3069)&4294967295
	s_addc_u32 s15, s15, (.LBB1_2050-.Lpost_getpc3069)>>32
	s_setpc_b64 s[14:15]
.LBB1_6148:
	v_mov_b32_e32 v21, 0
	v_cmp_ne_u16_sdwa s[8:9], v16, v21 src0_sel:BYTE_0 src1_sel:DWORD
	s_andn2_b64 s[4:5], s[4:5], exec
	s_and_b64 s[8:9], s[8:9], exec
	s_or_b64 s[4:5], s[4:5], s[8:9]
	s_or_b64 exec, exec, s[6:7]
	s_and_saveexec_b64 s[6:7], s[4:5]
	s_cbranch_execz .LBB1_9217
; %bb.14333:
	s_getpc_b64 s[14:15]
.Lpost_getpc3070:
	s_add_u32 s14, s14, (.LBB1_2051-.Lpost_getpc3070)&4294967295
	s_addc_u32 s15, s15, (.LBB1_2051-.Lpost_getpc3070)>>32
	s_setpc_b64 s[14:15]
.LBB1_9217:
	s_getpc_b64 s[14:15]
.Lpost_getpc512:
	s_add_u32 s14, s14, (.LBB1_2052-.Lpost_getpc512)&4294967295
	s_addc_u32 s15, s15, (.LBB1_2052-.Lpost_getpc512)>>32
	s_setpc_b64 s[14:15]
.LBB1_6149:
	s_movk_i32 s4, 0x80
	v_cmp_eq_u16_sdwa s[12:13], v12, s4 src0_sel:BYTE_0 src1_sel:DWORD
	s_mov_b64 s[4:5], -1
                                        ; implicit-def: $sgpr10
	s_and_saveexec_b64 s[8:9], s[12:13]
; %bb.6150:
	s_mov_b32 s10, 0x7f800001
	s_xor_b64 s[4:5], exec, -1
; %bb.6151:
	s_or_b64 exec, exec, s[8:9]
	s_and_b64 s[4:5], s[4:5], exec
	s_or_saveexec_b64 s[6:7], s[6:7]
	v_mov_b32_e32 v22, s10
	s_xor_b64 exec, exec, s[6:7]
	s_cbranch_execnz .LBB1_6152
; %bb.14335:
	s_getpc_b64 s[14:15]
.Lpost_getpc3071:
	s_add_u32 s14, s14, (.LBB1_2054-.Lpost_getpc3071)&4294967295
	s_addc_u32 s15, s15, (.LBB1_2054-.Lpost_getpc3071)>>32
	s_setpc_b64 s[14:15]
.LBB1_6152:
	v_mov_b32_e32 v22, 0
	v_cmp_ne_u16_sdwa s[8:9], v12, v22 src0_sel:BYTE_0 src1_sel:DWORD
	s_andn2_b64 s[4:5], s[4:5], exec
	s_and_b64 s[8:9], s[8:9], exec
	s_or_b64 s[4:5], s[4:5], s[8:9]
	s_or_b64 exec, exec, s[6:7]
	s_and_saveexec_b64 s[6:7], s[4:5]
	s_cbranch_execz .LBB1_9219
; %bb.14337:
	s_getpc_b64 s[14:15]
.Lpost_getpc3072:
	s_add_u32 s14, s14, (.LBB1_2055-.Lpost_getpc3072)&4294967295
	s_addc_u32 s15, s15, (.LBB1_2055-.Lpost_getpc3072)>>32
	s_setpc_b64 s[14:15]
.LBB1_9219:
	s_getpc_b64 s[14:15]
.Lpost_getpc513:
	s_add_u32 s14, s14, (.LBB1_2056-.Lpost_getpc513)&4294967295
	s_addc_u32 s15, s15, (.LBB1_2056-.Lpost_getpc513)>>32
	s_setpc_b64 s[14:15]
.LBB1_6153:
	s_movk_i32 s4, 0x80
	v_cmp_eq_u16_sdwa s[12:13], v22, s4 src0_sel:BYTE_0 src1_sel:DWORD
	s_mov_b64 s[4:5], -1
                                        ; implicit-def: $sgpr10
	s_and_saveexec_b64 s[8:9], s[12:13]
; %bb.6154:
	s_mov_b32 s10, 0x7f800001
	s_xor_b64 s[4:5], exec, -1
; %bb.6155:
	s_or_b64 exec, exec, s[8:9]
	s_and_b64 s[4:5], s[4:5], exec
	s_or_saveexec_b64 s[6:7], s[6:7]
	v_mov_b32_e32 v21, s10
	s_xor_b64 exec, exec, s[6:7]
	s_cbranch_execnz .LBB1_6156
; %bb.14339:
	s_getpc_b64 s[14:15]
.Lpost_getpc3073:
	s_add_u32 s14, s14, (.LBB1_2058-.Lpost_getpc3073)&4294967295
	s_addc_u32 s15, s15, (.LBB1_2058-.Lpost_getpc3073)>>32
	s_setpc_b64 s[14:15]
.LBB1_6156:
	v_mov_b32_e32 v21, 0
	v_cmp_ne_u16_sdwa s[8:9], v22, v21 src0_sel:BYTE_0 src1_sel:DWORD
	s_andn2_b64 s[4:5], s[4:5], exec
	s_and_b64 s[8:9], s[8:9], exec
	s_or_b64 s[4:5], s[4:5], s[8:9]
	s_or_b64 exec, exec, s[6:7]
	s_and_saveexec_b64 s[6:7], s[4:5]
	s_cbranch_execz .LBB1_9221
; %bb.14341:
	s_getpc_b64 s[14:15]
.Lpost_getpc3074:
	s_add_u32 s14, s14, (.LBB1_2059-.Lpost_getpc3074)&4294967295
	s_addc_u32 s15, s15, (.LBB1_2059-.Lpost_getpc3074)>>32
	s_setpc_b64 s[14:15]
.LBB1_9221:
	s_getpc_b64 s[14:15]
.Lpost_getpc514:
	s_add_u32 s14, s14, (.LBB1_2060-.Lpost_getpc514)&4294967295
	s_addc_u32 s15, s15, (.LBB1_2060-.Lpost_getpc514)>>32
	s_setpc_b64 s[14:15]
.LBB1_6157:
	s_movk_i32 s4, 0x80
	v_cmp_eq_u16_sdwa s[12:13], v22, s4 src0_sel:BYTE_0 src1_sel:DWORD
	s_mov_b64 s[4:5], -1
                                        ; implicit-def: $sgpr10
	s_and_saveexec_b64 s[8:9], s[12:13]
; %bb.6158:
	s_mov_b32 s10, 0x7f800001
	s_xor_b64 s[4:5], exec, -1
; %bb.6159:
	s_or_b64 exec, exec, s[8:9]
	s_and_b64 s[4:5], s[4:5], exec
	s_or_saveexec_b64 s[6:7], s[6:7]
	v_mov_b32_e32 v23, s10
	s_xor_b64 exec, exec, s[6:7]
	s_cbranch_execnz .LBB1_6160
; %bb.14343:
	s_getpc_b64 s[14:15]
.Lpost_getpc3075:
	s_add_u32 s14, s14, (.LBB1_2062-.Lpost_getpc3075)&4294967295
	s_addc_u32 s15, s15, (.LBB1_2062-.Lpost_getpc3075)>>32
	s_setpc_b64 s[14:15]
.LBB1_6160:
	v_mov_b32_e32 v23, 0
	v_cmp_ne_u16_sdwa s[8:9], v22, v23 src0_sel:BYTE_0 src1_sel:DWORD
	s_andn2_b64 s[4:5], s[4:5], exec
	s_and_b64 s[8:9], s[8:9], exec
	s_or_b64 s[4:5], s[4:5], s[8:9]
	s_or_b64 exec, exec, s[6:7]
	s_and_saveexec_b64 s[6:7], s[4:5]
	s_cbranch_execz .LBB1_9223
; %bb.14345:
	s_getpc_b64 s[14:15]
.Lpost_getpc3076:
	s_add_u32 s14, s14, (.LBB1_2063-.Lpost_getpc3076)&4294967295
	s_addc_u32 s15, s15, (.LBB1_2063-.Lpost_getpc3076)>>32
	s_setpc_b64 s[14:15]
.LBB1_9223:
	s_getpc_b64 s[14:15]
.Lpost_getpc515:
	s_add_u32 s14, s14, (.LBB1_2064-.Lpost_getpc515)&4294967295
	s_addc_u32 s15, s15, (.LBB1_2064-.Lpost_getpc515)>>32
	s_setpc_b64 s[14:15]
.LBB1_6161:
	s_movk_i32 s4, 0x80
	v_cmp_eq_u16_e32 vcc, s4, v22
	s_mov_b64 s[4:5], -1
                                        ; implicit-def: $sgpr10
	s_and_saveexec_b64 s[8:9], vcc
; %bb.6162:
	s_mov_b32 s10, 0x7f800001
	s_xor_b64 s[4:5], exec, -1
; %bb.6163:
	s_or_b64 exec, exec, s[8:9]
	s_and_b64 s[4:5], s[4:5], exec
                                        ; implicit-def: $vgpr22
	s_or_saveexec_b64 s[6:7], s[6:7]
	v_mov_b32_e32 v21, s10
	s_xor_b64 exec, exec, s[6:7]
	s_cbranch_execnz .LBB1_6164
; %bb.14347:
	s_getpc_b64 s[14:15]
.Lpost_getpc3077:
	s_add_u32 s14, s14, (.LBB1_2066-.Lpost_getpc3077)&4294967295
	s_addc_u32 s15, s15, (.LBB1_2066-.Lpost_getpc3077)>>32
	s_setpc_b64 s[14:15]
.LBB1_6164:
	v_cmp_ne_u16_e32 vcc, 0, v22
	s_andn2_b64 s[4:5], s[4:5], exec
	s_and_b64 s[8:9], vcc, exec
	v_mov_b32_e32 v21, 0
	s_or_b64 s[4:5], s[4:5], s[8:9]
	s_or_b64 exec, exec, s[6:7]
	s_and_saveexec_b64 s[6:7], s[4:5]
	s_cbranch_execz .LBB1_9225
; %bb.14349:
	s_getpc_b64 s[14:15]
.Lpost_getpc3078:
	s_add_u32 s14, s14, (.LBB1_2067-.Lpost_getpc3078)&4294967295
	s_addc_u32 s15, s15, (.LBB1_2067-.Lpost_getpc3078)>>32
	s_setpc_b64 s[14:15]
.LBB1_9225:
	s_getpc_b64 s[14:15]
.Lpost_getpc516:
	s_add_u32 s14, s14, (.LBB1_2068-.Lpost_getpc516)&4294967295
	s_addc_u32 s15, s15, (.LBB1_2068-.Lpost_getpc516)>>32
	s_setpc_b64 s[14:15]
.LBB1_6165:
	s_movk_i32 s4, 0x80
	v_cmp_eq_u16_e32 vcc, s4, v22
	s_mov_b64 s[4:5], -1
                                        ; implicit-def: $sgpr10
	s_and_saveexec_b64 s[8:9], vcc
; %bb.6166:
	s_mov_b32 s10, 0x7f800001
	s_xor_b64 s[4:5], exec, -1
; %bb.6167:
	s_or_b64 exec, exec, s[8:9]
	s_and_b64 s[4:5], s[4:5], exec
                                        ; implicit-def: $vgpr22
	s_or_saveexec_b64 s[6:7], s[6:7]
	v_mov_b32_e32 v23, s10
	s_xor_b64 exec, exec, s[6:7]
	s_cbranch_execnz .LBB1_6168
; %bb.14351:
	s_getpc_b64 s[14:15]
.Lpost_getpc3079:
	s_add_u32 s14, s14, (.LBB1_2070-.Lpost_getpc3079)&4294967295
	s_addc_u32 s15, s15, (.LBB1_2070-.Lpost_getpc3079)>>32
	s_setpc_b64 s[14:15]
.LBB1_6168:
	v_cmp_ne_u16_e32 vcc, 0, v22
	s_andn2_b64 s[4:5], s[4:5], exec
	s_and_b64 s[8:9], vcc, exec
	v_mov_b32_e32 v23, 0
	s_or_b64 s[4:5], s[4:5], s[8:9]
	s_or_b64 exec, exec, s[6:7]
	s_and_saveexec_b64 s[6:7], s[4:5]
	s_cbranch_execz .LBB1_9227
; %bb.14353:
	s_getpc_b64 s[14:15]
.Lpost_getpc3080:
	s_add_u32 s14, s14, (.LBB1_2071-.Lpost_getpc3080)&4294967295
	s_addc_u32 s15, s15, (.LBB1_2071-.Lpost_getpc3080)>>32
	s_setpc_b64 s[14:15]
.LBB1_9227:
	s_getpc_b64 s[14:15]
.Lpost_getpc517:
	s_add_u32 s14, s14, (.LBB1_2072-.Lpost_getpc517)&4294967295
	s_addc_u32 s15, s15, (.LBB1_2072-.Lpost_getpc517)>>32
	s_setpc_b64 s[14:15]
.LBB1_6169:
	s_movk_i32 s4, 0x80
	v_cmp_eq_u16_sdwa s[12:13], v16, s4 src0_sel:BYTE_3 src1_sel:DWORD
	s_mov_b64 s[4:5], -1
                                        ; implicit-def: $sgpr10
	s_and_saveexec_b64 s[8:9], s[12:13]
; %bb.6170:
	s_mov_b32 s10, 0x7f800001
	s_xor_b64 s[4:5], exec, -1
; %bb.6171:
	s_or_b64 exec, exec, s[8:9]
	s_and_b64 s[4:5], s[4:5], exec
	s_or_saveexec_b64 s[6:7], s[6:7]
	v_mov_b32_e32 v21, s10
	s_xor_b64 exec, exec, s[6:7]
	s_cbranch_execnz .LBB1_6172
; %bb.14355:
	s_getpc_b64 s[14:15]
.Lpost_getpc3081:
	s_add_u32 s14, s14, (.LBB1_2074-.Lpost_getpc3081)&4294967295
	s_addc_u32 s15, s15, (.LBB1_2074-.Lpost_getpc3081)>>32
	s_setpc_b64 s[14:15]
.LBB1_6172:
	v_mov_b32_e32 v21, 0
	v_cmp_ne_u16_sdwa s[8:9], v16, v21 src0_sel:BYTE_3 src1_sel:DWORD
	s_andn2_b64 s[4:5], s[4:5], exec
	s_and_b64 s[8:9], s[8:9], exec
	s_or_b64 s[4:5], s[4:5], s[8:9]
	s_or_b64 exec, exec, s[6:7]
	s_and_saveexec_b64 s[6:7], s[4:5]
	s_cbranch_execz .LBB1_9229
; %bb.14357:
	s_getpc_b64 s[14:15]
.Lpost_getpc3082:
	s_add_u32 s14, s14, (.LBB1_2075-.Lpost_getpc3082)&4294967295
	s_addc_u32 s15, s15, (.LBB1_2075-.Lpost_getpc3082)>>32
	s_setpc_b64 s[14:15]
.LBB1_9229:
	s_getpc_b64 s[14:15]
.Lpost_getpc518:
	s_add_u32 s14, s14, (.LBB1_2076-.Lpost_getpc518)&4294967295
	s_addc_u32 s15, s15, (.LBB1_2076-.Lpost_getpc518)>>32
	s_setpc_b64 s[14:15]
.LBB1_6173:
	s_movk_i32 s4, 0x80
	v_cmp_eq_u16_sdwa s[12:13], v12, s4 src0_sel:BYTE_3 src1_sel:DWORD
	s_mov_b64 s[4:5], -1
                                        ; implicit-def: $sgpr10
	s_and_saveexec_b64 s[8:9], s[12:13]
; %bb.6174:
	s_mov_b32 s10, 0x7f800001
	s_xor_b64 s[4:5], exec, -1
; %bb.6175:
	s_or_b64 exec, exec, s[8:9]
	s_and_b64 s[4:5], s[4:5], exec
	s_or_saveexec_b64 s[6:7], s[6:7]
	v_mov_b32_e32 v16, s10
	s_xor_b64 exec, exec, s[6:7]
	s_cbranch_execnz .LBB1_6176
; %bb.14359:
	s_getpc_b64 s[14:15]
.Lpost_getpc3083:
	s_add_u32 s14, s14, (.LBB1_2078-.Lpost_getpc3083)&4294967295
	s_addc_u32 s15, s15, (.LBB1_2078-.Lpost_getpc3083)>>32
	s_setpc_b64 s[14:15]
.LBB1_6176:
	v_mov_b32_e32 v16, 0
	v_cmp_ne_u16_sdwa s[8:9], v12, v16 src0_sel:BYTE_3 src1_sel:DWORD
	s_andn2_b64 s[4:5], s[4:5], exec
	s_and_b64 s[8:9], s[8:9], exec
	s_or_b64 s[4:5], s[4:5], s[8:9]
	s_or_b64 exec, exec, s[6:7]
	s_and_saveexec_b64 s[6:7], s[4:5]
	s_cbranch_execz .LBB1_9231
; %bb.14361:
	s_getpc_b64 s[14:15]
.Lpost_getpc3084:
	s_add_u32 s14, s14, (.LBB1_2079-.Lpost_getpc3084)&4294967295
	s_addc_u32 s15, s15, (.LBB1_2079-.Lpost_getpc3084)>>32
	s_setpc_b64 s[14:15]
.LBB1_9231:
	s_getpc_b64 s[14:15]
.Lpost_getpc519:
	s_add_u32 s14, s14, (.LBB1_2080-.Lpost_getpc519)&4294967295
	s_addc_u32 s15, s15, (.LBB1_2080-.Lpost_getpc519)>>32
	s_setpc_b64 s[14:15]
.LBB1_6177:
	s_movk_i32 s4, 0x80
	v_cmp_eq_u16_sdwa s[12:13], v17, s4 src0_sel:BYTE_0 src1_sel:DWORD
	s_mov_b64 s[4:5], -1
                                        ; implicit-def: $sgpr10
	s_and_saveexec_b64 s[8:9], s[12:13]
; %bb.6178:
	s_mov_b32 s10, 0x7f800001
	s_xor_b64 s[4:5], exec, -1
; %bb.6179:
	s_or_b64 exec, exec, s[8:9]
	s_and_b64 s[4:5], s[4:5], exec
	s_or_saveexec_b64 s[6:7], s[6:7]
	v_mov_b32_e32 v12, s10
	s_xor_b64 exec, exec, s[6:7]
	s_cbranch_execnz .LBB1_6180
; %bb.14363:
	s_getpc_b64 s[14:15]
.Lpost_getpc3085:
	s_add_u32 s14, s14, (.LBB1_2082-.Lpost_getpc3085)&4294967295
	s_addc_u32 s15, s15, (.LBB1_2082-.Lpost_getpc3085)>>32
	s_setpc_b64 s[14:15]
.LBB1_6180:
	v_mov_b32_e32 v12, 0
	v_cmp_ne_u16_sdwa s[8:9], v17, v12 src0_sel:BYTE_0 src1_sel:DWORD
	s_andn2_b64 s[4:5], s[4:5], exec
	s_and_b64 s[8:9], s[8:9], exec
	s_or_b64 s[4:5], s[4:5], s[8:9]
	s_or_b64 exec, exec, s[6:7]
	s_and_saveexec_b64 s[6:7], s[4:5]
	s_cbranch_execz .LBB1_9233
; %bb.14365:
	s_getpc_b64 s[14:15]
.Lpost_getpc3086:
	s_add_u32 s14, s14, (.LBB1_2083-.Lpost_getpc3086)&4294967295
	s_addc_u32 s15, s15, (.LBB1_2083-.Lpost_getpc3086)>>32
	s_setpc_b64 s[14:15]
.LBB1_9233:
	s_getpc_b64 s[14:15]
.Lpost_getpc520:
	s_add_u32 s14, s14, (.LBB1_2084-.Lpost_getpc520)&4294967295
	s_addc_u32 s15, s15, (.LBB1_2084-.Lpost_getpc520)>>32
	s_setpc_b64 s[14:15]
.LBB1_6181:
	s_movk_i32 s4, 0x80
	v_cmp_eq_u16_sdwa s[12:13], v13, s4 src0_sel:BYTE_0 src1_sel:DWORD
	s_mov_b64 s[4:5], -1
                                        ; implicit-def: $sgpr10
	s_and_saveexec_b64 s[8:9], s[12:13]
; %bb.6182:
	s_mov_b32 s10, 0x7f800001
	s_xor_b64 s[4:5], exec, -1
; %bb.6183:
	s_or_b64 exec, exec, s[8:9]
	s_and_b64 s[4:5], s[4:5], exec
	s_or_saveexec_b64 s[6:7], s[6:7]
	v_mov_b32_e32 v16, s10
	s_xor_b64 exec, exec, s[6:7]
	s_cbranch_execnz .LBB1_6184
; %bb.14367:
	s_getpc_b64 s[14:15]
.Lpost_getpc3087:
	s_add_u32 s14, s14, (.LBB1_2086-.Lpost_getpc3087)&4294967295
	s_addc_u32 s15, s15, (.LBB1_2086-.Lpost_getpc3087)>>32
	s_setpc_b64 s[14:15]
.LBB1_6184:
	v_mov_b32_e32 v16, 0
	v_cmp_ne_u16_sdwa s[8:9], v13, v16 src0_sel:BYTE_0 src1_sel:DWORD
	s_andn2_b64 s[4:5], s[4:5], exec
	s_and_b64 s[8:9], s[8:9], exec
	s_or_b64 s[4:5], s[4:5], s[8:9]
	s_or_b64 exec, exec, s[6:7]
	s_and_saveexec_b64 s[6:7], s[4:5]
	s_cbranch_execz .LBB1_9235
; %bb.14369:
	s_getpc_b64 s[14:15]
.Lpost_getpc3088:
	s_add_u32 s14, s14, (.LBB1_2087-.Lpost_getpc3088)&4294967295
	s_addc_u32 s15, s15, (.LBB1_2087-.Lpost_getpc3088)>>32
	s_setpc_b64 s[14:15]
.LBB1_9235:
	s_getpc_b64 s[14:15]
.Lpost_getpc521:
	s_add_u32 s14, s14, (.LBB1_2088-.Lpost_getpc521)&4294967295
	s_addc_u32 s15, s15, (.LBB1_2088-.Lpost_getpc521)>>32
	s_setpc_b64 s[14:15]
.LBB1_6185:
	s_movk_i32 s4, 0x80
	v_cmp_eq_u16_sdwa s[12:13], v16, s4 src0_sel:BYTE_0 src1_sel:DWORD
	s_mov_b64 s[4:5], -1
                                        ; implicit-def: $sgpr10
	s_and_saveexec_b64 s[8:9], s[12:13]
; %bb.6186:
	s_mov_b32 s10, 0x7f800001
	s_xor_b64 s[4:5], exec, -1
; %bb.6187:
	s_or_b64 exec, exec, s[8:9]
	s_and_b64 s[4:5], s[4:5], exec
	s_or_saveexec_b64 s[6:7], s[6:7]
	v_mov_b32_e32 v12, s10
	s_xor_b64 exec, exec, s[6:7]
	s_cbranch_execnz .LBB1_6188
; %bb.14371:
	s_getpc_b64 s[14:15]
.Lpost_getpc3089:
	s_add_u32 s14, s14, (.LBB1_2090-.Lpost_getpc3089)&4294967295
	s_addc_u32 s15, s15, (.LBB1_2090-.Lpost_getpc3089)>>32
	s_setpc_b64 s[14:15]
.LBB1_6188:
	v_mov_b32_e32 v12, 0
	v_cmp_ne_u16_sdwa s[8:9], v16, v12 src0_sel:BYTE_0 src1_sel:DWORD
	s_andn2_b64 s[4:5], s[4:5], exec
	s_and_b64 s[8:9], s[8:9], exec
	s_or_b64 s[4:5], s[4:5], s[8:9]
	s_or_b64 exec, exec, s[6:7]
	s_and_saveexec_b64 s[6:7], s[4:5]
	s_cbranch_execz .LBB1_9237
; %bb.14373:
	s_getpc_b64 s[14:15]
.Lpost_getpc3090:
	s_add_u32 s14, s14, (.LBB1_2091-.Lpost_getpc3090)&4294967295
	s_addc_u32 s15, s15, (.LBB1_2091-.Lpost_getpc3090)>>32
	s_setpc_b64 s[14:15]
.LBB1_9237:
	s_getpc_b64 s[14:15]
.Lpost_getpc522:
	s_add_u32 s14, s14, (.LBB1_2092-.Lpost_getpc522)&4294967295
	s_addc_u32 s15, s15, (.LBB1_2092-.Lpost_getpc522)>>32
	s_setpc_b64 s[14:15]
.LBB1_6189:
	s_movk_i32 s4, 0x80
	v_cmp_eq_u16_sdwa s[12:13], v16, s4 src0_sel:BYTE_0 src1_sel:DWORD
	s_mov_b64 s[4:5], -1
                                        ; implicit-def: $sgpr10
	s_and_saveexec_b64 s[8:9], s[12:13]
; %bb.6190:
	s_mov_b32 s10, 0x7f800001
	s_xor_b64 s[4:5], exec, -1
; %bb.6191:
	s_or_b64 exec, exec, s[8:9]
	s_and_b64 s[4:5], s[4:5], exec
	s_or_saveexec_b64 s[6:7], s[6:7]
	v_mov_b32_e32 v21, s10
	s_xor_b64 exec, exec, s[6:7]
	s_cbranch_execnz .LBB1_6192
; %bb.14375:
	s_getpc_b64 s[14:15]
.Lpost_getpc3091:
	s_add_u32 s14, s14, (.LBB1_2094-.Lpost_getpc3091)&4294967295
	s_addc_u32 s15, s15, (.LBB1_2094-.Lpost_getpc3091)>>32
	s_setpc_b64 s[14:15]
.LBB1_6192:
	v_mov_b32_e32 v21, 0
	v_cmp_ne_u16_sdwa s[8:9], v16, v21 src0_sel:BYTE_0 src1_sel:DWORD
	s_andn2_b64 s[4:5], s[4:5], exec
	s_and_b64 s[8:9], s[8:9], exec
	s_or_b64 s[4:5], s[4:5], s[8:9]
	s_or_b64 exec, exec, s[6:7]
	s_and_saveexec_b64 s[6:7], s[4:5]
	s_cbranch_execz .LBB1_9239
; %bb.14377:
	s_getpc_b64 s[14:15]
.Lpost_getpc3092:
	s_add_u32 s14, s14, (.LBB1_2095-.Lpost_getpc3092)&4294967295
	s_addc_u32 s15, s15, (.LBB1_2095-.Lpost_getpc3092)>>32
	s_setpc_b64 s[14:15]
.LBB1_9239:
	s_getpc_b64 s[14:15]
.Lpost_getpc523:
	s_add_u32 s14, s14, (.LBB1_2096-.Lpost_getpc523)&4294967295
	s_addc_u32 s15, s15, (.LBB1_2096-.Lpost_getpc523)>>32
	s_setpc_b64 s[14:15]
.LBB1_6193:
	s_movk_i32 s4, 0x80
	v_cmp_eq_u16_e32 vcc, s4, v16
	s_mov_b64 s[4:5], -1
                                        ; implicit-def: $sgpr10
	s_and_saveexec_b64 s[8:9], vcc
; %bb.6194:
	s_mov_b32 s10, 0x7f800001
	s_xor_b64 s[4:5], exec, -1
; %bb.6195:
	s_or_b64 exec, exec, s[8:9]
	s_and_b64 s[4:5], s[4:5], exec
                                        ; implicit-def: $vgpr16
	s_or_saveexec_b64 s[6:7], s[6:7]
	v_mov_b32_e32 v12, s10
	s_xor_b64 exec, exec, s[6:7]
	s_cbranch_execnz .LBB1_6196
; %bb.14379:
	s_getpc_b64 s[14:15]
.Lpost_getpc3093:
	s_add_u32 s14, s14, (.LBB1_2098-.Lpost_getpc3093)&4294967295
	s_addc_u32 s15, s15, (.LBB1_2098-.Lpost_getpc3093)>>32
	s_setpc_b64 s[14:15]
.LBB1_6196:
	v_cmp_ne_u16_e32 vcc, 0, v16
	s_andn2_b64 s[4:5], s[4:5], exec
	s_and_b64 s[8:9], vcc, exec
	v_mov_b32_e32 v12, 0
	s_or_b64 s[4:5], s[4:5], s[8:9]
	s_or_b64 exec, exec, s[6:7]
	s_and_saveexec_b64 s[6:7], s[4:5]
	s_cbranch_execz .LBB1_9241
; %bb.14381:
	s_getpc_b64 s[14:15]
.Lpost_getpc3094:
	s_add_u32 s14, s14, (.LBB1_2099-.Lpost_getpc3094)&4294967295
	s_addc_u32 s15, s15, (.LBB1_2099-.Lpost_getpc3094)>>32
	s_setpc_b64 s[14:15]
.LBB1_9241:
	s_getpc_b64 s[14:15]
.Lpost_getpc524:
	s_add_u32 s14, s14, (.LBB1_2100-.Lpost_getpc524)&4294967295
	s_addc_u32 s15, s15, (.LBB1_2100-.Lpost_getpc524)>>32
	s_setpc_b64 s[14:15]
.LBB1_6197:
	s_movk_i32 s4, 0x80
	v_cmp_eq_u16_e32 vcc, s4, v16
	s_mov_b64 s[4:5], -1
                                        ; implicit-def: $sgpr10
	s_and_saveexec_b64 s[8:9], vcc
; %bb.6198:
	s_mov_b32 s10, 0x7f800001
	s_xor_b64 s[4:5], exec, -1
; %bb.6199:
	s_or_b64 exec, exec, s[8:9]
	s_and_b64 s[4:5], s[4:5], exec
                                        ; implicit-def: $vgpr16
	s_or_saveexec_b64 s[6:7], s[6:7]
	v_mov_b32_e32 v21, s10
	s_xor_b64 exec, exec, s[6:7]
	s_cbranch_execnz .LBB1_6200
; %bb.14383:
	s_getpc_b64 s[14:15]
.Lpost_getpc3095:
	s_add_u32 s14, s14, (.LBB1_2102-.Lpost_getpc3095)&4294967295
	s_addc_u32 s15, s15, (.LBB1_2102-.Lpost_getpc3095)>>32
	s_setpc_b64 s[14:15]
.LBB1_6200:
	v_cmp_ne_u16_e32 vcc, 0, v16
	s_andn2_b64 s[4:5], s[4:5], exec
	s_and_b64 s[8:9], vcc, exec
	v_mov_b32_e32 v21, 0
	s_or_b64 s[4:5], s[4:5], s[8:9]
	s_or_b64 exec, exec, s[6:7]
	s_and_saveexec_b64 s[6:7], s[4:5]
	s_cbranch_execz .LBB1_9243
; %bb.14385:
	s_getpc_b64 s[14:15]
.Lpost_getpc3096:
	s_add_u32 s14, s14, (.LBB1_2103-.Lpost_getpc3096)&4294967295
	s_addc_u32 s15, s15, (.LBB1_2103-.Lpost_getpc3096)>>32
	s_setpc_b64 s[14:15]
.LBB1_9243:
	s_getpc_b64 s[14:15]
.Lpost_getpc525:
	s_add_u32 s14, s14, (.LBB1_2104-.Lpost_getpc525)&4294967295
	s_addc_u32 s15, s15, (.LBB1_2104-.Lpost_getpc525)>>32
	s_setpc_b64 s[14:15]
.LBB1_6201:
	s_movk_i32 s4, 0x80
	v_cmp_eq_u16_sdwa s[12:13], v17, s4 src0_sel:BYTE_3 src1_sel:DWORD
	s_mov_b64 s[4:5], -1
                                        ; implicit-def: $sgpr10
	s_and_saveexec_b64 s[8:9], s[12:13]
; %bb.6202:
	s_mov_b32 s10, 0x7f800001
	s_xor_b64 s[4:5], exec, -1
; %bb.6203:
	s_or_b64 exec, exec, s[8:9]
	s_and_b64 s[4:5], s[4:5], exec
	s_or_saveexec_b64 s[6:7], s[6:7]
	v_mov_b32_e32 v12, s10
	s_xor_b64 exec, exec, s[6:7]
	s_cbranch_execnz .LBB1_6204
; %bb.14387:
	s_getpc_b64 s[14:15]
.Lpost_getpc3097:
	s_add_u32 s14, s14, (.LBB1_2106-.Lpost_getpc3097)&4294967295
	s_addc_u32 s15, s15, (.LBB1_2106-.Lpost_getpc3097)>>32
	s_setpc_b64 s[14:15]
.LBB1_6204:
	v_mov_b32_e32 v12, 0
	v_cmp_ne_u16_sdwa s[8:9], v17, v12 src0_sel:BYTE_3 src1_sel:DWORD
	s_andn2_b64 s[4:5], s[4:5], exec
	s_and_b64 s[8:9], s[8:9], exec
	s_or_b64 s[4:5], s[4:5], s[8:9]
	s_or_b64 exec, exec, s[6:7]
	s_and_saveexec_b64 s[6:7], s[4:5]
	s_cbranch_execz .LBB1_9245
; %bb.14389:
	s_getpc_b64 s[14:15]
.Lpost_getpc3098:
	s_add_u32 s14, s14, (.LBB1_2107-.Lpost_getpc3098)&4294967295
	s_addc_u32 s15, s15, (.LBB1_2107-.Lpost_getpc3098)>>32
	s_setpc_b64 s[14:15]
.LBB1_9245:
	s_getpc_b64 s[14:15]
.Lpost_getpc526:
	s_add_u32 s14, s14, (.LBB1_2108-.Lpost_getpc526)&4294967295
	s_addc_u32 s15, s15, (.LBB1_2108-.Lpost_getpc526)>>32
	s_setpc_b64 s[14:15]
.LBB1_6205:
	s_movk_i32 s4, 0x80
	v_cmp_eq_u16_sdwa s[12:13], v13, s4 src0_sel:BYTE_3 src1_sel:DWORD
	s_mov_b64 s[4:5], -1
                                        ; implicit-def: $sgpr10
	s_and_saveexec_b64 s[8:9], s[12:13]
; %bb.6206:
	s_mov_b32 s10, 0x7f800001
	s_xor_b64 s[4:5], exec, -1
; %bb.6207:
	s_or_b64 exec, exec, s[8:9]
	s_and_b64 s[4:5], s[4:5], exec
	s_or_saveexec_b64 s[6:7], s[6:7]
	v_mov_b32_e32 v16, s10
	s_xor_b64 exec, exec, s[6:7]
	s_cbranch_execnz .LBB1_6208
; %bb.14391:
	s_getpc_b64 s[14:15]
.Lpost_getpc3099:
	s_add_u32 s14, s14, (.LBB1_2110-.Lpost_getpc3099)&4294967295
	s_addc_u32 s15, s15, (.LBB1_2110-.Lpost_getpc3099)>>32
	s_setpc_b64 s[14:15]
.LBB1_6208:
	v_mov_b32_e32 v16, 0
	v_cmp_ne_u16_sdwa s[8:9], v13, v16 src0_sel:BYTE_3 src1_sel:DWORD
	s_andn2_b64 s[4:5], s[4:5], exec
	s_and_b64 s[8:9], s[8:9], exec
	s_or_b64 s[4:5], s[4:5], s[8:9]
	s_or_b64 exec, exec, s[6:7]
	s_and_saveexec_b64 s[6:7], s[4:5]
	s_cbranch_execz .LBB1_9247
; %bb.14393:
	s_getpc_b64 s[14:15]
.Lpost_getpc3100:
	s_add_u32 s14, s14, (.LBB1_2111-.Lpost_getpc3100)&4294967295
	s_addc_u32 s15, s15, (.LBB1_2111-.Lpost_getpc3100)>>32
	s_setpc_b64 s[14:15]
.LBB1_9247:
	s_getpc_b64 s[14:15]
.Lpost_getpc527:
	s_add_u32 s14, s14, (.LBB1_2112-.Lpost_getpc527)&4294967295
	s_addc_u32 s15, s15, (.LBB1_2112-.Lpost_getpc527)>>32
	s_setpc_b64 s[14:15]
.LBB1_6209:
	s_movk_i32 s4, 0x80
	v_cmp_eq_u16_sdwa s[12:13], v18, s4 src0_sel:BYTE_0 src1_sel:DWORD
	s_mov_b64 s[4:5], -1
                                        ; implicit-def: $sgpr10
	s_and_saveexec_b64 s[8:9], s[12:13]
; %bb.6210:
	s_mov_b32 s10, 0x7f800001
	s_xor_b64 s[4:5], exec, -1
; %bb.6211:
	s_or_b64 exec, exec, s[8:9]
	s_and_b64 s[4:5], s[4:5], exec
	s_or_saveexec_b64 s[6:7], s[6:7]
	v_mov_b32_e32 v13, s10
	s_xor_b64 exec, exec, s[6:7]
	s_cbranch_execnz .LBB1_6212
; %bb.14395:
	s_getpc_b64 s[14:15]
.Lpost_getpc3101:
	s_add_u32 s14, s14, (.LBB1_2114-.Lpost_getpc3101)&4294967295
	s_addc_u32 s15, s15, (.LBB1_2114-.Lpost_getpc3101)>>32
	s_setpc_b64 s[14:15]
.LBB1_6212:
	v_mov_b32_e32 v13, 0
	v_cmp_ne_u16_sdwa s[8:9], v18, v13 src0_sel:BYTE_0 src1_sel:DWORD
	s_andn2_b64 s[4:5], s[4:5], exec
	s_and_b64 s[8:9], s[8:9], exec
	s_or_b64 s[4:5], s[4:5], s[8:9]
	s_or_b64 exec, exec, s[6:7]
	s_and_saveexec_b64 s[6:7], s[4:5]
	s_cbranch_execz .LBB1_9249
; %bb.14397:
	s_getpc_b64 s[14:15]
.Lpost_getpc3102:
	s_add_u32 s14, s14, (.LBB1_2115-.Lpost_getpc3102)&4294967295
	s_addc_u32 s15, s15, (.LBB1_2115-.Lpost_getpc3102)>>32
	s_setpc_b64 s[14:15]
.LBB1_9249:
	s_getpc_b64 s[14:15]
.Lpost_getpc528:
	s_add_u32 s14, s14, (.LBB1_2116-.Lpost_getpc528)&4294967295
	s_addc_u32 s15, s15, (.LBB1_2116-.Lpost_getpc528)>>32
	s_setpc_b64 s[14:15]
.LBB1_6213:
	s_movk_i32 s4, 0x80
	v_cmp_eq_u16_sdwa s[12:13], v16, s4 src0_sel:BYTE_0 src1_sel:DWORD
	s_mov_b64 s[4:5], -1
                                        ; implicit-def: $sgpr10
	s_and_saveexec_b64 s[8:9], s[12:13]
; %bb.6214:
	s_mov_b32 s10, 0x7f800001
	s_xor_b64 s[4:5], exec, -1
; %bb.6215:
	s_or_b64 exec, exec, s[8:9]
	s_and_b64 s[4:5], s[4:5], exec
	s_or_saveexec_b64 s[6:7], s[6:7]
	v_mov_b32_e32 v14, s10
	s_xor_b64 exec, exec, s[6:7]
	s_cbranch_execnz .LBB1_6216
; %bb.14399:
	s_getpc_b64 s[14:15]
.Lpost_getpc3103:
	s_add_u32 s14, s14, (.LBB1_2118-.Lpost_getpc3103)&4294967295
	s_addc_u32 s15, s15, (.LBB1_2118-.Lpost_getpc3103)>>32
	s_setpc_b64 s[14:15]
.LBB1_6216:
	v_mov_b32_e32 v14, 0
	v_cmp_ne_u16_sdwa s[8:9], v16, v14 src0_sel:BYTE_0 src1_sel:DWORD
	s_andn2_b64 s[4:5], s[4:5], exec
	s_and_b64 s[8:9], s[8:9], exec
	s_or_b64 s[4:5], s[4:5], s[8:9]
	s_or_b64 exec, exec, s[6:7]
	v_or_b32_sdwa v12, v16, v12 dst_sel:DWORD dst_unused:UNUSED_PAD src0_sel:WORD_0 src1_sel:DWORD
	s_and_saveexec_b64 s[6:7], s[4:5]
	s_cbranch_execz .LBB1_9251
; %bb.14401:
	s_getpc_b64 s[14:15]
.Lpost_getpc3104:
	s_add_u32 s14, s14, (.LBB1_2119-.Lpost_getpc3104)&4294967295
	s_addc_u32 s15, s15, (.LBB1_2119-.Lpost_getpc3104)>>32
	s_setpc_b64 s[14:15]
.LBB1_9251:
	s_getpc_b64 s[14:15]
.Lpost_getpc529:
	s_add_u32 s14, s14, (.LBB1_2120-.Lpost_getpc529)&4294967295
	s_addc_u32 s15, s15, (.LBB1_2120-.Lpost_getpc529)>>32
	s_setpc_b64 s[14:15]
.LBB1_6217:
	s_movk_i32 s4, 0x80
	v_cmp_eq_u16_sdwa s[12:13], v14, s4 src0_sel:BYTE_0 src1_sel:DWORD
	s_mov_b64 s[4:5], -1
                                        ; implicit-def: $sgpr10
	s_and_saveexec_b64 s[8:9], s[12:13]
; %bb.6218:
	s_mov_b32 s10, 0x7f800001
	s_xor_b64 s[4:5], exec, -1
; %bb.6219:
	s_or_b64 exec, exec, s[8:9]
	s_and_b64 s[4:5], s[4:5], exec
	s_or_saveexec_b64 s[6:7], s[6:7]
	v_mov_b32_e32 v13, s10
	s_xor_b64 exec, exec, s[6:7]
	s_cbranch_execnz .LBB1_6220
; %bb.14403:
	s_getpc_b64 s[14:15]
.Lpost_getpc3105:
	s_add_u32 s14, s14, (.LBB1_2122-.Lpost_getpc3105)&4294967295
	s_addc_u32 s15, s15, (.LBB1_2122-.Lpost_getpc3105)>>32
	s_setpc_b64 s[14:15]
.LBB1_6220:
	v_mov_b32_e32 v13, 0
	v_cmp_ne_u16_sdwa s[8:9], v14, v13 src0_sel:BYTE_0 src1_sel:DWORD
	s_andn2_b64 s[4:5], s[4:5], exec
	s_and_b64 s[8:9], s[8:9], exec
	s_or_b64 s[4:5], s[4:5], s[8:9]
	s_or_b64 exec, exec, s[6:7]
	s_and_saveexec_b64 s[6:7], s[4:5]
	s_cbranch_execz .LBB1_9253
; %bb.14405:
	s_getpc_b64 s[14:15]
.Lpost_getpc3106:
	s_add_u32 s14, s14, (.LBB1_2123-.Lpost_getpc3106)&4294967295
	s_addc_u32 s15, s15, (.LBB1_2123-.Lpost_getpc3106)>>32
	s_setpc_b64 s[14:15]
.LBB1_9253:
	s_getpc_b64 s[14:15]
.Lpost_getpc530:
	s_add_u32 s14, s14, (.LBB1_2124-.Lpost_getpc530)&4294967295
	s_addc_u32 s15, s15, (.LBB1_2124-.Lpost_getpc530)>>32
	s_setpc_b64 s[14:15]
.LBB1_6221:
	s_movk_i32 s4, 0x80
	v_cmp_eq_u16_sdwa s[12:13], v14, s4 src0_sel:BYTE_0 src1_sel:DWORD
	s_mov_b64 s[4:5], -1
                                        ; implicit-def: $sgpr10
	s_and_saveexec_b64 s[8:9], s[12:13]
; %bb.6222:
	s_mov_b32 s10, 0x7f800001
	s_xor_b64 s[4:5], exec, -1
; %bb.6223:
	s_or_b64 exec, exec, s[8:9]
	s_and_b64 s[4:5], s[4:5], exec
	s_or_saveexec_b64 s[6:7], s[6:7]
	v_mov_b32_e32 v16, s10
	s_xor_b64 exec, exec, s[6:7]
	s_cbranch_execnz .LBB1_6224
; %bb.14407:
	s_getpc_b64 s[14:15]
.Lpost_getpc3107:
	s_add_u32 s14, s14, (.LBB1_2126-.Lpost_getpc3107)&4294967295
	s_addc_u32 s15, s15, (.LBB1_2126-.Lpost_getpc3107)>>32
	s_setpc_b64 s[14:15]
.LBB1_6224:
	v_mov_b32_e32 v16, 0
	v_cmp_ne_u16_sdwa s[8:9], v14, v16 src0_sel:BYTE_0 src1_sel:DWORD
	s_andn2_b64 s[4:5], s[4:5], exec
	s_and_b64 s[8:9], s[8:9], exec
	s_or_b64 s[4:5], s[4:5], s[8:9]
	s_or_b64 exec, exec, s[6:7]
	s_and_saveexec_b64 s[6:7], s[4:5]
	s_cbranch_execz .LBB1_9255
; %bb.14409:
	s_getpc_b64 s[14:15]
.Lpost_getpc3108:
	s_add_u32 s14, s14, (.LBB1_2127-.Lpost_getpc3108)&4294967295
	s_addc_u32 s15, s15, (.LBB1_2127-.Lpost_getpc3108)>>32
	s_setpc_b64 s[14:15]
.LBB1_9255:
	s_getpc_b64 s[14:15]
.Lpost_getpc531:
	s_add_u32 s14, s14, (.LBB1_2128-.Lpost_getpc531)&4294967295
	s_addc_u32 s15, s15, (.LBB1_2128-.Lpost_getpc531)>>32
	s_setpc_b64 s[14:15]
.LBB1_6225:
	s_movk_i32 s4, 0x80
	v_cmp_eq_u16_e32 vcc, s4, v14
	s_mov_b64 s[4:5], -1
                                        ; implicit-def: $sgpr10
	s_and_saveexec_b64 s[8:9], vcc
; %bb.6226:
	s_mov_b32 s10, 0x7f800001
	s_xor_b64 s[4:5], exec, -1
; %bb.6227:
	s_or_b64 exec, exec, s[8:9]
	s_and_b64 s[4:5], s[4:5], exec
                                        ; implicit-def: $vgpr14
	s_or_saveexec_b64 s[6:7], s[6:7]
	v_mov_b32_e32 v13, s10
	s_xor_b64 exec, exec, s[6:7]
	s_cbranch_execnz .LBB1_6228
; %bb.14411:
	s_getpc_b64 s[14:15]
.Lpost_getpc3109:
	s_add_u32 s14, s14, (.LBB1_2130-.Lpost_getpc3109)&4294967295
	s_addc_u32 s15, s15, (.LBB1_2130-.Lpost_getpc3109)>>32
	s_setpc_b64 s[14:15]
.LBB1_6228:
	v_cmp_ne_u16_e32 vcc, 0, v14
	s_andn2_b64 s[4:5], s[4:5], exec
	s_and_b64 s[8:9], vcc, exec
	v_mov_b32_e32 v13, 0
	s_or_b64 s[4:5], s[4:5], s[8:9]
	s_or_b64 exec, exec, s[6:7]
	s_and_saveexec_b64 s[6:7], s[4:5]
	s_cbranch_execz .LBB1_9257
; %bb.14413:
	s_getpc_b64 s[14:15]
.Lpost_getpc3110:
	s_add_u32 s14, s14, (.LBB1_2131-.Lpost_getpc3110)&4294967295
	s_addc_u32 s15, s15, (.LBB1_2131-.Lpost_getpc3110)>>32
	s_setpc_b64 s[14:15]
.LBB1_9257:
	s_getpc_b64 s[14:15]
.Lpost_getpc532:
	s_add_u32 s14, s14, (.LBB1_2132-.Lpost_getpc532)&4294967295
	s_addc_u32 s15, s15, (.LBB1_2132-.Lpost_getpc532)>>32
	s_setpc_b64 s[14:15]
.LBB1_6229:
	s_movk_i32 s4, 0x80
	v_cmp_eq_u16_e32 vcc, s4, v14
	s_mov_b64 s[4:5], -1
                                        ; implicit-def: $sgpr10
	s_and_saveexec_b64 s[8:9], vcc
; %bb.6230:
	s_mov_b32 s10, 0x7f800001
	s_xor_b64 s[4:5], exec, -1
; %bb.6231:
	s_or_b64 exec, exec, s[8:9]
	s_and_b64 s[4:5], s[4:5], exec
                                        ; implicit-def: $vgpr14
	s_or_saveexec_b64 s[6:7], s[6:7]
	v_mov_b32_e32 v16, s10
	s_xor_b64 exec, exec, s[6:7]
	s_cbranch_execnz .LBB1_6232
; %bb.14415:
	s_getpc_b64 s[14:15]
.Lpost_getpc3111:
	s_add_u32 s14, s14, (.LBB1_2134-.Lpost_getpc3111)&4294967295
	s_addc_u32 s15, s15, (.LBB1_2134-.Lpost_getpc3111)>>32
	s_setpc_b64 s[14:15]
.LBB1_6232:
	v_cmp_ne_u16_e32 vcc, 0, v14
	s_andn2_b64 s[4:5], s[4:5], exec
	s_and_b64 s[8:9], vcc, exec
	v_mov_b32_e32 v16, 0
	s_or_b64 s[4:5], s[4:5], s[8:9]
	s_or_b64 exec, exec, s[6:7]
	s_and_saveexec_b64 s[6:7], s[4:5]
	s_cbranch_execz .LBB1_9259
; %bb.14417:
	s_getpc_b64 s[14:15]
.Lpost_getpc3112:
	s_add_u32 s14, s14, (.LBB1_2135-.Lpost_getpc3112)&4294967295
	s_addc_u32 s15, s15, (.LBB1_2135-.Lpost_getpc3112)>>32
	s_setpc_b64 s[14:15]
.LBB1_9259:
	s_getpc_b64 s[14:15]
.Lpost_getpc533:
	s_add_u32 s14, s14, (.LBB1_2136-.Lpost_getpc533)&4294967295
	s_addc_u32 s15, s15, (.LBB1_2136-.Lpost_getpc533)>>32
	s_setpc_b64 s[14:15]
.LBB1_6233:
	s_movk_i32 s4, 0x80
	v_cmp_eq_u16_sdwa s[12:13], v18, s4 src0_sel:BYTE_3 src1_sel:DWORD
	s_mov_b64 s[4:5], -1
                                        ; implicit-def: $sgpr10
	s_and_saveexec_b64 s[8:9], s[12:13]
; %bb.6234:
	s_mov_b32 s10, 0x7f800001
	s_xor_b64 s[4:5], exec, -1
; %bb.6235:
	s_or_b64 exec, exec, s[8:9]
	s_and_b64 s[4:5], s[4:5], exec
	s_or_saveexec_b64 s[6:7], s[6:7]
	v_mov_b32_e32 v13, s10
	s_xor_b64 exec, exec, s[6:7]
	s_cbranch_execnz .LBB1_6236
; %bb.14419:
	s_getpc_b64 s[14:15]
.Lpost_getpc3113:
	s_add_u32 s14, s14, (.LBB1_2138-.Lpost_getpc3113)&4294967295
	s_addc_u32 s15, s15, (.LBB1_2138-.Lpost_getpc3113)>>32
	s_setpc_b64 s[14:15]
.LBB1_6236:
	v_mov_b32_e32 v13, 0
	v_cmp_ne_u16_sdwa s[8:9], v18, v13 src0_sel:BYTE_3 src1_sel:DWORD
	s_andn2_b64 s[4:5], s[4:5], exec
	s_and_b64 s[8:9], s[8:9], exec
	s_or_b64 s[4:5], s[4:5], s[8:9]
	s_or_b64 exec, exec, s[6:7]
	s_and_saveexec_b64 s[6:7], s[4:5]
	s_cbranch_execz .LBB1_9261
; %bb.14421:
	s_getpc_b64 s[14:15]
.Lpost_getpc3114:
	s_add_u32 s14, s14, (.LBB1_2139-.Lpost_getpc3114)&4294967295
	s_addc_u32 s15, s15, (.LBB1_2139-.Lpost_getpc3114)>>32
	s_setpc_b64 s[14:15]
.LBB1_9261:
	s_getpc_b64 s[14:15]
.Lpost_getpc534:
	s_add_u32 s14, s14, (.LBB1_2140-.Lpost_getpc534)&4294967295
	s_addc_u32 s15, s15, (.LBB1_2140-.Lpost_getpc534)>>32
	s_setpc_b64 s[14:15]
.LBB1_6237:
	s_movk_i32 s4, 0x80
	v_cmp_eq_u16_sdwa s[12:13], v12, s4 src0_sel:BYTE_3 src1_sel:DWORD
	s_mov_b64 s[4:5], -1
                                        ; implicit-def: $sgpr10
	s_and_saveexec_b64 s[8:9], s[12:13]
; %bb.6238:
	s_mov_b32 s10, 0x7f800001
	s_xor_b64 s[4:5], exec, -1
; %bb.6239:
	s_or_b64 exec, exec, s[8:9]
	s_and_b64 s[4:5], s[4:5], exec
	s_or_saveexec_b64 s[6:7], s[6:7]
	v_mov_b32_e32 v14, s10
	s_xor_b64 exec, exec, s[6:7]
	s_cbranch_execnz .LBB1_6240
; %bb.14423:
	s_getpc_b64 s[14:15]
.Lpost_getpc3115:
	s_add_u32 s14, s14, (.LBB1_2142-.Lpost_getpc3115)&4294967295
	s_addc_u32 s15, s15, (.LBB1_2142-.Lpost_getpc3115)>>32
	s_setpc_b64 s[14:15]
.LBB1_6240:
	v_mov_b32_e32 v14, 0
	v_cmp_ne_u16_sdwa s[8:9], v12, v14 src0_sel:BYTE_3 src1_sel:DWORD
	s_andn2_b64 s[4:5], s[4:5], exec
	s_and_b64 s[8:9], s[8:9], exec
	s_or_b64 s[4:5], s[4:5], s[8:9]
	s_or_b64 exec, exec, s[6:7]
	s_and_saveexec_b64 s[6:7], s[4:5]
	s_cbranch_execz .LBB1_9263
; %bb.14425:
	s_getpc_b64 s[14:15]
.Lpost_getpc3116:
	s_add_u32 s14, s14, (.LBB1_2143-.Lpost_getpc3116)&4294967295
	s_addc_u32 s15, s15, (.LBB1_2143-.Lpost_getpc3116)>>32
	s_setpc_b64 s[14:15]
.LBB1_9263:
	s_getpc_b64 s[14:15]
.Lpost_getpc535:
	s_add_u32 s14, s14, (.LBB1_2144-.Lpost_getpc535)&4294967295
	s_addc_u32 s15, s15, (.LBB1_2144-.Lpost_getpc535)>>32
	s_setpc_b64 s[14:15]
.LBB1_6241:
	s_movk_i32 s4, 0x80
	v_cmp_eq_u16_sdwa s[12:13], v19, s4 src0_sel:BYTE_0 src1_sel:DWORD
	s_mov_b64 s[4:5], -1
                                        ; implicit-def: $sgpr10
	s_and_saveexec_b64 s[8:9], s[12:13]
; %bb.6242:
	s_mov_b32 s10, 0x7f800001
	s_xor_b64 s[4:5], exec, -1
; %bb.6243:
	s_or_b64 exec, exec, s[8:9]
	s_and_b64 s[4:5], s[4:5], exec
	s_or_saveexec_b64 s[6:7], s[6:7]
	v_mov_b32_e32 v12, s10
	s_xor_b64 exec, exec, s[6:7]
	s_cbranch_execnz .LBB1_6244
; %bb.14427:
	s_getpc_b64 s[14:15]
.Lpost_getpc3117:
	s_add_u32 s14, s14, (.LBB1_2146-.Lpost_getpc3117)&4294967295
	s_addc_u32 s15, s15, (.LBB1_2146-.Lpost_getpc3117)>>32
	s_setpc_b64 s[14:15]
.LBB1_6244:
	v_mov_b32_e32 v12, 0
	v_cmp_ne_u16_sdwa s[8:9], v19, v12 src0_sel:BYTE_0 src1_sel:DWORD
	s_andn2_b64 s[4:5], s[4:5], exec
	s_and_b64 s[8:9], s[8:9], exec
	s_or_b64 s[4:5], s[4:5], s[8:9]
	s_or_b64 exec, exec, s[6:7]
	s_and_saveexec_b64 s[6:7], s[4:5]
	s_cbranch_execz .LBB1_9265
; %bb.14429:
	s_getpc_b64 s[14:15]
.Lpost_getpc3118:
	s_add_u32 s14, s14, (.LBB1_2147-.Lpost_getpc3118)&4294967295
	s_addc_u32 s15, s15, (.LBB1_2147-.Lpost_getpc3118)>>32
	s_setpc_b64 s[14:15]
.LBB1_9265:
	s_getpc_b64 s[14:15]
.Lpost_getpc536:
	s_add_u32 s14, s14, (.LBB1_2148-.Lpost_getpc536)&4294967295
	s_addc_u32 s15, s15, (.LBB1_2148-.Lpost_getpc536)>>32
	s_setpc_b64 s[14:15]
.LBB1_6245:
	s_movk_i32 s4, 0x80
	v_cmp_eq_u16_sdwa s[12:13], v15, s4 src0_sel:BYTE_0 src1_sel:DWORD
	s_mov_b64 s[4:5], -1
                                        ; implicit-def: $sgpr10
	s_and_saveexec_b64 s[8:9], s[12:13]
; %bb.6246:
	s_mov_b32 s10, 0x7f800001
	s_xor_b64 s[4:5], exec, -1
; %bb.6247:
	s_or_b64 exec, exec, s[8:9]
	s_and_b64 s[4:5], s[4:5], exec
	s_or_saveexec_b64 s[6:7], s[6:7]
	v_mov_b32_e32 v13, s10
	s_xor_b64 exec, exec, s[6:7]
	s_cbranch_execnz .LBB1_6248
; %bb.14431:
	s_getpc_b64 s[14:15]
.Lpost_getpc3119:
	s_add_u32 s14, s14, (.LBB1_2150-.Lpost_getpc3119)&4294967295
	s_addc_u32 s15, s15, (.LBB1_2150-.Lpost_getpc3119)>>32
	s_setpc_b64 s[14:15]
.LBB1_6248:
	v_mov_b32_e32 v13, 0
	v_cmp_ne_u16_sdwa s[8:9], v15, v13 src0_sel:BYTE_0 src1_sel:DWORD
	s_andn2_b64 s[4:5], s[4:5], exec
	s_and_b64 s[8:9], s[8:9], exec
	s_or_b64 s[4:5], s[4:5], s[8:9]
	s_or_b64 exec, exec, s[6:7]
	s_and_saveexec_b64 s[6:7], s[4:5]
	s_cbranch_execz .LBB1_9267
; %bb.14433:
	s_getpc_b64 s[14:15]
.Lpost_getpc3120:
	s_add_u32 s14, s14, (.LBB1_2151-.Lpost_getpc3120)&4294967295
	s_addc_u32 s15, s15, (.LBB1_2151-.Lpost_getpc3120)>>32
	s_setpc_b64 s[14:15]
.LBB1_9267:
	s_getpc_b64 s[14:15]
.Lpost_getpc537:
	s_add_u32 s14, s14, (.LBB1_2152-.Lpost_getpc537)&4294967295
	s_addc_u32 s15, s15, (.LBB1_2152-.Lpost_getpc537)>>32
	s_setpc_b64 s[14:15]
.LBB1_6249:
	s_movk_i32 s4, 0x80
	v_cmp_eq_u16_sdwa s[12:13], v13, s4 src0_sel:BYTE_0 src1_sel:DWORD
	s_mov_b64 s[4:5], -1
                                        ; implicit-def: $sgpr10
	s_and_saveexec_b64 s[8:9], s[12:13]
; %bb.6250:
	s_mov_b32 s10, 0x7f800001
	s_xor_b64 s[4:5], exec, -1
; %bb.6251:
	s_or_b64 exec, exec, s[8:9]
	s_and_b64 s[4:5], s[4:5], exec
	s_or_saveexec_b64 s[6:7], s[6:7]
	v_mov_b32_e32 v12, s10
	s_xor_b64 exec, exec, s[6:7]
	s_cbranch_execnz .LBB1_6252
; %bb.14435:
	s_getpc_b64 s[14:15]
.Lpost_getpc3121:
	s_add_u32 s14, s14, (.LBB1_2154-.Lpost_getpc3121)&4294967295
	s_addc_u32 s15, s15, (.LBB1_2154-.Lpost_getpc3121)>>32
	s_setpc_b64 s[14:15]
.LBB1_6252:
	v_mov_b32_e32 v12, 0
	v_cmp_ne_u16_sdwa s[8:9], v13, v12 src0_sel:BYTE_0 src1_sel:DWORD
	s_andn2_b64 s[4:5], s[4:5], exec
	s_and_b64 s[8:9], s[8:9], exec
	s_or_b64 s[4:5], s[4:5], s[8:9]
	s_or_b64 exec, exec, s[6:7]
	s_and_saveexec_b64 s[6:7], s[4:5]
	s_cbranch_execz .LBB1_9269
; %bb.14437:
	s_getpc_b64 s[14:15]
.Lpost_getpc3122:
	s_add_u32 s14, s14, (.LBB1_2155-.Lpost_getpc3122)&4294967295
	s_addc_u32 s15, s15, (.LBB1_2155-.Lpost_getpc3122)>>32
	s_setpc_b64 s[14:15]
.LBB1_9269:
	s_getpc_b64 s[14:15]
.Lpost_getpc538:
	s_add_u32 s14, s14, (.LBB1_2156-.Lpost_getpc538)&4294967295
	s_addc_u32 s15, s15, (.LBB1_2156-.Lpost_getpc538)>>32
	s_setpc_b64 s[14:15]
.LBB1_6253:
	s_movk_i32 s4, 0x80
	v_cmp_eq_u16_sdwa s[12:13], v13, s4 src0_sel:BYTE_0 src1_sel:DWORD
	s_mov_b64 s[4:5], -1
                                        ; implicit-def: $sgpr10
	s_and_saveexec_b64 s[8:9], s[12:13]
; %bb.6254:
	s_mov_b32 s10, 0x7f800001
	s_xor_b64 s[4:5], exec, -1
; %bb.6255:
	s_or_b64 exec, exec, s[8:9]
	s_and_b64 s[4:5], s[4:5], exec
	s_or_saveexec_b64 s[6:7], s[6:7]
	v_mov_b32_e32 v14, s10
	s_xor_b64 exec, exec, s[6:7]
	s_cbranch_execnz .LBB1_6256
; %bb.14439:
	s_getpc_b64 s[14:15]
.Lpost_getpc3123:
	s_add_u32 s14, s14, (.LBB1_2158-.Lpost_getpc3123)&4294967295
	s_addc_u32 s15, s15, (.LBB1_2158-.Lpost_getpc3123)>>32
	s_setpc_b64 s[14:15]
.LBB1_6256:
	v_mov_b32_e32 v14, 0
	v_cmp_ne_u16_sdwa s[8:9], v13, v14 src0_sel:BYTE_0 src1_sel:DWORD
	s_andn2_b64 s[4:5], s[4:5], exec
	s_and_b64 s[8:9], s[8:9], exec
	s_or_b64 s[4:5], s[4:5], s[8:9]
	s_or_b64 exec, exec, s[6:7]
	s_and_saveexec_b64 s[6:7], s[4:5]
	s_cbranch_execz .LBB1_9271
; %bb.14441:
	s_getpc_b64 s[14:15]
.Lpost_getpc3124:
	s_add_u32 s14, s14, (.LBB1_2159-.Lpost_getpc3124)&4294967295
	s_addc_u32 s15, s15, (.LBB1_2159-.Lpost_getpc3124)>>32
	s_setpc_b64 s[14:15]
.LBB1_9271:
	s_getpc_b64 s[14:15]
.Lpost_getpc539:
	s_add_u32 s14, s14, (.LBB1_2160-.Lpost_getpc539)&4294967295
	s_addc_u32 s15, s15, (.LBB1_2160-.Lpost_getpc539)>>32
	s_setpc_b64 s[14:15]
.LBB1_6257:
	s_movk_i32 s4, 0x80
	v_cmp_eq_u16_e32 vcc, s4, v13
	s_mov_b64 s[4:5], -1
                                        ; implicit-def: $sgpr10
	s_and_saveexec_b64 s[8:9], vcc
; %bb.6258:
	s_mov_b32 s10, 0x7f800001
	s_xor_b64 s[4:5], exec, -1
; %bb.6259:
	s_or_b64 exec, exec, s[8:9]
	s_and_b64 s[4:5], s[4:5], exec
                                        ; implicit-def: $vgpr13
	s_or_saveexec_b64 s[6:7], s[6:7]
	v_mov_b32_e32 v12, s10
	s_xor_b64 exec, exec, s[6:7]
	s_cbranch_execnz .LBB1_6260
; %bb.14443:
	s_getpc_b64 s[14:15]
.Lpost_getpc3125:
	s_add_u32 s14, s14, (.LBB1_2162-.Lpost_getpc3125)&4294967295
	s_addc_u32 s15, s15, (.LBB1_2162-.Lpost_getpc3125)>>32
	s_setpc_b64 s[14:15]
.LBB1_6260:
	v_cmp_ne_u16_e32 vcc, 0, v13
	s_andn2_b64 s[4:5], s[4:5], exec
	s_and_b64 s[8:9], vcc, exec
	v_mov_b32_e32 v12, 0
	s_or_b64 s[4:5], s[4:5], s[8:9]
	s_or_b64 exec, exec, s[6:7]
	s_and_saveexec_b64 s[6:7], s[4:5]
	s_cbranch_execz .LBB1_9273
; %bb.14445:
	s_getpc_b64 s[14:15]
.Lpost_getpc3126:
	s_add_u32 s14, s14, (.LBB1_2163-.Lpost_getpc3126)&4294967295
	s_addc_u32 s15, s15, (.LBB1_2163-.Lpost_getpc3126)>>32
	s_setpc_b64 s[14:15]
.LBB1_9273:
	s_getpc_b64 s[14:15]
.Lpost_getpc540:
	s_add_u32 s14, s14, (.LBB1_2164-.Lpost_getpc540)&4294967295
	s_addc_u32 s15, s15, (.LBB1_2164-.Lpost_getpc540)>>32
	s_setpc_b64 s[14:15]
.LBB1_6261:
	s_movk_i32 s4, 0x80
	v_cmp_eq_u16_e32 vcc, s4, v13
	s_mov_b64 s[4:5], -1
                                        ; implicit-def: $sgpr10
	s_and_saveexec_b64 s[8:9], vcc
; %bb.6262:
	s_mov_b32 s10, 0x7f800001
	s_xor_b64 s[4:5], exec, -1
; %bb.6263:
	s_or_b64 exec, exec, s[8:9]
	s_and_b64 s[4:5], s[4:5], exec
                                        ; implicit-def: $vgpr13
	s_or_saveexec_b64 s[6:7], s[6:7]
	v_mov_b32_e32 v14, s10
	s_xor_b64 exec, exec, s[6:7]
	s_cbranch_execnz .LBB1_6264
; %bb.14447:
	s_getpc_b64 s[14:15]
.Lpost_getpc3127:
	s_add_u32 s14, s14, (.LBB1_2166-.Lpost_getpc3127)&4294967295
	s_addc_u32 s15, s15, (.LBB1_2166-.Lpost_getpc3127)>>32
	s_setpc_b64 s[14:15]
.LBB1_6264:
	v_cmp_ne_u16_e32 vcc, 0, v13
	s_andn2_b64 s[4:5], s[4:5], exec
	s_and_b64 s[8:9], vcc, exec
	v_mov_b32_e32 v14, 0
	s_or_b64 s[4:5], s[4:5], s[8:9]
	s_or_b64 exec, exec, s[6:7]
	s_and_saveexec_b64 s[6:7], s[4:5]
	s_cbranch_execz .LBB1_9275
; %bb.14449:
	s_getpc_b64 s[14:15]
.Lpost_getpc3128:
	s_add_u32 s14, s14, (.LBB1_2167-.Lpost_getpc3128)&4294967295
	s_addc_u32 s15, s15, (.LBB1_2167-.Lpost_getpc3128)>>32
	s_setpc_b64 s[14:15]
.LBB1_9275:
	s_getpc_b64 s[14:15]
.Lpost_getpc541:
	s_add_u32 s14, s14, (.LBB1_2168-.Lpost_getpc541)&4294967295
	s_addc_u32 s15, s15, (.LBB1_2168-.Lpost_getpc541)>>32
	s_setpc_b64 s[14:15]
.LBB1_6265:
	s_movk_i32 s4, 0x80
	v_cmp_eq_u16_sdwa s[12:13], v19, s4 src0_sel:BYTE_3 src1_sel:DWORD
	s_mov_b64 s[4:5], -1
                                        ; implicit-def: $sgpr10
	s_and_saveexec_b64 s[8:9], s[12:13]
; %bb.6266:
	s_mov_b32 s10, 0x7f800001
	s_xor_b64 s[4:5], exec, -1
; %bb.6267:
	s_or_b64 exec, exec, s[8:9]
	s_and_b64 s[4:5], s[4:5], exec
	s_or_saveexec_b64 s[6:7], s[6:7]
	v_mov_b32_e32 v12, s10
	s_xor_b64 exec, exec, s[6:7]
	s_cbranch_execnz .LBB1_6268
; %bb.14451:
	s_getpc_b64 s[14:15]
.Lpost_getpc3129:
	s_add_u32 s14, s14, (.LBB1_2170-.Lpost_getpc3129)&4294967295
	s_addc_u32 s15, s15, (.LBB1_2170-.Lpost_getpc3129)>>32
	s_setpc_b64 s[14:15]
.LBB1_6268:
	v_mov_b32_e32 v12, 0
	v_cmp_ne_u16_sdwa s[8:9], v19, v12 src0_sel:BYTE_3 src1_sel:DWORD
	s_andn2_b64 s[4:5], s[4:5], exec
	s_and_b64 s[8:9], s[8:9], exec
	s_or_b64 s[4:5], s[4:5], s[8:9]
	s_or_b64 exec, exec, s[6:7]
	s_and_saveexec_b64 s[6:7], s[4:5]
	s_cbranch_execz .LBB1_9277
; %bb.14453:
	s_getpc_b64 s[14:15]
.Lpost_getpc3130:
	s_add_u32 s14, s14, (.LBB1_2171-.Lpost_getpc3130)&4294967295
	s_addc_u32 s15, s15, (.LBB1_2171-.Lpost_getpc3130)>>32
	s_setpc_b64 s[14:15]
.LBB1_9277:
	s_getpc_b64 s[14:15]
.Lpost_getpc542:
	s_add_u32 s14, s14, (.LBB1_2172-.Lpost_getpc542)&4294967295
	s_addc_u32 s15, s15, (.LBB1_2172-.Lpost_getpc542)>>32
	s_setpc_b64 s[14:15]
.LBB1_6269:
	s_movk_i32 s4, 0x80
	v_cmp_eq_u16_sdwa s[12:13], v15, s4 src0_sel:BYTE_3 src1_sel:DWORD
	s_mov_b64 s[4:5], -1
                                        ; implicit-def: $sgpr10
	s_and_saveexec_b64 s[8:9], s[12:13]
; %bb.6270:
	s_mov_b32 s10, 0x7f800001
	s_xor_b64 s[4:5], exec, -1
; %bb.6271:
	s_or_b64 exec, exec, s[8:9]
	s_and_b64 s[4:5], s[4:5], exec
	s_or_saveexec_b64 s[6:7], s[6:7]
	v_mov_b32_e32 v13, s10
	s_xor_b64 exec, exec, s[6:7]
	s_cbranch_execnz .LBB1_6272
; %bb.14455:
	s_getpc_b64 s[14:15]
.Lpost_getpc3131:
	s_add_u32 s14, s14, (.LBB1_2174-.Lpost_getpc3131)&4294967295
	s_addc_u32 s15, s15, (.LBB1_2174-.Lpost_getpc3131)>>32
	s_setpc_b64 s[14:15]
.LBB1_6272:
	v_mov_b32_e32 v13, 0
	v_cmp_ne_u16_sdwa s[8:9], v15, v13 src0_sel:BYTE_3 src1_sel:DWORD
	s_andn2_b64 s[4:5], s[4:5], exec
	s_and_b64 s[8:9], s[8:9], exec
	s_or_b64 s[4:5], s[4:5], s[8:9]
	s_or_b64 exec, exec, s[6:7]
	s_and_saveexec_b64 s[6:7], s[4:5]
	s_cbranch_execz .LBB1_9279
; %bb.14457:
	s_getpc_b64 s[14:15]
.Lpost_getpc3132:
	s_add_u32 s14, s14, (.LBB1_2175-.Lpost_getpc3132)&4294967295
	s_addc_u32 s15, s15, (.LBB1_2175-.Lpost_getpc3132)>>32
	s_setpc_b64 s[14:15]
.LBB1_9279:
	s_getpc_b64 s[14:15]
.Lpost_getpc543:
	s_add_u32 s14, s14, (.LBB1_2176-.Lpost_getpc543)&4294967295
	s_addc_u32 s15, s15, (.LBB1_2176-.Lpost_getpc543)>>32
	s_setpc_b64 s[14:15]
.LBB1_6273:
	s_movk_i32 s4, 0x80
	v_cmp_eq_u16_sdwa s[12:13], v16, s4 src0_sel:BYTE_0 src1_sel:DWORD
	s_mov_b64 s[4:5], -1
                                        ; implicit-def: $sgpr10
	s_and_saveexec_b64 s[8:9], s[12:13]
; %bb.6274:
	s_mov_b32 s10, 0x7f800001
	s_xor_b64 s[4:5], exec, -1
; %bb.6275:
	s_or_b64 exec, exec, s[8:9]
	s_and_b64 s[4:5], s[4:5], exec
	s_or_saveexec_b64 s[6:7], s[6:7]
	v_mov_b32_e32 v21, s10
	s_xor_b64 exec, exec, s[6:7]
	s_cbranch_execnz .LBB1_6276
; %bb.14459:
	s_getpc_b64 s[14:15]
.Lpost_getpc3133:
	s_add_u32 s14, s14, (.LBB1_2178-.Lpost_getpc3133)&4294967295
	s_addc_u32 s15, s15, (.LBB1_2178-.Lpost_getpc3133)>>32
	s_setpc_b64 s[14:15]
.LBB1_6276:
	v_mov_b32_e32 v21, 0
	v_cmp_ne_u16_sdwa s[8:9], v16, v21 src0_sel:BYTE_0 src1_sel:DWORD
	s_andn2_b64 s[4:5], s[4:5], exec
	s_and_b64 s[8:9], s[8:9], exec
	s_or_b64 s[4:5], s[4:5], s[8:9]
	s_or_b64 exec, exec, s[6:7]
	s_and_saveexec_b64 s[6:7], s[4:5]
	s_cbranch_execz .LBB1_9281
; %bb.14461:
	s_getpc_b64 s[14:15]
.Lpost_getpc3134:
	s_add_u32 s14, s14, (.LBB1_2179-.Lpost_getpc3134)&4294967295
	s_addc_u32 s15, s15, (.LBB1_2179-.Lpost_getpc3134)>>32
	s_setpc_b64 s[14:15]
.LBB1_9281:
	s_getpc_b64 s[14:15]
.Lpost_getpc544:
	s_add_u32 s14, s14, (.LBB1_2180-.Lpost_getpc544)&4294967295
	s_addc_u32 s15, s15, (.LBB1_2180-.Lpost_getpc544)>>32
	s_setpc_b64 s[14:15]
.LBB1_6277:
	s_movk_i32 s4, 0x80
	v_cmp_eq_u16_sdwa s[12:13], v12, s4 src0_sel:BYTE_0 src1_sel:DWORD
	s_mov_b64 s[4:5], -1
                                        ; implicit-def: $sgpr10
	s_and_saveexec_b64 s[8:9], s[12:13]
; %bb.6278:
	s_mov_b32 s10, 0x7f800001
	s_xor_b64 s[4:5], exec, -1
; %bb.6279:
	s_or_b64 exec, exec, s[8:9]
	s_and_b64 s[4:5], s[4:5], exec
	s_or_saveexec_b64 s[6:7], s[6:7]
	v_mov_b32_e32 v22, s10
	s_xor_b64 exec, exec, s[6:7]
	s_cbranch_execnz .LBB1_6280
; %bb.14463:
	s_getpc_b64 s[14:15]
.Lpost_getpc3135:
	s_add_u32 s14, s14, (.LBB1_2182-.Lpost_getpc3135)&4294967295
	s_addc_u32 s15, s15, (.LBB1_2182-.Lpost_getpc3135)>>32
	s_setpc_b64 s[14:15]
.LBB1_6280:
	v_mov_b32_e32 v22, 0
	v_cmp_ne_u16_sdwa s[8:9], v12, v22 src0_sel:BYTE_0 src1_sel:DWORD
	s_andn2_b64 s[4:5], s[4:5], exec
	s_and_b64 s[8:9], s[8:9], exec
	s_or_b64 s[4:5], s[4:5], s[8:9]
	s_or_b64 exec, exec, s[6:7]
	s_and_saveexec_b64 s[6:7], s[4:5]
	s_cbranch_execz .LBB1_9283
; %bb.14465:
	s_getpc_b64 s[14:15]
.Lpost_getpc3136:
	s_add_u32 s14, s14, (.LBB1_2183-.Lpost_getpc3136)&4294967295
	s_addc_u32 s15, s15, (.LBB1_2183-.Lpost_getpc3136)>>32
	s_setpc_b64 s[14:15]
.LBB1_9283:
	s_getpc_b64 s[14:15]
.Lpost_getpc545:
	s_add_u32 s14, s14, (.LBB1_2184-.Lpost_getpc545)&4294967295
	s_addc_u32 s15, s15, (.LBB1_2184-.Lpost_getpc545)>>32
	s_setpc_b64 s[14:15]
.LBB1_6281:
	s_movk_i32 s4, 0x80
	v_cmp_eq_u16_sdwa s[12:13], v22, s4 src0_sel:BYTE_0 src1_sel:DWORD
	s_mov_b64 s[4:5], -1
                                        ; implicit-def: $sgpr10
	s_and_saveexec_b64 s[8:9], s[12:13]
; %bb.6282:
	s_mov_b32 s10, 0x7f800001
	s_xor_b64 s[4:5], exec, -1
; %bb.6283:
	s_or_b64 exec, exec, s[8:9]
	s_and_b64 s[4:5], s[4:5], exec
	s_or_saveexec_b64 s[6:7], s[6:7]
	v_mov_b32_e32 v21, s10
	s_xor_b64 exec, exec, s[6:7]
	s_cbranch_execnz .LBB1_6284
; %bb.14467:
	s_getpc_b64 s[14:15]
.Lpost_getpc3137:
	s_add_u32 s14, s14, (.LBB1_2186-.Lpost_getpc3137)&4294967295
	s_addc_u32 s15, s15, (.LBB1_2186-.Lpost_getpc3137)>>32
	s_setpc_b64 s[14:15]
.LBB1_6284:
	v_mov_b32_e32 v21, 0
	v_cmp_ne_u16_sdwa s[8:9], v22, v21 src0_sel:BYTE_0 src1_sel:DWORD
	s_andn2_b64 s[4:5], s[4:5], exec
	s_and_b64 s[8:9], s[8:9], exec
	s_or_b64 s[4:5], s[4:5], s[8:9]
	s_or_b64 exec, exec, s[6:7]
	s_and_saveexec_b64 s[6:7], s[4:5]
	s_cbranch_execz .LBB1_9285
; %bb.14469:
	s_getpc_b64 s[14:15]
.Lpost_getpc3138:
	s_add_u32 s14, s14, (.LBB1_2187-.Lpost_getpc3138)&4294967295
	s_addc_u32 s15, s15, (.LBB1_2187-.Lpost_getpc3138)>>32
	s_setpc_b64 s[14:15]
.LBB1_9285:
	s_getpc_b64 s[14:15]
.Lpost_getpc546:
	s_add_u32 s14, s14, (.LBB1_2188-.Lpost_getpc546)&4294967295
	s_addc_u32 s15, s15, (.LBB1_2188-.Lpost_getpc546)>>32
	s_setpc_b64 s[14:15]
.LBB1_6285:
	s_movk_i32 s4, 0x80
	v_cmp_eq_u16_sdwa s[12:13], v22, s4 src0_sel:BYTE_0 src1_sel:DWORD
	s_mov_b64 s[4:5], -1
                                        ; implicit-def: $sgpr10
	s_and_saveexec_b64 s[8:9], s[12:13]
; %bb.6286:
	s_mov_b32 s10, 0x7f800001
	s_xor_b64 s[4:5], exec, -1
; %bb.6287:
	s_or_b64 exec, exec, s[8:9]
	s_and_b64 s[4:5], s[4:5], exec
	s_or_saveexec_b64 s[6:7], s[6:7]
	v_mov_b32_e32 v23, s10
	s_xor_b64 exec, exec, s[6:7]
	s_cbranch_execnz .LBB1_6288
; %bb.14471:
	s_getpc_b64 s[14:15]
.Lpost_getpc3139:
	s_add_u32 s14, s14, (.LBB1_2190-.Lpost_getpc3139)&4294967295
	s_addc_u32 s15, s15, (.LBB1_2190-.Lpost_getpc3139)>>32
	s_setpc_b64 s[14:15]
.LBB1_6288:
	v_mov_b32_e32 v23, 0
	v_cmp_ne_u16_sdwa s[8:9], v22, v23 src0_sel:BYTE_0 src1_sel:DWORD
	s_andn2_b64 s[4:5], s[4:5], exec
	s_and_b64 s[8:9], s[8:9], exec
	s_or_b64 s[4:5], s[4:5], s[8:9]
	s_or_b64 exec, exec, s[6:7]
	s_and_saveexec_b64 s[6:7], s[4:5]
	s_cbranch_execz .LBB1_9287
; %bb.14473:
	s_getpc_b64 s[14:15]
.Lpost_getpc3140:
	s_add_u32 s14, s14, (.LBB1_2191-.Lpost_getpc3140)&4294967295
	s_addc_u32 s15, s15, (.LBB1_2191-.Lpost_getpc3140)>>32
	s_setpc_b64 s[14:15]
.LBB1_9287:
	s_getpc_b64 s[14:15]
.Lpost_getpc547:
	s_add_u32 s14, s14, (.LBB1_2192-.Lpost_getpc547)&4294967295
	s_addc_u32 s15, s15, (.LBB1_2192-.Lpost_getpc547)>>32
	s_setpc_b64 s[14:15]
.LBB1_6289:
	s_movk_i32 s4, 0x80
	v_cmp_eq_u16_e32 vcc, s4, v22
	s_mov_b64 s[4:5], -1
                                        ; implicit-def: $sgpr10
	s_and_saveexec_b64 s[8:9], vcc
; %bb.6290:
	s_mov_b32 s10, 0x7f800001
	s_xor_b64 s[4:5], exec, -1
; %bb.6291:
	s_or_b64 exec, exec, s[8:9]
	s_and_b64 s[4:5], s[4:5], exec
                                        ; implicit-def: $vgpr22
	s_or_saveexec_b64 s[6:7], s[6:7]
	v_mov_b32_e32 v21, s10
	s_xor_b64 exec, exec, s[6:7]
	s_cbranch_execnz .LBB1_6292
; %bb.14475:
	s_getpc_b64 s[14:15]
.Lpost_getpc3141:
	s_add_u32 s14, s14, (.LBB1_2194-.Lpost_getpc3141)&4294967295
	s_addc_u32 s15, s15, (.LBB1_2194-.Lpost_getpc3141)>>32
	s_setpc_b64 s[14:15]
.LBB1_6292:
	v_cmp_ne_u16_e32 vcc, 0, v22
	s_andn2_b64 s[4:5], s[4:5], exec
	s_and_b64 s[8:9], vcc, exec
	v_mov_b32_e32 v21, 0
	s_or_b64 s[4:5], s[4:5], s[8:9]
	s_or_b64 exec, exec, s[6:7]
	s_and_saveexec_b64 s[6:7], s[4:5]
	s_cbranch_execz .LBB1_9289
; %bb.14477:
	s_getpc_b64 s[14:15]
.Lpost_getpc3142:
	s_add_u32 s14, s14, (.LBB1_2195-.Lpost_getpc3142)&4294967295
	s_addc_u32 s15, s15, (.LBB1_2195-.Lpost_getpc3142)>>32
	s_setpc_b64 s[14:15]
.LBB1_9289:
	s_getpc_b64 s[14:15]
.Lpost_getpc548:
	s_add_u32 s14, s14, (.LBB1_2196-.Lpost_getpc548)&4294967295
	s_addc_u32 s15, s15, (.LBB1_2196-.Lpost_getpc548)>>32
	s_setpc_b64 s[14:15]
.LBB1_6293:
	s_movk_i32 s4, 0x80
	v_cmp_eq_u16_e32 vcc, s4, v22
	s_mov_b64 s[4:5], -1
                                        ; implicit-def: $sgpr10
	s_and_saveexec_b64 s[8:9], vcc
; %bb.6294:
	s_mov_b32 s10, 0x7f800001
	s_xor_b64 s[4:5], exec, -1
; %bb.6295:
	s_or_b64 exec, exec, s[8:9]
	s_and_b64 s[4:5], s[4:5], exec
                                        ; implicit-def: $vgpr22
	s_or_saveexec_b64 s[6:7], s[6:7]
	v_mov_b32_e32 v23, s10
	s_xor_b64 exec, exec, s[6:7]
	s_cbranch_execnz .LBB1_6296
; %bb.14479:
	s_getpc_b64 s[14:15]
.Lpost_getpc3143:
	s_add_u32 s14, s14, (.LBB1_2198-.Lpost_getpc3143)&4294967295
	s_addc_u32 s15, s15, (.LBB1_2198-.Lpost_getpc3143)>>32
	s_setpc_b64 s[14:15]
.LBB1_6296:
	v_cmp_ne_u16_e32 vcc, 0, v22
	s_andn2_b64 s[4:5], s[4:5], exec
	s_and_b64 s[8:9], vcc, exec
	v_mov_b32_e32 v23, 0
	s_or_b64 s[4:5], s[4:5], s[8:9]
	s_or_b64 exec, exec, s[6:7]
	s_and_saveexec_b64 s[6:7], s[4:5]
	s_cbranch_execz .LBB1_9291
; %bb.14481:
	s_getpc_b64 s[14:15]
.Lpost_getpc3144:
	s_add_u32 s14, s14, (.LBB1_2199-.Lpost_getpc3144)&4294967295
	s_addc_u32 s15, s15, (.LBB1_2199-.Lpost_getpc3144)>>32
	s_setpc_b64 s[14:15]
.LBB1_9291:
	s_getpc_b64 s[14:15]
.Lpost_getpc549:
	s_add_u32 s14, s14, (.LBB1_2200-.Lpost_getpc549)&4294967295
	s_addc_u32 s15, s15, (.LBB1_2200-.Lpost_getpc549)>>32
	s_setpc_b64 s[14:15]
.LBB1_6297:
	s_movk_i32 s4, 0x80
	v_cmp_eq_u16_sdwa s[12:13], v16, s4 src0_sel:BYTE_3 src1_sel:DWORD
	s_mov_b64 s[4:5], -1
                                        ; implicit-def: $sgpr10
	s_and_saveexec_b64 s[8:9], s[12:13]
; %bb.6298:
	s_mov_b32 s10, 0x7f800001
	s_xor_b64 s[4:5], exec, -1
; %bb.6299:
	s_or_b64 exec, exec, s[8:9]
	s_and_b64 s[4:5], s[4:5], exec
	s_or_saveexec_b64 s[6:7], s[6:7]
	v_mov_b32_e32 v21, s10
	s_xor_b64 exec, exec, s[6:7]
	s_cbranch_execnz .LBB1_6300
; %bb.14483:
	s_getpc_b64 s[14:15]
.Lpost_getpc3145:
	s_add_u32 s14, s14, (.LBB1_2202-.Lpost_getpc3145)&4294967295
	s_addc_u32 s15, s15, (.LBB1_2202-.Lpost_getpc3145)>>32
	s_setpc_b64 s[14:15]
.LBB1_6300:
	v_mov_b32_e32 v21, 0
	v_cmp_ne_u16_sdwa s[8:9], v16, v21 src0_sel:BYTE_3 src1_sel:DWORD
	s_andn2_b64 s[4:5], s[4:5], exec
	s_and_b64 s[8:9], s[8:9], exec
	s_or_b64 s[4:5], s[4:5], s[8:9]
	s_or_b64 exec, exec, s[6:7]
	s_and_saveexec_b64 s[6:7], s[4:5]
	s_cbranch_execz .LBB1_9293
; %bb.14485:
	s_getpc_b64 s[14:15]
.Lpost_getpc3146:
	s_add_u32 s14, s14, (.LBB1_2203-.Lpost_getpc3146)&4294967295
	s_addc_u32 s15, s15, (.LBB1_2203-.Lpost_getpc3146)>>32
	s_setpc_b64 s[14:15]
.LBB1_9293:
	s_getpc_b64 s[14:15]
.Lpost_getpc550:
	s_add_u32 s14, s14, (.LBB1_2204-.Lpost_getpc550)&4294967295
	s_addc_u32 s15, s15, (.LBB1_2204-.Lpost_getpc550)>>32
	s_setpc_b64 s[14:15]
.LBB1_6301:
	s_movk_i32 s4, 0x80
	v_cmp_eq_u16_sdwa s[12:13], v12, s4 src0_sel:BYTE_3 src1_sel:DWORD
	s_mov_b64 s[4:5], -1
                                        ; implicit-def: $sgpr10
	s_and_saveexec_b64 s[8:9], s[12:13]
; %bb.6302:
	s_mov_b32 s10, 0x7f800001
	s_xor_b64 s[4:5], exec, -1
; %bb.6303:
	s_or_b64 exec, exec, s[8:9]
	s_and_b64 s[4:5], s[4:5], exec
	s_or_saveexec_b64 s[6:7], s[6:7]
	v_mov_b32_e32 v16, s10
	s_xor_b64 exec, exec, s[6:7]
	s_cbranch_execnz .LBB1_6304
; %bb.14487:
	s_getpc_b64 s[14:15]
.Lpost_getpc3147:
	s_add_u32 s14, s14, (.LBB1_2206-.Lpost_getpc3147)&4294967295
	s_addc_u32 s15, s15, (.LBB1_2206-.Lpost_getpc3147)>>32
	s_setpc_b64 s[14:15]
.LBB1_6304:
	v_mov_b32_e32 v16, 0
	v_cmp_ne_u16_sdwa s[8:9], v12, v16 src0_sel:BYTE_3 src1_sel:DWORD
	s_andn2_b64 s[4:5], s[4:5], exec
	s_and_b64 s[8:9], s[8:9], exec
	s_or_b64 s[4:5], s[4:5], s[8:9]
	s_or_b64 exec, exec, s[6:7]
	s_and_saveexec_b64 s[6:7], s[4:5]
	s_cbranch_execz .LBB1_9295
; %bb.14489:
	s_getpc_b64 s[14:15]
.Lpost_getpc3148:
	s_add_u32 s14, s14, (.LBB1_2207-.Lpost_getpc3148)&4294967295
	s_addc_u32 s15, s15, (.LBB1_2207-.Lpost_getpc3148)>>32
	s_setpc_b64 s[14:15]
.LBB1_9295:
	s_getpc_b64 s[14:15]
.Lpost_getpc551:
	s_add_u32 s14, s14, (.LBB1_2208-.Lpost_getpc551)&4294967295
	s_addc_u32 s15, s15, (.LBB1_2208-.Lpost_getpc551)>>32
	s_setpc_b64 s[14:15]
.LBB1_6305:
	s_movk_i32 s4, 0x80
	v_cmp_eq_u16_sdwa s[12:13], v17, s4 src0_sel:BYTE_0 src1_sel:DWORD
	s_mov_b64 s[4:5], -1
                                        ; implicit-def: $sgpr10
	s_and_saveexec_b64 s[8:9], s[12:13]
; %bb.6306:
	s_mov_b32 s10, 0x7f800001
	s_xor_b64 s[4:5], exec, -1
; %bb.6307:
	s_or_b64 exec, exec, s[8:9]
	s_and_b64 s[4:5], s[4:5], exec
	s_or_saveexec_b64 s[6:7], s[6:7]
	v_mov_b32_e32 v12, s10
	s_xor_b64 exec, exec, s[6:7]
	s_cbranch_execnz .LBB1_6308
; %bb.14491:
	s_getpc_b64 s[14:15]
.Lpost_getpc3149:
	s_add_u32 s14, s14, (.LBB1_2210-.Lpost_getpc3149)&4294967295
	s_addc_u32 s15, s15, (.LBB1_2210-.Lpost_getpc3149)>>32
	s_setpc_b64 s[14:15]
.LBB1_6308:
	v_mov_b32_e32 v12, 0
	v_cmp_ne_u16_sdwa s[8:9], v17, v12 src0_sel:BYTE_0 src1_sel:DWORD
	s_andn2_b64 s[4:5], s[4:5], exec
	s_and_b64 s[8:9], s[8:9], exec
	s_or_b64 s[4:5], s[4:5], s[8:9]
	s_or_b64 exec, exec, s[6:7]
	s_and_saveexec_b64 s[6:7], s[4:5]
	s_cbranch_execz .LBB1_9297
; %bb.14493:
	s_getpc_b64 s[14:15]
.Lpost_getpc3150:
	s_add_u32 s14, s14, (.LBB1_2211-.Lpost_getpc3150)&4294967295
	s_addc_u32 s15, s15, (.LBB1_2211-.Lpost_getpc3150)>>32
	s_setpc_b64 s[14:15]
.LBB1_9297:
	s_getpc_b64 s[14:15]
.Lpost_getpc552:
	s_add_u32 s14, s14, (.LBB1_2212-.Lpost_getpc552)&4294967295
	s_addc_u32 s15, s15, (.LBB1_2212-.Lpost_getpc552)>>32
	s_setpc_b64 s[14:15]
.LBB1_6309:
	s_movk_i32 s4, 0x80
	v_cmp_eq_u16_sdwa s[12:13], v13, s4 src0_sel:BYTE_0 src1_sel:DWORD
	s_mov_b64 s[4:5], -1
                                        ; implicit-def: $sgpr10
	s_and_saveexec_b64 s[8:9], s[12:13]
; %bb.6310:
	s_mov_b32 s10, 0x7f800001
	s_xor_b64 s[4:5], exec, -1
; %bb.6311:
	s_or_b64 exec, exec, s[8:9]
	s_and_b64 s[4:5], s[4:5], exec
	s_or_saveexec_b64 s[6:7], s[6:7]
	v_mov_b32_e32 v16, s10
	s_xor_b64 exec, exec, s[6:7]
	s_cbranch_execnz .LBB1_6312
; %bb.14495:
	s_getpc_b64 s[14:15]
.Lpost_getpc3151:
	s_add_u32 s14, s14, (.LBB1_2214-.Lpost_getpc3151)&4294967295
	s_addc_u32 s15, s15, (.LBB1_2214-.Lpost_getpc3151)>>32
	s_setpc_b64 s[14:15]
.LBB1_6312:
	v_mov_b32_e32 v16, 0
	v_cmp_ne_u16_sdwa s[8:9], v13, v16 src0_sel:BYTE_0 src1_sel:DWORD
	s_andn2_b64 s[4:5], s[4:5], exec
	s_and_b64 s[8:9], s[8:9], exec
	s_or_b64 s[4:5], s[4:5], s[8:9]
	s_or_b64 exec, exec, s[6:7]
	s_and_saveexec_b64 s[6:7], s[4:5]
	s_cbranch_execz .LBB1_9299
; %bb.14497:
	s_getpc_b64 s[14:15]
.Lpost_getpc3152:
	s_add_u32 s14, s14, (.LBB1_2215-.Lpost_getpc3152)&4294967295
	s_addc_u32 s15, s15, (.LBB1_2215-.Lpost_getpc3152)>>32
	s_setpc_b64 s[14:15]
.LBB1_9299:
	s_getpc_b64 s[14:15]
.Lpost_getpc553:
	s_add_u32 s14, s14, (.LBB1_2216-.Lpost_getpc553)&4294967295
	s_addc_u32 s15, s15, (.LBB1_2216-.Lpost_getpc553)>>32
	s_setpc_b64 s[14:15]
.LBB1_6313:
	s_movk_i32 s4, 0x80
	v_cmp_eq_u16_sdwa s[12:13], v16, s4 src0_sel:BYTE_0 src1_sel:DWORD
	s_mov_b64 s[4:5], -1
                                        ; implicit-def: $sgpr10
	s_and_saveexec_b64 s[8:9], s[12:13]
; %bb.6314:
	s_mov_b32 s10, 0x7f800001
	s_xor_b64 s[4:5], exec, -1
; %bb.6315:
	s_or_b64 exec, exec, s[8:9]
	s_and_b64 s[4:5], s[4:5], exec
	s_or_saveexec_b64 s[6:7], s[6:7]
	v_mov_b32_e32 v12, s10
	s_xor_b64 exec, exec, s[6:7]
	s_cbranch_execnz .LBB1_6316
; %bb.14499:
	s_getpc_b64 s[14:15]
.Lpost_getpc3153:
	s_add_u32 s14, s14, (.LBB1_2218-.Lpost_getpc3153)&4294967295
	s_addc_u32 s15, s15, (.LBB1_2218-.Lpost_getpc3153)>>32
	s_setpc_b64 s[14:15]
.LBB1_6316:
	v_mov_b32_e32 v12, 0
	v_cmp_ne_u16_sdwa s[8:9], v16, v12 src0_sel:BYTE_0 src1_sel:DWORD
	s_andn2_b64 s[4:5], s[4:5], exec
	s_and_b64 s[8:9], s[8:9], exec
	s_or_b64 s[4:5], s[4:5], s[8:9]
	s_or_b64 exec, exec, s[6:7]
	s_and_saveexec_b64 s[6:7], s[4:5]
	s_cbranch_execz .LBB1_9301
; %bb.14501:
	s_getpc_b64 s[14:15]
.Lpost_getpc3154:
	s_add_u32 s14, s14, (.LBB1_2219-.Lpost_getpc3154)&4294967295
	s_addc_u32 s15, s15, (.LBB1_2219-.Lpost_getpc3154)>>32
	s_setpc_b64 s[14:15]
.LBB1_9301:
	s_getpc_b64 s[14:15]
.Lpost_getpc554:
	s_add_u32 s14, s14, (.LBB1_2220-.Lpost_getpc554)&4294967295
	s_addc_u32 s15, s15, (.LBB1_2220-.Lpost_getpc554)>>32
	s_setpc_b64 s[14:15]
.LBB1_6317:
	s_movk_i32 s4, 0x80
	v_cmp_eq_u16_sdwa s[12:13], v16, s4 src0_sel:BYTE_0 src1_sel:DWORD
	s_mov_b64 s[4:5], -1
                                        ; implicit-def: $sgpr10
	s_and_saveexec_b64 s[8:9], s[12:13]
; %bb.6318:
	s_mov_b32 s10, 0x7f800001
	s_xor_b64 s[4:5], exec, -1
; %bb.6319:
	s_or_b64 exec, exec, s[8:9]
	s_and_b64 s[4:5], s[4:5], exec
	s_or_saveexec_b64 s[6:7], s[6:7]
	v_mov_b32_e32 v21, s10
	s_xor_b64 exec, exec, s[6:7]
	s_cbranch_execnz .LBB1_6320
; %bb.14503:
	s_getpc_b64 s[14:15]
.Lpost_getpc3155:
	s_add_u32 s14, s14, (.LBB1_2222-.Lpost_getpc3155)&4294967295
	s_addc_u32 s15, s15, (.LBB1_2222-.Lpost_getpc3155)>>32
	s_setpc_b64 s[14:15]
.LBB1_6320:
	v_mov_b32_e32 v21, 0
	v_cmp_ne_u16_sdwa s[8:9], v16, v21 src0_sel:BYTE_0 src1_sel:DWORD
	s_andn2_b64 s[4:5], s[4:5], exec
	s_and_b64 s[8:9], s[8:9], exec
	s_or_b64 s[4:5], s[4:5], s[8:9]
	s_or_b64 exec, exec, s[6:7]
	s_and_saveexec_b64 s[6:7], s[4:5]
	s_cbranch_execz .LBB1_9303
; %bb.14505:
	s_getpc_b64 s[14:15]
.Lpost_getpc3156:
	s_add_u32 s14, s14, (.LBB1_2223-.Lpost_getpc3156)&4294967295
	s_addc_u32 s15, s15, (.LBB1_2223-.Lpost_getpc3156)>>32
	s_setpc_b64 s[14:15]
.LBB1_9303:
	s_getpc_b64 s[14:15]
.Lpost_getpc555:
	s_add_u32 s14, s14, (.LBB1_2224-.Lpost_getpc555)&4294967295
	s_addc_u32 s15, s15, (.LBB1_2224-.Lpost_getpc555)>>32
	s_setpc_b64 s[14:15]
.LBB1_6321:
	s_movk_i32 s4, 0x80
	v_cmp_eq_u16_e32 vcc, s4, v16
	s_mov_b64 s[4:5], -1
                                        ; implicit-def: $sgpr10
	s_and_saveexec_b64 s[8:9], vcc
; %bb.6322:
	s_mov_b32 s10, 0x7f800001
	s_xor_b64 s[4:5], exec, -1
; %bb.6323:
	s_or_b64 exec, exec, s[8:9]
	s_and_b64 s[4:5], s[4:5], exec
                                        ; implicit-def: $vgpr16
	s_or_saveexec_b64 s[6:7], s[6:7]
	v_mov_b32_e32 v12, s10
	s_xor_b64 exec, exec, s[6:7]
	s_cbranch_execnz .LBB1_6324
; %bb.14507:
	s_getpc_b64 s[14:15]
.Lpost_getpc3157:
	s_add_u32 s14, s14, (.LBB1_2226-.Lpost_getpc3157)&4294967295
	s_addc_u32 s15, s15, (.LBB1_2226-.Lpost_getpc3157)>>32
	s_setpc_b64 s[14:15]
.LBB1_6324:
	v_cmp_ne_u16_e32 vcc, 0, v16
	s_andn2_b64 s[4:5], s[4:5], exec
	s_and_b64 s[8:9], vcc, exec
	v_mov_b32_e32 v12, 0
	s_or_b64 s[4:5], s[4:5], s[8:9]
	s_or_b64 exec, exec, s[6:7]
	s_and_saveexec_b64 s[6:7], s[4:5]
	s_cbranch_execz .LBB1_9305
; %bb.14509:
	s_getpc_b64 s[14:15]
.Lpost_getpc3158:
	s_add_u32 s14, s14, (.LBB1_2227-.Lpost_getpc3158)&4294967295
	s_addc_u32 s15, s15, (.LBB1_2227-.Lpost_getpc3158)>>32
	s_setpc_b64 s[14:15]
.LBB1_9305:
	s_getpc_b64 s[14:15]
.Lpost_getpc556:
	s_add_u32 s14, s14, (.LBB1_2228-.Lpost_getpc556)&4294967295
	s_addc_u32 s15, s15, (.LBB1_2228-.Lpost_getpc556)>>32
	s_setpc_b64 s[14:15]
.LBB1_6325:
	s_movk_i32 s4, 0x80
	v_cmp_eq_u16_e32 vcc, s4, v16
	s_mov_b64 s[4:5], -1
                                        ; implicit-def: $sgpr10
	s_and_saveexec_b64 s[8:9], vcc
; %bb.6326:
	s_mov_b32 s10, 0x7f800001
	s_xor_b64 s[4:5], exec, -1
; %bb.6327:
	s_or_b64 exec, exec, s[8:9]
	s_and_b64 s[4:5], s[4:5], exec
                                        ; implicit-def: $vgpr16
	s_or_saveexec_b64 s[6:7], s[6:7]
	v_mov_b32_e32 v21, s10
	s_xor_b64 exec, exec, s[6:7]
	s_cbranch_execnz .LBB1_6328
; %bb.14511:
	s_getpc_b64 s[14:15]
.Lpost_getpc3159:
	s_add_u32 s14, s14, (.LBB1_2230-.Lpost_getpc3159)&4294967295
	s_addc_u32 s15, s15, (.LBB1_2230-.Lpost_getpc3159)>>32
	s_setpc_b64 s[14:15]
.LBB1_6328:
	v_cmp_ne_u16_e32 vcc, 0, v16
	s_andn2_b64 s[4:5], s[4:5], exec
	s_and_b64 s[8:9], vcc, exec
	v_mov_b32_e32 v21, 0
	s_or_b64 s[4:5], s[4:5], s[8:9]
	s_or_b64 exec, exec, s[6:7]
	s_and_saveexec_b64 s[6:7], s[4:5]
	s_cbranch_execz .LBB1_9307
; %bb.14513:
	s_getpc_b64 s[14:15]
.Lpost_getpc3160:
	s_add_u32 s14, s14, (.LBB1_2231-.Lpost_getpc3160)&4294967295
	s_addc_u32 s15, s15, (.LBB1_2231-.Lpost_getpc3160)>>32
	s_setpc_b64 s[14:15]
.LBB1_9307:
	s_getpc_b64 s[14:15]
.Lpost_getpc557:
	s_add_u32 s14, s14, (.LBB1_2232-.Lpost_getpc557)&4294967295
	s_addc_u32 s15, s15, (.LBB1_2232-.Lpost_getpc557)>>32
	s_setpc_b64 s[14:15]
.LBB1_6329:
	s_movk_i32 s4, 0x80
	v_cmp_eq_u16_sdwa s[12:13], v17, s4 src0_sel:BYTE_3 src1_sel:DWORD
	s_mov_b64 s[4:5], -1
                                        ; implicit-def: $sgpr10
	s_and_saveexec_b64 s[8:9], s[12:13]
; %bb.6330:
	s_mov_b32 s10, 0x7f800001
	s_xor_b64 s[4:5], exec, -1
; %bb.6331:
	s_or_b64 exec, exec, s[8:9]
	s_and_b64 s[4:5], s[4:5], exec
	s_or_saveexec_b64 s[6:7], s[6:7]
	v_mov_b32_e32 v12, s10
	s_xor_b64 exec, exec, s[6:7]
	s_cbranch_execnz .LBB1_6332
; %bb.14515:
	s_getpc_b64 s[14:15]
.Lpost_getpc3161:
	s_add_u32 s14, s14, (.LBB1_2234-.Lpost_getpc3161)&4294967295
	s_addc_u32 s15, s15, (.LBB1_2234-.Lpost_getpc3161)>>32
	s_setpc_b64 s[14:15]
.LBB1_6332:
	v_mov_b32_e32 v12, 0
	v_cmp_ne_u16_sdwa s[8:9], v17, v12 src0_sel:BYTE_3 src1_sel:DWORD
	s_andn2_b64 s[4:5], s[4:5], exec
	s_and_b64 s[8:9], s[8:9], exec
	s_or_b64 s[4:5], s[4:5], s[8:9]
	s_or_b64 exec, exec, s[6:7]
	s_and_saveexec_b64 s[6:7], s[4:5]
	s_cbranch_execz .LBB1_9309
; %bb.14517:
	s_getpc_b64 s[14:15]
.Lpost_getpc3162:
	s_add_u32 s14, s14, (.LBB1_2235-.Lpost_getpc3162)&4294967295
	s_addc_u32 s15, s15, (.LBB1_2235-.Lpost_getpc3162)>>32
	s_setpc_b64 s[14:15]
.LBB1_9309:
	s_getpc_b64 s[14:15]
.Lpost_getpc558:
	s_add_u32 s14, s14, (.LBB1_2236-.Lpost_getpc558)&4294967295
	s_addc_u32 s15, s15, (.LBB1_2236-.Lpost_getpc558)>>32
	s_setpc_b64 s[14:15]
.LBB1_6333:
	s_movk_i32 s4, 0x80
	v_cmp_eq_u16_sdwa s[12:13], v13, s4 src0_sel:BYTE_3 src1_sel:DWORD
	s_mov_b64 s[4:5], -1
                                        ; implicit-def: $sgpr10
	s_and_saveexec_b64 s[8:9], s[12:13]
; %bb.6334:
	s_mov_b32 s10, 0x7f800001
	s_xor_b64 s[4:5], exec, -1
; %bb.6335:
	s_or_b64 exec, exec, s[8:9]
	s_and_b64 s[4:5], s[4:5], exec
	s_or_saveexec_b64 s[6:7], s[6:7]
	v_mov_b32_e32 v16, s10
	s_xor_b64 exec, exec, s[6:7]
	s_cbranch_execnz .LBB1_6336
; %bb.14519:
	s_getpc_b64 s[14:15]
.Lpost_getpc3163:
	s_add_u32 s14, s14, (.LBB1_2238-.Lpost_getpc3163)&4294967295
	s_addc_u32 s15, s15, (.LBB1_2238-.Lpost_getpc3163)>>32
	s_setpc_b64 s[14:15]
.LBB1_6336:
	v_mov_b32_e32 v16, 0
	v_cmp_ne_u16_sdwa s[8:9], v13, v16 src0_sel:BYTE_3 src1_sel:DWORD
	s_andn2_b64 s[4:5], s[4:5], exec
	s_and_b64 s[8:9], s[8:9], exec
	s_or_b64 s[4:5], s[4:5], s[8:9]
	s_or_b64 exec, exec, s[6:7]
	s_and_saveexec_b64 s[6:7], s[4:5]
	s_cbranch_execz .LBB1_9311
; %bb.14521:
	s_getpc_b64 s[14:15]
.Lpost_getpc3164:
	s_add_u32 s14, s14, (.LBB1_2239-.Lpost_getpc3164)&4294967295
	s_addc_u32 s15, s15, (.LBB1_2239-.Lpost_getpc3164)>>32
	s_setpc_b64 s[14:15]
.LBB1_9311:
	s_getpc_b64 s[14:15]
.Lpost_getpc559:
	s_add_u32 s14, s14, (.LBB1_2240-.Lpost_getpc559)&4294967295
	s_addc_u32 s15, s15, (.LBB1_2240-.Lpost_getpc559)>>32
	s_setpc_b64 s[14:15]
.LBB1_6337:
	s_movk_i32 s4, 0x80
	v_cmp_eq_u16_sdwa s[12:13], v18, s4 src0_sel:BYTE_0 src1_sel:DWORD
	s_mov_b64 s[4:5], -1
                                        ; implicit-def: $sgpr10
	s_and_saveexec_b64 s[8:9], s[12:13]
; %bb.6338:
	s_mov_b32 s10, 0x7f800001
	s_xor_b64 s[4:5], exec, -1
; %bb.6339:
	s_or_b64 exec, exec, s[8:9]
	s_and_b64 s[4:5], s[4:5], exec
	s_or_saveexec_b64 s[6:7], s[6:7]
	v_mov_b32_e32 v13, s10
	s_xor_b64 exec, exec, s[6:7]
	s_cbranch_execnz .LBB1_6340
; %bb.14523:
	s_getpc_b64 s[14:15]
.Lpost_getpc3165:
	s_add_u32 s14, s14, (.LBB1_2242-.Lpost_getpc3165)&4294967295
	s_addc_u32 s15, s15, (.LBB1_2242-.Lpost_getpc3165)>>32
	s_setpc_b64 s[14:15]
.LBB1_6340:
	v_mov_b32_e32 v13, 0
	v_cmp_ne_u16_sdwa s[8:9], v18, v13 src0_sel:BYTE_0 src1_sel:DWORD
	s_andn2_b64 s[4:5], s[4:5], exec
	s_and_b64 s[8:9], s[8:9], exec
	s_or_b64 s[4:5], s[4:5], s[8:9]
	s_or_b64 exec, exec, s[6:7]
	s_and_saveexec_b64 s[6:7], s[4:5]
	s_cbranch_execz .LBB1_9313
; %bb.14525:
	s_getpc_b64 s[14:15]
.Lpost_getpc3166:
	s_add_u32 s14, s14, (.LBB1_2243-.Lpost_getpc3166)&4294967295
	s_addc_u32 s15, s15, (.LBB1_2243-.Lpost_getpc3166)>>32
	s_setpc_b64 s[14:15]
.LBB1_9313:
	s_getpc_b64 s[14:15]
.Lpost_getpc560:
	s_add_u32 s14, s14, (.LBB1_2244-.Lpost_getpc560)&4294967295
	s_addc_u32 s15, s15, (.LBB1_2244-.Lpost_getpc560)>>32
	s_setpc_b64 s[14:15]
.LBB1_6341:
	s_movk_i32 s4, 0x80
	v_cmp_eq_u16_sdwa s[12:13], v16, s4 src0_sel:BYTE_0 src1_sel:DWORD
	s_mov_b64 s[4:5], -1
                                        ; implicit-def: $sgpr10
	s_and_saveexec_b64 s[8:9], s[12:13]
; %bb.6342:
	s_mov_b32 s10, 0x7f800001
	s_xor_b64 s[4:5], exec, -1
; %bb.6343:
	s_or_b64 exec, exec, s[8:9]
	s_and_b64 s[4:5], s[4:5], exec
	s_or_saveexec_b64 s[6:7], s[6:7]
	v_mov_b32_e32 v14, s10
	s_xor_b64 exec, exec, s[6:7]
	s_cbranch_execnz .LBB1_6344
; %bb.14527:
	s_getpc_b64 s[14:15]
.Lpost_getpc3167:
	s_add_u32 s14, s14, (.LBB1_2246-.Lpost_getpc3167)&4294967295
	s_addc_u32 s15, s15, (.LBB1_2246-.Lpost_getpc3167)>>32
	s_setpc_b64 s[14:15]
.LBB1_6344:
	v_mov_b32_e32 v14, 0
	v_cmp_ne_u16_sdwa s[8:9], v16, v14 src0_sel:BYTE_0 src1_sel:DWORD
	s_andn2_b64 s[4:5], s[4:5], exec
	s_and_b64 s[8:9], s[8:9], exec
	s_or_b64 s[4:5], s[4:5], s[8:9]
	s_or_b64 exec, exec, s[6:7]
	v_or_b32_sdwa v12, v16, v12 dst_sel:DWORD dst_unused:UNUSED_PAD src0_sel:WORD_0 src1_sel:DWORD
	s_and_saveexec_b64 s[6:7], s[4:5]
	s_cbranch_execz .LBB1_9315
; %bb.14529:
	s_getpc_b64 s[14:15]
.Lpost_getpc3168:
	s_add_u32 s14, s14, (.LBB1_2247-.Lpost_getpc3168)&4294967295
	s_addc_u32 s15, s15, (.LBB1_2247-.Lpost_getpc3168)>>32
	s_setpc_b64 s[14:15]
.LBB1_9315:
	s_getpc_b64 s[14:15]
.Lpost_getpc561:
	s_add_u32 s14, s14, (.LBB1_2248-.Lpost_getpc561)&4294967295
	s_addc_u32 s15, s15, (.LBB1_2248-.Lpost_getpc561)>>32
	s_setpc_b64 s[14:15]
.LBB1_6345:
	s_movk_i32 s4, 0x80
	v_cmp_eq_u16_sdwa s[12:13], v14, s4 src0_sel:BYTE_0 src1_sel:DWORD
	s_mov_b64 s[4:5], -1
                                        ; implicit-def: $sgpr10
	s_and_saveexec_b64 s[8:9], s[12:13]
; %bb.6346:
	s_mov_b32 s10, 0x7f800001
	s_xor_b64 s[4:5], exec, -1
; %bb.6347:
	s_or_b64 exec, exec, s[8:9]
	s_and_b64 s[4:5], s[4:5], exec
	s_or_saveexec_b64 s[6:7], s[6:7]
	v_mov_b32_e32 v13, s10
	s_xor_b64 exec, exec, s[6:7]
	s_cbranch_execnz .LBB1_6348
; %bb.14531:
	s_getpc_b64 s[14:15]
.Lpost_getpc3169:
	s_add_u32 s14, s14, (.LBB1_2250-.Lpost_getpc3169)&4294967295
	s_addc_u32 s15, s15, (.LBB1_2250-.Lpost_getpc3169)>>32
	s_setpc_b64 s[14:15]
.LBB1_6348:
	v_mov_b32_e32 v13, 0
	v_cmp_ne_u16_sdwa s[8:9], v14, v13 src0_sel:BYTE_0 src1_sel:DWORD
	s_andn2_b64 s[4:5], s[4:5], exec
	s_and_b64 s[8:9], s[8:9], exec
	s_or_b64 s[4:5], s[4:5], s[8:9]
	s_or_b64 exec, exec, s[6:7]
	s_and_saveexec_b64 s[6:7], s[4:5]
	s_cbranch_execz .LBB1_9317
; %bb.14533:
	s_getpc_b64 s[14:15]
.Lpost_getpc3170:
	s_add_u32 s14, s14, (.LBB1_2251-.Lpost_getpc3170)&4294967295
	s_addc_u32 s15, s15, (.LBB1_2251-.Lpost_getpc3170)>>32
	s_setpc_b64 s[14:15]
.LBB1_9317:
	s_getpc_b64 s[14:15]
.Lpost_getpc562:
	s_add_u32 s14, s14, (.LBB1_2252-.Lpost_getpc562)&4294967295
	s_addc_u32 s15, s15, (.LBB1_2252-.Lpost_getpc562)>>32
	s_setpc_b64 s[14:15]
.LBB1_6349:
	s_movk_i32 s4, 0x80
	v_cmp_eq_u16_sdwa s[12:13], v14, s4 src0_sel:BYTE_0 src1_sel:DWORD
	s_mov_b64 s[4:5], -1
                                        ; implicit-def: $sgpr10
	s_and_saveexec_b64 s[8:9], s[12:13]
; %bb.6350:
	s_mov_b32 s10, 0x7f800001
	s_xor_b64 s[4:5], exec, -1
; %bb.6351:
	s_or_b64 exec, exec, s[8:9]
	s_and_b64 s[4:5], s[4:5], exec
	s_or_saveexec_b64 s[6:7], s[6:7]
	v_mov_b32_e32 v16, s10
	s_xor_b64 exec, exec, s[6:7]
	s_cbranch_execnz .LBB1_6352
; %bb.14535:
	s_getpc_b64 s[14:15]
.Lpost_getpc3171:
	s_add_u32 s14, s14, (.LBB1_2254-.Lpost_getpc3171)&4294967295
	s_addc_u32 s15, s15, (.LBB1_2254-.Lpost_getpc3171)>>32
	s_setpc_b64 s[14:15]
.LBB1_6352:
	v_mov_b32_e32 v16, 0
	v_cmp_ne_u16_sdwa s[8:9], v14, v16 src0_sel:BYTE_0 src1_sel:DWORD
	s_andn2_b64 s[4:5], s[4:5], exec
	s_and_b64 s[8:9], s[8:9], exec
	s_or_b64 s[4:5], s[4:5], s[8:9]
	s_or_b64 exec, exec, s[6:7]
	s_and_saveexec_b64 s[6:7], s[4:5]
	s_cbranch_execz .LBB1_9319
; %bb.14537:
	s_getpc_b64 s[14:15]
.Lpost_getpc3172:
	s_add_u32 s14, s14, (.LBB1_2255-.Lpost_getpc3172)&4294967295
	s_addc_u32 s15, s15, (.LBB1_2255-.Lpost_getpc3172)>>32
	s_setpc_b64 s[14:15]
.LBB1_9319:
	s_getpc_b64 s[14:15]
.Lpost_getpc563:
	s_add_u32 s14, s14, (.LBB1_2256-.Lpost_getpc563)&4294967295
	s_addc_u32 s15, s15, (.LBB1_2256-.Lpost_getpc563)>>32
	s_setpc_b64 s[14:15]
.LBB1_6353:
	s_movk_i32 s4, 0x80
	v_cmp_eq_u16_e32 vcc, s4, v14
	s_mov_b64 s[4:5], -1
                                        ; implicit-def: $sgpr10
	s_and_saveexec_b64 s[8:9], vcc
; %bb.6354:
	s_mov_b32 s10, 0x7f800001
	s_xor_b64 s[4:5], exec, -1
; %bb.6355:
	s_or_b64 exec, exec, s[8:9]
	s_and_b64 s[4:5], s[4:5], exec
                                        ; implicit-def: $vgpr14
	s_or_saveexec_b64 s[6:7], s[6:7]
	v_mov_b32_e32 v13, s10
	s_xor_b64 exec, exec, s[6:7]
	s_cbranch_execnz .LBB1_6356
; %bb.14539:
	s_getpc_b64 s[14:15]
.Lpost_getpc3173:
	s_add_u32 s14, s14, (.LBB1_2258-.Lpost_getpc3173)&4294967295
	s_addc_u32 s15, s15, (.LBB1_2258-.Lpost_getpc3173)>>32
	s_setpc_b64 s[14:15]
.LBB1_6356:
	v_cmp_ne_u16_e32 vcc, 0, v14
	s_andn2_b64 s[4:5], s[4:5], exec
	s_and_b64 s[8:9], vcc, exec
	v_mov_b32_e32 v13, 0
	s_or_b64 s[4:5], s[4:5], s[8:9]
	s_or_b64 exec, exec, s[6:7]
	s_and_saveexec_b64 s[6:7], s[4:5]
	s_cbranch_execz .LBB1_9321
; %bb.14541:
	s_getpc_b64 s[14:15]
.Lpost_getpc3174:
	s_add_u32 s14, s14, (.LBB1_2259-.Lpost_getpc3174)&4294967295
	s_addc_u32 s15, s15, (.LBB1_2259-.Lpost_getpc3174)>>32
	s_setpc_b64 s[14:15]
.LBB1_9321:
	s_getpc_b64 s[14:15]
.Lpost_getpc564:
	s_add_u32 s14, s14, (.LBB1_2260-.Lpost_getpc564)&4294967295
	s_addc_u32 s15, s15, (.LBB1_2260-.Lpost_getpc564)>>32
	s_setpc_b64 s[14:15]
.LBB1_6357:
	s_movk_i32 s4, 0x80
	v_cmp_eq_u16_e32 vcc, s4, v14
	s_mov_b64 s[4:5], -1
                                        ; implicit-def: $sgpr10
	s_and_saveexec_b64 s[8:9], vcc
; %bb.6358:
	s_mov_b32 s10, 0x7f800001
	s_xor_b64 s[4:5], exec, -1
; %bb.6359:
	s_or_b64 exec, exec, s[8:9]
	s_and_b64 s[4:5], s[4:5], exec
                                        ; implicit-def: $vgpr14
	s_or_saveexec_b64 s[6:7], s[6:7]
	v_mov_b32_e32 v16, s10
	s_xor_b64 exec, exec, s[6:7]
	s_cbranch_execnz .LBB1_6360
; %bb.14543:
	s_getpc_b64 s[14:15]
.Lpost_getpc3175:
	s_add_u32 s14, s14, (.LBB1_2262-.Lpost_getpc3175)&4294967295
	s_addc_u32 s15, s15, (.LBB1_2262-.Lpost_getpc3175)>>32
	s_setpc_b64 s[14:15]
.LBB1_6360:
	v_cmp_ne_u16_e32 vcc, 0, v14
	s_andn2_b64 s[4:5], s[4:5], exec
	s_and_b64 s[8:9], vcc, exec
	v_mov_b32_e32 v16, 0
	s_or_b64 s[4:5], s[4:5], s[8:9]
	s_or_b64 exec, exec, s[6:7]
	s_and_saveexec_b64 s[6:7], s[4:5]
	s_cbranch_execz .LBB1_9323
; %bb.14545:
	s_getpc_b64 s[14:15]
.Lpost_getpc3176:
	s_add_u32 s14, s14, (.LBB1_2263-.Lpost_getpc3176)&4294967295
	s_addc_u32 s15, s15, (.LBB1_2263-.Lpost_getpc3176)>>32
	s_setpc_b64 s[14:15]
.LBB1_9323:
	s_getpc_b64 s[14:15]
.Lpost_getpc565:
	s_add_u32 s14, s14, (.LBB1_2264-.Lpost_getpc565)&4294967295
	s_addc_u32 s15, s15, (.LBB1_2264-.Lpost_getpc565)>>32
	s_setpc_b64 s[14:15]
.LBB1_6361:
	s_movk_i32 s4, 0x80
	v_cmp_eq_u16_sdwa s[12:13], v18, s4 src0_sel:BYTE_3 src1_sel:DWORD
	s_mov_b64 s[4:5], -1
                                        ; implicit-def: $sgpr10
	s_and_saveexec_b64 s[8:9], s[12:13]
; %bb.6362:
	s_mov_b32 s10, 0x7f800001
	s_xor_b64 s[4:5], exec, -1
; %bb.6363:
	s_or_b64 exec, exec, s[8:9]
	s_and_b64 s[4:5], s[4:5], exec
	s_or_saveexec_b64 s[6:7], s[6:7]
	v_mov_b32_e32 v13, s10
	s_xor_b64 exec, exec, s[6:7]
	s_cbranch_execnz .LBB1_6364
; %bb.14547:
	s_getpc_b64 s[14:15]
.Lpost_getpc3177:
	s_add_u32 s14, s14, (.LBB1_2266-.Lpost_getpc3177)&4294967295
	s_addc_u32 s15, s15, (.LBB1_2266-.Lpost_getpc3177)>>32
	s_setpc_b64 s[14:15]
.LBB1_6364:
	v_mov_b32_e32 v13, 0
	v_cmp_ne_u16_sdwa s[8:9], v18, v13 src0_sel:BYTE_3 src1_sel:DWORD
	s_andn2_b64 s[4:5], s[4:5], exec
	s_and_b64 s[8:9], s[8:9], exec
	s_or_b64 s[4:5], s[4:5], s[8:9]
	s_or_b64 exec, exec, s[6:7]
	s_and_saveexec_b64 s[6:7], s[4:5]
	s_cbranch_execz .LBB1_9325
; %bb.14549:
	s_getpc_b64 s[14:15]
.Lpost_getpc3178:
	s_add_u32 s14, s14, (.LBB1_2267-.Lpost_getpc3178)&4294967295
	s_addc_u32 s15, s15, (.LBB1_2267-.Lpost_getpc3178)>>32
	s_setpc_b64 s[14:15]
.LBB1_9325:
	s_getpc_b64 s[14:15]
.Lpost_getpc566:
	s_add_u32 s14, s14, (.LBB1_2268-.Lpost_getpc566)&4294967295
	s_addc_u32 s15, s15, (.LBB1_2268-.Lpost_getpc566)>>32
	s_setpc_b64 s[14:15]
.LBB1_6365:
	s_movk_i32 s4, 0x80
	v_cmp_eq_u16_sdwa s[12:13], v12, s4 src0_sel:BYTE_3 src1_sel:DWORD
	s_mov_b64 s[4:5], -1
                                        ; implicit-def: $sgpr10
	s_and_saveexec_b64 s[8:9], s[12:13]
; %bb.6366:
	s_mov_b32 s10, 0x7f800001
	s_xor_b64 s[4:5], exec, -1
; %bb.6367:
	s_or_b64 exec, exec, s[8:9]
	s_and_b64 s[4:5], s[4:5], exec
	s_or_saveexec_b64 s[6:7], s[6:7]
	v_mov_b32_e32 v14, s10
	s_xor_b64 exec, exec, s[6:7]
	s_cbranch_execnz .LBB1_6368
; %bb.14551:
	s_getpc_b64 s[14:15]
.Lpost_getpc3179:
	s_add_u32 s14, s14, (.LBB1_2270-.Lpost_getpc3179)&4294967295
	s_addc_u32 s15, s15, (.LBB1_2270-.Lpost_getpc3179)>>32
	s_setpc_b64 s[14:15]
.LBB1_6368:
	v_mov_b32_e32 v14, 0
	v_cmp_ne_u16_sdwa s[8:9], v12, v14 src0_sel:BYTE_3 src1_sel:DWORD
	s_andn2_b64 s[4:5], s[4:5], exec
	s_and_b64 s[8:9], s[8:9], exec
	s_or_b64 s[4:5], s[4:5], s[8:9]
	s_or_b64 exec, exec, s[6:7]
	s_and_saveexec_b64 s[6:7], s[4:5]
	s_cbranch_execz .LBB1_9327
; %bb.14553:
	s_getpc_b64 s[14:15]
.Lpost_getpc3180:
	s_add_u32 s14, s14, (.LBB1_2271-.Lpost_getpc3180)&4294967295
	s_addc_u32 s15, s15, (.LBB1_2271-.Lpost_getpc3180)>>32
	s_setpc_b64 s[14:15]
.LBB1_9327:
	s_getpc_b64 s[14:15]
.Lpost_getpc567:
	s_add_u32 s14, s14, (.LBB1_2272-.Lpost_getpc567)&4294967295
	s_addc_u32 s15, s15, (.LBB1_2272-.Lpost_getpc567)>>32
	s_setpc_b64 s[14:15]
.LBB1_6369:
	s_movk_i32 s4, 0x80
	v_cmp_eq_u16_sdwa s[12:13], v19, s4 src0_sel:BYTE_0 src1_sel:DWORD
	s_mov_b64 s[4:5], -1
                                        ; implicit-def: $sgpr10
	s_and_saveexec_b64 s[8:9], s[12:13]
; %bb.6370:
	s_mov_b32 s10, 0x7f800001
	s_xor_b64 s[4:5], exec, -1
; %bb.6371:
	s_or_b64 exec, exec, s[8:9]
	s_and_b64 s[4:5], s[4:5], exec
	s_or_saveexec_b64 s[6:7], s[6:7]
	v_mov_b32_e32 v12, s10
	s_xor_b64 exec, exec, s[6:7]
	s_cbranch_execnz .LBB1_6372
; %bb.14555:
	s_getpc_b64 s[14:15]
.Lpost_getpc3181:
	s_add_u32 s14, s14, (.LBB1_2274-.Lpost_getpc3181)&4294967295
	s_addc_u32 s15, s15, (.LBB1_2274-.Lpost_getpc3181)>>32
	s_setpc_b64 s[14:15]
.LBB1_6372:
	v_mov_b32_e32 v12, 0
	v_cmp_ne_u16_sdwa s[8:9], v19, v12 src0_sel:BYTE_0 src1_sel:DWORD
	s_andn2_b64 s[4:5], s[4:5], exec
	s_and_b64 s[8:9], s[8:9], exec
	s_or_b64 s[4:5], s[4:5], s[8:9]
	s_or_b64 exec, exec, s[6:7]
	s_and_saveexec_b64 s[6:7], s[4:5]
	s_cbranch_execz .LBB1_9329
; %bb.14557:
	s_getpc_b64 s[14:15]
.Lpost_getpc3182:
	s_add_u32 s14, s14, (.LBB1_2275-.Lpost_getpc3182)&4294967295
	s_addc_u32 s15, s15, (.LBB1_2275-.Lpost_getpc3182)>>32
	s_setpc_b64 s[14:15]
.LBB1_9329:
	s_getpc_b64 s[14:15]
.Lpost_getpc568:
	s_add_u32 s14, s14, (.LBB1_2276-.Lpost_getpc568)&4294967295
	s_addc_u32 s15, s15, (.LBB1_2276-.Lpost_getpc568)>>32
	s_setpc_b64 s[14:15]
.LBB1_6373:
	s_movk_i32 s4, 0x80
	v_cmp_eq_u16_sdwa s[12:13], v15, s4 src0_sel:BYTE_0 src1_sel:DWORD
	s_mov_b64 s[4:5], -1
                                        ; implicit-def: $sgpr10
	s_and_saveexec_b64 s[8:9], s[12:13]
; %bb.6374:
	s_mov_b32 s10, 0x7f800001
	s_xor_b64 s[4:5], exec, -1
; %bb.6375:
	s_or_b64 exec, exec, s[8:9]
	s_and_b64 s[4:5], s[4:5], exec
	s_or_saveexec_b64 s[6:7], s[6:7]
	v_mov_b32_e32 v13, s10
	s_xor_b64 exec, exec, s[6:7]
	s_cbranch_execnz .LBB1_6376
; %bb.14559:
	s_getpc_b64 s[14:15]
.Lpost_getpc3183:
	s_add_u32 s14, s14, (.LBB1_2278-.Lpost_getpc3183)&4294967295
	s_addc_u32 s15, s15, (.LBB1_2278-.Lpost_getpc3183)>>32
	s_setpc_b64 s[14:15]
.LBB1_6376:
	v_mov_b32_e32 v13, 0
	v_cmp_ne_u16_sdwa s[8:9], v15, v13 src0_sel:BYTE_0 src1_sel:DWORD
	s_andn2_b64 s[4:5], s[4:5], exec
	s_and_b64 s[8:9], s[8:9], exec
	s_or_b64 s[4:5], s[4:5], s[8:9]
	s_or_b64 exec, exec, s[6:7]
	s_and_saveexec_b64 s[6:7], s[4:5]
	s_cbranch_execz .LBB1_9331
; %bb.14561:
	s_getpc_b64 s[14:15]
.Lpost_getpc3184:
	s_add_u32 s14, s14, (.LBB1_2279-.Lpost_getpc3184)&4294967295
	s_addc_u32 s15, s15, (.LBB1_2279-.Lpost_getpc3184)>>32
	s_setpc_b64 s[14:15]
.LBB1_9331:
	s_getpc_b64 s[14:15]
.Lpost_getpc569:
	s_add_u32 s14, s14, (.LBB1_2280-.Lpost_getpc569)&4294967295
	s_addc_u32 s15, s15, (.LBB1_2280-.Lpost_getpc569)>>32
	s_setpc_b64 s[14:15]
.LBB1_6377:
	s_movk_i32 s4, 0x80
	v_cmp_eq_u16_sdwa s[12:13], v13, s4 src0_sel:BYTE_0 src1_sel:DWORD
	s_mov_b64 s[4:5], -1
                                        ; implicit-def: $sgpr10
	s_and_saveexec_b64 s[8:9], s[12:13]
; %bb.6378:
	s_mov_b32 s10, 0x7f800001
	s_xor_b64 s[4:5], exec, -1
; %bb.6379:
	s_or_b64 exec, exec, s[8:9]
	s_and_b64 s[4:5], s[4:5], exec
	s_or_saveexec_b64 s[6:7], s[6:7]
	v_mov_b32_e32 v12, s10
	s_xor_b64 exec, exec, s[6:7]
	s_cbranch_execnz .LBB1_6380
; %bb.14563:
	s_getpc_b64 s[14:15]
.Lpost_getpc3185:
	s_add_u32 s14, s14, (.LBB1_2282-.Lpost_getpc3185)&4294967295
	s_addc_u32 s15, s15, (.LBB1_2282-.Lpost_getpc3185)>>32
	s_setpc_b64 s[14:15]
.LBB1_6380:
	v_mov_b32_e32 v12, 0
	v_cmp_ne_u16_sdwa s[8:9], v13, v12 src0_sel:BYTE_0 src1_sel:DWORD
	s_andn2_b64 s[4:5], s[4:5], exec
	s_and_b64 s[8:9], s[8:9], exec
	s_or_b64 s[4:5], s[4:5], s[8:9]
	s_or_b64 exec, exec, s[6:7]
	s_and_saveexec_b64 s[6:7], s[4:5]
	s_cbranch_execz .LBB1_9333
; %bb.14565:
	s_getpc_b64 s[14:15]
.Lpost_getpc3186:
	s_add_u32 s14, s14, (.LBB1_2283-.Lpost_getpc3186)&4294967295
	s_addc_u32 s15, s15, (.LBB1_2283-.Lpost_getpc3186)>>32
	s_setpc_b64 s[14:15]
.LBB1_9333:
	s_getpc_b64 s[14:15]
.Lpost_getpc570:
	s_add_u32 s14, s14, (.LBB1_2284-.Lpost_getpc570)&4294967295
	s_addc_u32 s15, s15, (.LBB1_2284-.Lpost_getpc570)>>32
	s_setpc_b64 s[14:15]
.LBB1_6381:
	s_movk_i32 s4, 0x80
	v_cmp_eq_u16_sdwa s[12:13], v13, s4 src0_sel:BYTE_0 src1_sel:DWORD
	s_mov_b64 s[4:5], -1
                                        ; implicit-def: $sgpr10
	s_and_saveexec_b64 s[8:9], s[12:13]
; %bb.6382:
	s_mov_b32 s10, 0x7f800001
	s_xor_b64 s[4:5], exec, -1
; %bb.6383:
	s_or_b64 exec, exec, s[8:9]
	s_and_b64 s[4:5], s[4:5], exec
	s_or_saveexec_b64 s[6:7], s[6:7]
	v_mov_b32_e32 v14, s10
	s_xor_b64 exec, exec, s[6:7]
	s_cbranch_execnz .LBB1_6384
; %bb.14567:
	s_getpc_b64 s[14:15]
.Lpost_getpc3187:
	s_add_u32 s14, s14, (.LBB1_2286-.Lpost_getpc3187)&4294967295
	s_addc_u32 s15, s15, (.LBB1_2286-.Lpost_getpc3187)>>32
	s_setpc_b64 s[14:15]
.LBB1_6384:
	v_mov_b32_e32 v14, 0
	v_cmp_ne_u16_sdwa s[8:9], v13, v14 src0_sel:BYTE_0 src1_sel:DWORD
	s_andn2_b64 s[4:5], s[4:5], exec
	s_and_b64 s[8:9], s[8:9], exec
	s_or_b64 s[4:5], s[4:5], s[8:9]
	s_or_b64 exec, exec, s[6:7]
	s_and_saveexec_b64 s[6:7], s[4:5]
	s_cbranch_execz .LBB1_9335
; %bb.14569:
	s_getpc_b64 s[14:15]
.Lpost_getpc3188:
	s_add_u32 s14, s14, (.LBB1_2287-.Lpost_getpc3188)&4294967295
	s_addc_u32 s15, s15, (.LBB1_2287-.Lpost_getpc3188)>>32
	s_setpc_b64 s[14:15]
.LBB1_9335:
	s_getpc_b64 s[14:15]
.Lpost_getpc571:
	s_add_u32 s14, s14, (.LBB1_2288-.Lpost_getpc571)&4294967295
	s_addc_u32 s15, s15, (.LBB1_2288-.Lpost_getpc571)>>32
	s_setpc_b64 s[14:15]
.LBB1_6385:
	s_movk_i32 s4, 0x80
	v_cmp_eq_u16_e32 vcc, s4, v13
	s_mov_b64 s[4:5], -1
                                        ; implicit-def: $sgpr10
	s_and_saveexec_b64 s[8:9], vcc
; %bb.6386:
	s_mov_b32 s10, 0x7f800001
	s_xor_b64 s[4:5], exec, -1
; %bb.6387:
	s_or_b64 exec, exec, s[8:9]
	s_and_b64 s[4:5], s[4:5], exec
                                        ; implicit-def: $vgpr13
	s_or_saveexec_b64 s[6:7], s[6:7]
	v_mov_b32_e32 v12, s10
	s_xor_b64 exec, exec, s[6:7]
	s_cbranch_execnz .LBB1_6388
; %bb.14571:
	s_getpc_b64 s[14:15]
.Lpost_getpc3189:
	s_add_u32 s14, s14, (.LBB1_2290-.Lpost_getpc3189)&4294967295
	s_addc_u32 s15, s15, (.LBB1_2290-.Lpost_getpc3189)>>32
	s_setpc_b64 s[14:15]
.LBB1_6388:
	v_cmp_ne_u16_e32 vcc, 0, v13
	s_andn2_b64 s[4:5], s[4:5], exec
	s_and_b64 s[8:9], vcc, exec
	v_mov_b32_e32 v12, 0
	s_or_b64 s[4:5], s[4:5], s[8:9]
	s_or_b64 exec, exec, s[6:7]
	s_and_saveexec_b64 s[6:7], s[4:5]
	s_cbranch_execz .LBB1_9337
; %bb.14573:
	s_getpc_b64 s[14:15]
.Lpost_getpc3190:
	s_add_u32 s14, s14, (.LBB1_2291-.Lpost_getpc3190)&4294967295
	s_addc_u32 s15, s15, (.LBB1_2291-.Lpost_getpc3190)>>32
	s_setpc_b64 s[14:15]
.LBB1_9337:
	s_getpc_b64 s[14:15]
.Lpost_getpc572:
	s_add_u32 s14, s14, (.LBB1_2292-.Lpost_getpc572)&4294967295
	s_addc_u32 s15, s15, (.LBB1_2292-.Lpost_getpc572)>>32
	s_setpc_b64 s[14:15]
.LBB1_6389:
	s_movk_i32 s4, 0x80
	v_cmp_eq_u16_e32 vcc, s4, v13
	s_mov_b64 s[4:5], -1
                                        ; implicit-def: $sgpr10
	s_and_saveexec_b64 s[8:9], vcc
; %bb.6390:
	s_mov_b32 s10, 0x7f800001
	s_xor_b64 s[4:5], exec, -1
; %bb.6391:
	s_or_b64 exec, exec, s[8:9]
	s_and_b64 s[4:5], s[4:5], exec
                                        ; implicit-def: $vgpr13
	s_or_saveexec_b64 s[6:7], s[6:7]
	v_mov_b32_e32 v14, s10
	s_xor_b64 exec, exec, s[6:7]
	s_cbranch_execnz .LBB1_6392
; %bb.14575:
	s_getpc_b64 s[14:15]
.Lpost_getpc3191:
	s_add_u32 s14, s14, (.LBB1_2294-.Lpost_getpc3191)&4294967295
	s_addc_u32 s15, s15, (.LBB1_2294-.Lpost_getpc3191)>>32
	s_setpc_b64 s[14:15]
.LBB1_6392:
	v_cmp_ne_u16_e32 vcc, 0, v13
	s_andn2_b64 s[4:5], s[4:5], exec
	s_and_b64 s[8:9], vcc, exec
	v_mov_b32_e32 v14, 0
	s_or_b64 s[4:5], s[4:5], s[8:9]
	s_or_b64 exec, exec, s[6:7]
	s_and_saveexec_b64 s[6:7], s[4:5]
	s_cbranch_execz .LBB1_9339
; %bb.14577:
	s_getpc_b64 s[14:15]
.Lpost_getpc3192:
	s_add_u32 s14, s14, (.LBB1_2295-.Lpost_getpc3192)&4294967295
	s_addc_u32 s15, s15, (.LBB1_2295-.Lpost_getpc3192)>>32
	s_setpc_b64 s[14:15]
.LBB1_9339:
	s_getpc_b64 s[14:15]
.Lpost_getpc573:
	s_add_u32 s14, s14, (.LBB1_2296-.Lpost_getpc573)&4294967295
	s_addc_u32 s15, s15, (.LBB1_2296-.Lpost_getpc573)>>32
	s_setpc_b64 s[14:15]
.LBB1_6393:
	s_movk_i32 s4, 0x80
	v_cmp_eq_u16_sdwa s[12:13], v19, s4 src0_sel:BYTE_3 src1_sel:DWORD
	s_mov_b64 s[4:5], -1
                                        ; implicit-def: $sgpr10
	s_and_saveexec_b64 s[8:9], s[12:13]
; %bb.6394:
	s_mov_b32 s10, 0x7f800001
	s_xor_b64 s[4:5], exec, -1
; %bb.6395:
	s_or_b64 exec, exec, s[8:9]
	s_and_b64 s[4:5], s[4:5], exec
	s_or_saveexec_b64 s[6:7], s[6:7]
	v_mov_b32_e32 v12, s10
	s_xor_b64 exec, exec, s[6:7]
	s_cbranch_execnz .LBB1_6396
; %bb.14579:
	s_getpc_b64 s[14:15]
.Lpost_getpc3193:
	s_add_u32 s14, s14, (.LBB1_2298-.Lpost_getpc3193)&4294967295
	s_addc_u32 s15, s15, (.LBB1_2298-.Lpost_getpc3193)>>32
	s_setpc_b64 s[14:15]
.LBB1_6396:
	v_mov_b32_e32 v12, 0
	v_cmp_ne_u16_sdwa s[8:9], v19, v12 src0_sel:BYTE_3 src1_sel:DWORD
	s_andn2_b64 s[4:5], s[4:5], exec
	s_and_b64 s[8:9], s[8:9], exec
	s_or_b64 s[4:5], s[4:5], s[8:9]
	s_or_b64 exec, exec, s[6:7]
	s_and_saveexec_b64 s[6:7], s[4:5]
	s_cbranch_execz .LBB1_9341
; %bb.14581:
	s_getpc_b64 s[14:15]
.Lpost_getpc3194:
	s_add_u32 s14, s14, (.LBB1_2299-.Lpost_getpc3194)&4294967295
	s_addc_u32 s15, s15, (.LBB1_2299-.Lpost_getpc3194)>>32
	s_setpc_b64 s[14:15]
.LBB1_9341:
	s_getpc_b64 s[14:15]
.Lpost_getpc574:
	s_add_u32 s14, s14, (.LBB1_2300-.Lpost_getpc574)&4294967295
	s_addc_u32 s15, s15, (.LBB1_2300-.Lpost_getpc574)>>32
	s_setpc_b64 s[14:15]
.LBB1_6397:
	s_movk_i32 s4, 0x80
	v_cmp_eq_u16_sdwa s[12:13], v15, s4 src0_sel:BYTE_3 src1_sel:DWORD
	s_mov_b64 s[4:5], -1
                                        ; implicit-def: $sgpr10
	s_and_saveexec_b64 s[8:9], s[12:13]
; %bb.6398:
	s_mov_b32 s10, 0x7f800001
	s_xor_b64 s[4:5], exec, -1
; %bb.6399:
	s_or_b64 exec, exec, s[8:9]
	s_and_b64 s[4:5], s[4:5], exec
	s_or_saveexec_b64 s[6:7], s[6:7]
	v_mov_b32_e32 v13, s10
	s_xor_b64 exec, exec, s[6:7]
	s_cbranch_execnz .LBB1_6400
; %bb.14583:
	s_getpc_b64 s[14:15]
.Lpost_getpc3195:
	s_add_u32 s14, s14, (.LBB1_2302-.Lpost_getpc3195)&4294967295
	s_addc_u32 s15, s15, (.LBB1_2302-.Lpost_getpc3195)>>32
	s_setpc_b64 s[14:15]
.LBB1_6400:
	v_mov_b32_e32 v13, 0
	v_cmp_ne_u16_sdwa s[8:9], v15, v13 src0_sel:BYTE_3 src1_sel:DWORD
	s_andn2_b64 s[4:5], s[4:5], exec
	s_and_b64 s[8:9], s[8:9], exec
	s_or_b64 s[4:5], s[4:5], s[8:9]
	s_or_b64 exec, exec, s[6:7]
	s_and_saveexec_b64 s[6:7], s[4:5]
	s_cbranch_execz .LBB1_9343
; %bb.14585:
	s_getpc_b64 s[14:15]
.Lpost_getpc3196:
	s_add_u32 s14, s14, (.LBB1_2303-.Lpost_getpc3196)&4294967295
	s_addc_u32 s15, s15, (.LBB1_2303-.Lpost_getpc3196)>>32
	s_setpc_b64 s[14:15]
.LBB1_9343:
	s_getpc_b64 s[14:15]
.Lpost_getpc575:
	s_add_u32 s14, s14, (.LBB1_2304-.Lpost_getpc575)&4294967295
	s_addc_u32 s15, s15, (.LBB1_2304-.Lpost_getpc575)>>32
	s_setpc_b64 s[14:15]
.LBB1_6401:
	s_movk_i32 s4, 0x80
	v_cmp_eq_u16_sdwa s[12:13], v16, s4 src0_sel:BYTE_0 src1_sel:DWORD
	s_mov_b64 s[4:5], -1
                                        ; implicit-def: $sgpr10
	s_and_saveexec_b64 s[8:9], s[12:13]
; %bb.6402:
	s_mov_b32 s10, 0x7f800001
	s_xor_b64 s[4:5], exec, -1
; %bb.6403:
	s_or_b64 exec, exec, s[8:9]
	s_and_b64 s[4:5], s[4:5], exec
	s_or_saveexec_b64 s[6:7], s[6:7]
	v_mov_b32_e32 v21, s10
	s_xor_b64 exec, exec, s[6:7]
	s_cbranch_execnz .LBB1_6404
; %bb.14587:
	s_getpc_b64 s[14:15]
.Lpost_getpc3197:
	s_add_u32 s14, s14, (.LBB1_2306-.Lpost_getpc3197)&4294967295
	s_addc_u32 s15, s15, (.LBB1_2306-.Lpost_getpc3197)>>32
	s_setpc_b64 s[14:15]
.LBB1_6404:
	v_mov_b32_e32 v21, 0
	v_cmp_ne_u16_sdwa s[8:9], v16, v21 src0_sel:BYTE_0 src1_sel:DWORD
	s_andn2_b64 s[4:5], s[4:5], exec
	s_and_b64 s[8:9], s[8:9], exec
	s_or_b64 s[4:5], s[4:5], s[8:9]
	s_or_b64 exec, exec, s[6:7]
	s_and_saveexec_b64 s[6:7], s[4:5]
	s_cbranch_execz .LBB1_9345
; %bb.14589:
	s_getpc_b64 s[14:15]
.Lpost_getpc3198:
	s_add_u32 s14, s14, (.LBB1_2307-.Lpost_getpc3198)&4294967295
	s_addc_u32 s15, s15, (.LBB1_2307-.Lpost_getpc3198)>>32
	s_setpc_b64 s[14:15]
.LBB1_9345:
	s_getpc_b64 s[14:15]
.Lpost_getpc576:
	s_add_u32 s14, s14, (.LBB1_2308-.Lpost_getpc576)&4294967295
	s_addc_u32 s15, s15, (.LBB1_2308-.Lpost_getpc576)>>32
	s_setpc_b64 s[14:15]
.LBB1_6405:
	s_movk_i32 s4, 0x80
	v_cmp_eq_u16_sdwa s[12:13], v12, s4 src0_sel:BYTE_0 src1_sel:DWORD
	s_mov_b64 s[4:5], -1
                                        ; implicit-def: $sgpr10
	s_and_saveexec_b64 s[8:9], s[12:13]
; %bb.6406:
	s_mov_b32 s10, 0x7f800001
	s_xor_b64 s[4:5], exec, -1
; %bb.6407:
	s_or_b64 exec, exec, s[8:9]
	s_and_b64 s[4:5], s[4:5], exec
	s_or_saveexec_b64 s[6:7], s[6:7]
	v_mov_b32_e32 v22, s10
	s_xor_b64 exec, exec, s[6:7]
	s_cbranch_execnz .LBB1_6408
; %bb.14591:
	s_getpc_b64 s[14:15]
.Lpost_getpc3199:
	s_add_u32 s14, s14, (.LBB1_2310-.Lpost_getpc3199)&4294967295
	s_addc_u32 s15, s15, (.LBB1_2310-.Lpost_getpc3199)>>32
	s_setpc_b64 s[14:15]
.LBB1_6408:
	v_mov_b32_e32 v22, 0
	v_cmp_ne_u16_sdwa s[8:9], v12, v22 src0_sel:BYTE_0 src1_sel:DWORD
	s_andn2_b64 s[4:5], s[4:5], exec
	s_and_b64 s[8:9], s[8:9], exec
	s_or_b64 s[4:5], s[4:5], s[8:9]
	s_or_b64 exec, exec, s[6:7]
	s_and_saveexec_b64 s[6:7], s[4:5]
	s_cbranch_execz .LBB1_9347
; %bb.14593:
	s_getpc_b64 s[14:15]
.Lpost_getpc3200:
	s_add_u32 s14, s14, (.LBB1_2311-.Lpost_getpc3200)&4294967295
	s_addc_u32 s15, s15, (.LBB1_2311-.Lpost_getpc3200)>>32
	s_setpc_b64 s[14:15]
.LBB1_9347:
	s_getpc_b64 s[14:15]
.Lpost_getpc577:
	s_add_u32 s14, s14, (.LBB1_2312-.Lpost_getpc577)&4294967295
	s_addc_u32 s15, s15, (.LBB1_2312-.Lpost_getpc577)>>32
	s_setpc_b64 s[14:15]
.LBB1_6409:
	s_movk_i32 s4, 0x80
	v_cmp_eq_u16_sdwa s[12:13], v22, s4 src0_sel:BYTE_0 src1_sel:DWORD
	s_mov_b64 s[4:5], -1
                                        ; implicit-def: $sgpr10
	s_and_saveexec_b64 s[8:9], s[12:13]
; %bb.6410:
	s_mov_b32 s10, 0x7f800001
	s_xor_b64 s[4:5], exec, -1
; %bb.6411:
	s_or_b64 exec, exec, s[8:9]
	s_and_b64 s[4:5], s[4:5], exec
	s_or_saveexec_b64 s[6:7], s[6:7]
	v_mov_b32_e32 v21, s10
	s_xor_b64 exec, exec, s[6:7]
	s_cbranch_execnz .LBB1_6412
; %bb.14595:
	s_getpc_b64 s[14:15]
.Lpost_getpc3201:
	s_add_u32 s14, s14, (.LBB1_2314-.Lpost_getpc3201)&4294967295
	s_addc_u32 s15, s15, (.LBB1_2314-.Lpost_getpc3201)>>32
	s_setpc_b64 s[14:15]
.LBB1_6412:
	v_mov_b32_e32 v21, 0
	v_cmp_ne_u16_sdwa s[8:9], v22, v21 src0_sel:BYTE_0 src1_sel:DWORD
	s_andn2_b64 s[4:5], s[4:5], exec
	s_and_b64 s[8:9], s[8:9], exec
	s_or_b64 s[4:5], s[4:5], s[8:9]
	s_or_b64 exec, exec, s[6:7]
	s_and_saveexec_b64 s[6:7], s[4:5]
	s_cbranch_execz .LBB1_9349
; %bb.14597:
	s_getpc_b64 s[14:15]
.Lpost_getpc3202:
	s_add_u32 s14, s14, (.LBB1_2315-.Lpost_getpc3202)&4294967295
	s_addc_u32 s15, s15, (.LBB1_2315-.Lpost_getpc3202)>>32
	s_setpc_b64 s[14:15]
.LBB1_9349:
	s_getpc_b64 s[14:15]
.Lpost_getpc578:
	s_add_u32 s14, s14, (.LBB1_2316-.Lpost_getpc578)&4294967295
	s_addc_u32 s15, s15, (.LBB1_2316-.Lpost_getpc578)>>32
	s_setpc_b64 s[14:15]
.LBB1_6413:
	s_movk_i32 s4, 0x80
	v_cmp_eq_u16_sdwa s[12:13], v22, s4 src0_sel:BYTE_0 src1_sel:DWORD
	s_mov_b64 s[4:5], -1
                                        ; implicit-def: $sgpr10
	s_and_saveexec_b64 s[8:9], s[12:13]
; %bb.6414:
	s_mov_b32 s10, 0x7f800001
	s_xor_b64 s[4:5], exec, -1
; %bb.6415:
	s_or_b64 exec, exec, s[8:9]
	s_and_b64 s[4:5], s[4:5], exec
	s_or_saveexec_b64 s[6:7], s[6:7]
	v_mov_b32_e32 v23, s10
	s_xor_b64 exec, exec, s[6:7]
	s_cbranch_execnz .LBB1_6416
; %bb.14599:
	s_getpc_b64 s[14:15]
.Lpost_getpc3203:
	s_add_u32 s14, s14, (.LBB1_2318-.Lpost_getpc3203)&4294967295
	s_addc_u32 s15, s15, (.LBB1_2318-.Lpost_getpc3203)>>32
	s_setpc_b64 s[14:15]
.LBB1_6416:
	v_mov_b32_e32 v23, 0
	v_cmp_ne_u16_sdwa s[8:9], v22, v23 src0_sel:BYTE_0 src1_sel:DWORD
	s_andn2_b64 s[4:5], s[4:5], exec
	s_and_b64 s[8:9], s[8:9], exec
	s_or_b64 s[4:5], s[4:5], s[8:9]
	s_or_b64 exec, exec, s[6:7]
	s_and_saveexec_b64 s[6:7], s[4:5]
	s_cbranch_execz .LBB1_9351
; %bb.14601:
	s_getpc_b64 s[14:15]
.Lpost_getpc3204:
	s_add_u32 s14, s14, (.LBB1_2319-.Lpost_getpc3204)&4294967295
	s_addc_u32 s15, s15, (.LBB1_2319-.Lpost_getpc3204)>>32
	s_setpc_b64 s[14:15]
.LBB1_9351:
	s_getpc_b64 s[14:15]
.Lpost_getpc579:
	s_add_u32 s14, s14, (.LBB1_2320-.Lpost_getpc579)&4294967295
	s_addc_u32 s15, s15, (.LBB1_2320-.Lpost_getpc579)>>32
	s_setpc_b64 s[14:15]
.LBB1_6417:
	s_movk_i32 s4, 0x80
	v_cmp_eq_u16_e32 vcc, s4, v22
	s_mov_b64 s[4:5], -1
                                        ; implicit-def: $sgpr10
	s_and_saveexec_b64 s[8:9], vcc
; %bb.6418:
	s_mov_b32 s10, 0x7f800001
	s_xor_b64 s[4:5], exec, -1
; %bb.6419:
	s_or_b64 exec, exec, s[8:9]
	s_and_b64 s[4:5], s[4:5], exec
                                        ; implicit-def: $vgpr22
	s_or_saveexec_b64 s[6:7], s[6:7]
	v_mov_b32_e32 v21, s10
	s_xor_b64 exec, exec, s[6:7]
	s_cbranch_execnz .LBB1_6420
; %bb.14603:
	s_getpc_b64 s[14:15]
.Lpost_getpc3205:
	s_add_u32 s14, s14, (.LBB1_2322-.Lpost_getpc3205)&4294967295
	s_addc_u32 s15, s15, (.LBB1_2322-.Lpost_getpc3205)>>32
	s_setpc_b64 s[14:15]
.LBB1_6420:
	v_cmp_ne_u16_e32 vcc, 0, v22
	s_andn2_b64 s[4:5], s[4:5], exec
	s_and_b64 s[8:9], vcc, exec
	v_mov_b32_e32 v21, 0
	s_or_b64 s[4:5], s[4:5], s[8:9]
	s_or_b64 exec, exec, s[6:7]
	s_and_saveexec_b64 s[6:7], s[4:5]
	s_cbranch_execz .LBB1_9353
; %bb.14605:
	s_getpc_b64 s[14:15]
.Lpost_getpc3206:
	s_add_u32 s14, s14, (.LBB1_2323-.Lpost_getpc3206)&4294967295
	s_addc_u32 s15, s15, (.LBB1_2323-.Lpost_getpc3206)>>32
	s_setpc_b64 s[14:15]
.LBB1_9353:
	s_getpc_b64 s[14:15]
.Lpost_getpc580:
	s_add_u32 s14, s14, (.LBB1_2324-.Lpost_getpc580)&4294967295
	s_addc_u32 s15, s15, (.LBB1_2324-.Lpost_getpc580)>>32
	s_setpc_b64 s[14:15]
.LBB1_6421:
	s_movk_i32 s4, 0x80
	v_cmp_eq_u16_e32 vcc, s4, v22
	s_mov_b64 s[4:5], -1
                                        ; implicit-def: $sgpr10
	s_and_saveexec_b64 s[8:9], vcc
; %bb.6422:
	s_mov_b32 s10, 0x7f800001
	s_xor_b64 s[4:5], exec, -1
; %bb.6423:
	s_or_b64 exec, exec, s[8:9]
	s_and_b64 s[4:5], s[4:5], exec
                                        ; implicit-def: $vgpr22
	s_or_saveexec_b64 s[6:7], s[6:7]
	v_mov_b32_e32 v23, s10
	s_xor_b64 exec, exec, s[6:7]
	s_cbranch_execnz .LBB1_6424
; %bb.14607:
	s_getpc_b64 s[14:15]
.Lpost_getpc3207:
	s_add_u32 s14, s14, (.LBB1_2326-.Lpost_getpc3207)&4294967295
	s_addc_u32 s15, s15, (.LBB1_2326-.Lpost_getpc3207)>>32
	s_setpc_b64 s[14:15]
.LBB1_6424:
	v_cmp_ne_u16_e32 vcc, 0, v22
	s_andn2_b64 s[4:5], s[4:5], exec
	s_and_b64 s[8:9], vcc, exec
	v_mov_b32_e32 v23, 0
	s_or_b64 s[4:5], s[4:5], s[8:9]
	s_or_b64 exec, exec, s[6:7]
	s_and_saveexec_b64 s[6:7], s[4:5]
	s_cbranch_execz .LBB1_9355
; %bb.14609:
	s_getpc_b64 s[14:15]
.Lpost_getpc3208:
	s_add_u32 s14, s14, (.LBB1_2327-.Lpost_getpc3208)&4294967295
	s_addc_u32 s15, s15, (.LBB1_2327-.Lpost_getpc3208)>>32
	s_setpc_b64 s[14:15]
.LBB1_9355:
	s_getpc_b64 s[14:15]
.Lpost_getpc581:
	s_add_u32 s14, s14, (.LBB1_2328-.Lpost_getpc581)&4294967295
	s_addc_u32 s15, s15, (.LBB1_2328-.Lpost_getpc581)>>32
	s_setpc_b64 s[14:15]
.LBB1_6425:
	s_movk_i32 s4, 0x80
	v_cmp_eq_u16_sdwa s[12:13], v16, s4 src0_sel:BYTE_3 src1_sel:DWORD
	s_mov_b64 s[4:5], -1
                                        ; implicit-def: $sgpr10
	s_and_saveexec_b64 s[8:9], s[12:13]
; %bb.6426:
	s_mov_b32 s10, 0x7f800001
	s_xor_b64 s[4:5], exec, -1
; %bb.6427:
	s_or_b64 exec, exec, s[8:9]
	s_and_b64 s[4:5], s[4:5], exec
	s_or_saveexec_b64 s[6:7], s[6:7]
	v_mov_b32_e32 v21, s10
	s_xor_b64 exec, exec, s[6:7]
	s_cbranch_execnz .LBB1_6428
; %bb.14611:
	s_getpc_b64 s[14:15]
.Lpost_getpc3209:
	s_add_u32 s14, s14, (.LBB1_2330-.Lpost_getpc3209)&4294967295
	s_addc_u32 s15, s15, (.LBB1_2330-.Lpost_getpc3209)>>32
	s_setpc_b64 s[14:15]
.LBB1_6428:
	v_mov_b32_e32 v21, 0
	v_cmp_ne_u16_sdwa s[8:9], v16, v21 src0_sel:BYTE_3 src1_sel:DWORD
	s_andn2_b64 s[4:5], s[4:5], exec
	s_and_b64 s[8:9], s[8:9], exec
	s_or_b64 s[4:5], s[4:5], s[8:9]
	s_or_b64 exec, exec, s[6:7]
	s_and_saveexec_b64 s[6:7], s[4:5]
	s_cbranch_execz .LBB1_9357
; %bb.14613:
	s_getpc_b64 s[14:15]
.Lpost_getpc3210:
	s_add_u32 s14, s14, (.LBB1_2331-.Lpost_getpc3210)&4294967295
	s_addc_u32 s15, s15, (.LBB1_2331-.Lpost_getpc3210)>>32
	s_setpc_b64 s[14:15]
.LBB1_9357:
	s_getpc_b64 s[14:15]
.Lpost_getpc582:
	s_add_u32 s14, s14, (.LBB1_2332-.Lpost_getpc582)&4294967295
	s_addc_u32 s15, s15, (.LBB1_2332-.Lpost_getpc582)>>32
	s_setpc_b64 s[14:15]
.LBB1_6429:
	s_movk_i32 s4, 0x80
	v_cmp_eq_u16_sdwa s[12:13], v12, s4 src0_sel:BYTE_3 src1_sel:DWORD
	s_mov_b64 s[4:5], -1
                                        ; implicit-def: $sgpr10
	s_and_saveexec_b64 s[8:9], s[12:13]
; %bb.6430:
	s_mov_b32 s10, 0x7f800001
	s_xor_b64 s[4:5], exec, -1
; %bb.6431:
	s_or_b64 exec, exec, s[8:9]
	s_and_b64 s[4:5], s[4:5], exec
	s_or_saveexec_b64 s[6:7], s[6:7]
	v_mov_b32_e32 v16, s10
	s_xor_b64 exec, exec, s[6:7]
	s_cbranch_execnz .LBB1_6432
; %bb.14615:
	s_getpc_b64 s[14:15]
.Lpost_getpc3211:
	s_add_u32 s14, s14, (.LBB1_2334-.Lpost_getpc3211)&4294967295
	s_addc_u32 s15, s15, (.LBB1_2334-.Lpost_getpc3211)>>32
	s_setpc_b64 s[14:15]
.LBB1_6432:
	v_mov_b32_e32 v16, 0
	v_cmp_ne_u16_sdwa s[8:9], v12, v16 src0_sel:BYTE_3 src1_sel:DWORD
	s_andn2_b64 s[4:5], s[4:5], exec
	s_and_b64 s[8:9], s[8:9], exec
	s_or_b64 s[4:5], s[4:5], s[8:9]
	s_or_b64 exec, exec, s[6:7]
	s_and_saveexec_b64 s[6:7], s[4:5]
	s_cbranch_execz .LBB1_9359
; %bb.14617:
	s_getpc_b64 s[14:15]
.Lpost_getpc3212:
	s_add_u32 s14, s14, (.LBB1_2335-.Lpost_getpc3212)&4294967295
	s_addc_u32 s15, s15, (.LBB1_2335-.Lpost_getpc3212)>>32
	s_setpc_b64 s[14:15]
.LBB1_9359:
	s_getpc_b64 s[14:15]
.Lpost_getpc583:
	s_add_u32 s14, s14, (.LBB1_2336-.Lpost_getpc583)&4294967295
	s_addc_u32 s15, s15, (.LBB1_2336-.Lpost_getpc583)>>32
	s_setpc_b64 s[14:15]
.LBB1_6433:
	s_movk_i32 s4, 0x80
	v_cmp_eq_u16_sdwa s[12:13], v17, s4 src0_sel:BYTE_0 src1_sel:DWORD
	s_mov_b64 s[4:5], -1
                                        ; implicit-def: $sgpr10
	s_and_saveexec_b64 s[8:9], s[12:13]
; %bb.6434:
	s_mov_b32 s10, 0x7f800001
	s_xor_b64 s[4:5], exec, -1
; %bb.6435:
	s_or_b64 exec, exec, s[8:9]
	s_and_b64 s[4:5], s[4:5], exec
	s_or_saveexec_b64 s[6:7], s[6:7]
	v_mov_b32_e32 v12, s10
	s_xor_b64 exec, exec, s[6:7]
	s_cbranch_execnz .LBB1_6436
; %bb.14619:
	s_getpc_b64 s[14:15]
.Lpost_getpc3213:
	s_add_u32 s14, s14, (.LBB1_2338-.Lpost_getpc3213)&4294967295
	s_addc_u32 s15, s15, (.LBB1_2338-.Lpost_getpc3213)>>32
	s_setpc_b64 s[14:15]
.LBB1_6436:
	v_mov_b32_e32 v12, 0
	v_cmp_ne_u16_sdwa s[8:9], v17, v12 src0_sel:BYTE_0 src1_sel:DWORD
	s_andn2_b64 s[4:5], s[4:5], exec
	s_and_b64 s[8:9], s[8:9], exec
	s_or_b64 s[4:5], s[4:5], s[8:9]
	s_or_b64 exec, exec, s[6:7]
	s_and_saveexec_b64 s[6:7], s[4:5]
	s_cbranch_execz .LBB1_9361
; %bb.14621:
	s_getpc_b64 s[14:15]
.Lpost_getpc3214:
	s_add_u32 s14, s14, (.LBB1_2339-.Lpost_getpc3214)&4294967295
	s_addc_u32 s15, s15, (.LBB1_2339-.Lpost_getpc3214)>>32
	s_setpc_b64 s[14:15]
.LBB1_9361:
	s_getpc_b64 s[14:15]
.Lpost_getpc584:
	s_add_u32 s14, s14, (.LBB1_2340-.Lpost_getpc584)&4294967295
	s_addc_u32 s15, s15, (.LBB1_2340-.Lpost_getpc584)>>32
	s_setpc_b64 s[14:15]
.LBB1_6437:
	s_movk_i32 s4, 0x80
	v_cmp_eq_u16_sdwa s[12:13], v13, s4 src0_sel:BYTE_0 src1_sel:DWORD
	s_mov_b64 s[4:5], -1
                                        ; implicit-def: $sgpr10
	s_and_saveexec_b64 s[8:9], s[12:13]
; %bb.6438:
	s_mov_b32 s10, 0x7f800001
	s_xor_b64 s[4:5], exec, -1
; %bb.6439:
	s_or_b64 exec, exec, s[8:9]
	s_and_b64 s[4:5], s[4:5], exec
	s_or_saveexec_b64 s[6:7], s[6:7]
	v_mov_b32_e32 v16, s10
	s_xor_b64 exec, exec, s[6:7]
	s_cbranch_execnz .LBB1_6440
; %bb.14623:
	s_getpc_b64 s[14:15]
.Lpost_getpc3215:
	s_add_u32 s14, s14, (.LBB1_2342-.Lpost_getpc3215)&4294967295
	s_addc_u32 s15, s15, (.LBB1_2342-.Lpost_getpc3215)>>32
	s_setpc_b64 s[14:15]
.LBB1_6440:
	v_mov_b32_e32 v16, 0
	v_cmp_ne_u16_sdwa s[8:9], v13, v16 src0_sel:BYTE_0 src1_sel:DWORD
	s_andn2_b64 s[4:5], s[4:5], exec
	s_and_b64 s[8:9], s[8:9], exec
	s_or_b64 s[4:5], s[4:5], s[8:9]
	s_or_b64 exec, exec, s[6:7]
	s_and_saveexec_b64 s[6:7], s[4:5]
	s_cbranch_execz .LBB1_9363
; %bb.14625:
	s_getpc_b64 s[14:15]
.Lpost_getpc3216:
	s_add_u32 s14, s14, (.LBB1_2343-.Lpost_getpc3216)&4294967295
	s_addc_u32 s15, s15, (.LBB1_2343-.Lpost_getpc3216)>>32
	s_setpc_b64 s[14:15]
.LBB1_9363:
	s_getpc_b64 s[14:15]
.Lpost_getpc585:
	s_add_u32 s14, s14, (.LBB1_2344-.Lpost_getpc585)&4294967295
	s_addc_u32 s15, s15, (.LBB1_2344-.Lpost_getpc585)>>32
	s_setpc_b64 s[14:15]
.LBB1_6441:
	s_movk_i32 s4, 0x80
	v_cmp_eq_u16_sdwa s[12:13], v16, s4 src0_sel:BYTE_0 src1_sel:DWORD
	s_mov_b64 s[4:5], -1
                                        ; implicit-def: $sgpr10
	s_and_saveexec_b64 s[8:9], s[12:13]
; %bb.6442:
	s_mov_b32 s10, 0x7f800001
	s_xor_b64 s[4:5], exec, -1
; %bb.6443:
	s_or_b64 exec, exec, s[8:9]
	s_and_b64 s[4:5], s[4:5], exec
	s_or_saveexec_b64 s[6:7], s[6:7]
	v_mov_b32_e32 v12, s10
	s_xor_b64 exec, exec, s[6:7]
	s_cbranch_execnz .LBB1_6444
; %bb.14627:
	s_getpc_b64 s[14:15]
.Lpost_getpc3217:
	s_add_u32 s14, s14, (.LBB1_2346-.Lpost_getpc3217)&4294967295
	s_addc_u32 s15, s15, (.LBB1_2346-.Lpost_getpc3217)>>32
	s_setpc_b64 s[14:15]
.LBB1_6444:
	v_mov_b32_e32 v12, 0
	v_cmp_ne_u16_sdwa s[8:9], v16, v12 src0_sel:BYTE_0 src1_sel:DWORD
	s_andn2_b64 s[4:5], s[4:5], exec
	s_and_b64 s[8:9], s[8:9], exec
	s_or_b64 s[4:5], s[4:5], s[8:9]
	s_or_b64 exec, exec, s[6:7]
	s_and_saveexec_b64 s[6:7], s[4:5]
	s_cbranch_execz .LBB1_9365
; %bb.14629:
	s_getpc_b64 s[14:15]
.Lpost_getpc3218:
	s_add_u32 s14, s14, (.LBB1_2347-.Lpost_getpc3218)&4294967295
	s_addc_u32 s15, s15, (.LBB1_2347-.Lpost_getpc3218)>>32
	s_setpc_b64 s[14:15]
.LBB1_9365:
	s_getpc_b64 s[14:15]
.Lpost_getpc586:
	s_add_u32 s14, s14, (.LBB1_2348-.Lpost_getpc586)&4294967295
	s_addc_u32 s15, s15, (.LBB1_2348-.Lpost_getpc586)>>32
	s_setpc_b64 s[14:15]
.LBB1_6445:
	s_movk_i32 s4, 0x80
	v_cmp_eq_u16_sdwa s[12:13], v16, s4 src0_sel:BYTE_0 src1_sel:DWORD
	s_mov_b64 s[4:5], -1
                                        ; implicit-def: $sgpr10
	s_and_saveexec_b64 s[8:9], s[12:13]
; %bb.6446:
	s_mov_b32 s10, 0x7f800001
	s_xor_b64 s[4:5], exec, -1
; %bb.6447:
	s_or_b64 exec, exec, s[8:9]
	s_and_b64 s[4:5], s[4:5], exec
	s_or_saveexec_b64 s[6:7], s[6:7]
	v_mov_b32_e32 v21, s10
	s_xor_b64 exec, exec, s[6:7]
	s_cbranch_execnz .LBB1_6448
; %bb.14631:
	s_getpc_b64 s[14:15]
.Lpost_getpc3219:
	s_add_u32 s14, s14, (.LBB1_2350-.Lpost_getpc3219)&4294967295
	s_addc_u32 s15, s15, (.LBB1_2350-.Lpost_getpc3219)>>32
	s_setpc_b64 s[14:15]
.LBB1_6448:
	v_mov_b32_e32 v21, 0
	v_cmp_ne_u16_sdwa s[8:9], v16, v21 src0_sel:BYTE_0 src1_sel:DWORD
	s_andn2_b64 s[4:5], s[4:5], exec
	s_and_b64 s[8:9], s[8:9], exec
	s_or_b64 s[4:5], s[4:5], s[8:9]
	s_or_b64 exec, exec, s[6:7]
	s_and_saveexec_b64 s[6:7], s[4:5]
	s_cbranch_execz .LBB1_9367
; %bb.14633:
	s_getpc_b64 s[14:15]
.Lpost_getpc3220:
	s_add_u32 s14, s14, (.LBB1_2351-.Lpost_getpc3220)&4294967295
	s_addc_u32 s15, s15, (.LBB1_2351-.Lpost_getpc3220)>>32
	s_setpc_b64 s[14:15]
.LBB1_9367:
	s_getpc_b64 s[14:15]
.Lpost_getpc587:
	s_add_u32 s14, s14, (.LBB1_2352-.Lpost_getpc587)&4294967295
	s_addc_u32 s15, s15, (.LBB1_2352-.Lpost_getpc587)>>32
	s_setpc_b64 s[14:15]
.LBB1_6449:
	s_movk_i32 s4, 0x80
	v_cmp_eq_u16_e32 vcc, s4, v16
	s_mov_b64 s[4:5], -1
                                        ; implicit-def: $sgpr10
	s_and_saveexec_b64 s[8:9], vcc
; %bb.6450:
	s_mov_b32 s10, 0x7f800001
	s_xor_b64 s[4:5], exec, -1
; %bb.6451:
	s_or_b64 exec, exec, s[8:9]
	s_and_b64 s[4:5], s[4:5], exec
                                        ; implicit-def: $vgpr16
	s_or_saveexec_b64 s[6:7], s[6:7]
	v_mov_b32_e32 v12, s10
	s_xor_b64 exec, exec, s[6:7]
	s_cbranch_execnz .LBB1_6452
; %bb.14635:
	s_getpc_b64 s[14:15]
.Lpost_getpc3221:
	s_add_u32 s14, s14, (.LBB1_2354-.Lpost_getpc3221)&4294967295
	s_addc_u32 s15, s15, (.LBB1_2354-.Lpost_getpc3221)>>32
	s_setpc_b64 s[14:15]
.LBB1_6452:
	v_cmp_ne_u16_e32 vcc, 0, v16
	s_andn2_b64 s[4:5], s[4:5], exec
	s_and_b64 s[8:9], vcc, exec
	v_mov_b32_e32 v12, 0
	s_or_b64 s[4:5], s[4:5], s[8:9]
	s_or_b64 exec, exec, s[6:7]
	s_and_saveexec_b64 s[6:7], s[4:5]
	s_cbranch_execz .LBB1_9369
; %bb.14637:
	s_getpc_b64 s[14:15]
.Lpost_getpc3222:
	s_add_u32 s14, s14, (.LBB1_2355-.Lpost_getpc3222)&4294967295
	s_addc_u32 s15, s15, (.LBB1_2355-.Lpost_getpc3222)>>32
	s_setpc_b64 s[14:15]
.LBB1_9369:
	s_getpc_b64 s[14:15]
.Lpost_getpc588:
	s_add_u32 s14, s14, (.LBB1_2356-.Lpost_getpc588)&4294967295
	s_addc_u32 s15, s15, (.LBB1_2356-.Lpost_getpc588)>>32
	s_setpc_b64 s[14:15]
.LBB1_6453:
	s_movk_i32 s4, 0x80
	v_cmp_eq_u16_e32 vcc, s4, v16
	s_mov_b64 s[4:5], -1
                                        ; implicit-def: $sgpr10
	s_and_saveexec_b64 s[8:9], vcc
; %bb.6454:
	s_mov_b32 s10, 0x7f800001
	s_xor_b64 s[4:5], exec, -1
; %bb.6455:
	s_or_b64 exec, exec, s[8:9]
	s_and_b64 s[4:5], s[4:5], exec
                                        ; implicit-def: $vgpr16
	s_or_saveexec_b64 s[6:7], s[6:7]
	v_mov_b32_e32 v21, s10
	s_xor_b64 exec, exec, s[6:7]
	s_cbranch_execnz .LBB1_6456
; %bb.14639:
	s_getpc_b64 s[14:15]
.Lpost_getpc3223:
	s_add_u32 s14, s14, (.LBB1_2358-.Lpost_getpc3223)&4294967295
	s_addc_u32 s15, s15, (.LBB1_2358-.Lpost_getpc3223)>>32
	s_setpc_b64 s[14:15]
.LBB1_6456:
	v_cmp_ne_u16_e32 vcc, 0, v16
	s_andn2_b64 s[4:5], s[4:5], exec
	s_and_b64 s[8:9], vcc, exec
	v_mov_b32_e32 v21, 0
	s_or_b64 s[4:5], s[4:5], s[8:9]
	s_or_b64 exec, exec, s[6:7]
	s_and_saveexec_b64 s[6:7], s[4:5]
	s_cbranch_execz .LBB1_9371
; %bb.14641:
	s_getpc_b64 s[14:15]
.Lpost_getpc3224:
	s_add_u32 s14, s14, (.LBB1_2359-.Lpost_getpc3224)&4294967295
	s_addc_u32 s15, s15, (.LBB1_2359-.Lpost_getpc3224)>>32
	s_setpc_b64 s[14:15]
.LBB1_9371:
	s_getpc_b64 s[14:15]
.Lpost_getpc589:
	s_add_u32 s14, s14, (.LBB1_2360-.Lpost_getpc589)&4294967295
	s_addc_u32 s15, s15, (.LBB1_2360-.Lpost_getpc589)>>32
	s_setpc_b64 s[14:15]
.LBB1_6457:
	s_movk_i32 s4, 0x80
	v_cmp_eq_u16_sdwa s[12:13], v17, s4 src0_sel:BYTE_3 src1_sel:DWORD
	s_mov_b64 s[4:5], -1
                                        ; implicit-def: $sgpr10
	s_and_saveexec_b64 s[8:9], s[12:13]
; %bb.6458:
	s_mov_b32 s10, 0x7f800001
	s_xor_b64 s[4:5], exec, -1
; %bb.6459:
	s_or_b64 exec, exec, s[8:9]
	s_and_b64 s[4:5], s[4:5], exec
	s_or_saveexec_b64 s[6:7], s[6:7]
	v_mov_b32_e32 v12, s10
	s_xor_b64 exec, exec, s[6:7]
	s_cbranch_execnz .LBB1_6460
; %bb.14643:
	s_getpc_b64 s[14:15]
.Lpost_getpc3225:
	s_add_u32 s14, s14, (.LBB1_2362-.Lpost_getpc3225)&4294967295
	s_addc_u32 s15, s15, (.LBB1_2362-.Lpost_getpc3225)>>32
	s_setpc_b64 s[14:15]
.LBB1_6460:
	v_mov_b32_e32 v12, 0
	v_cmp_ne_u16_sdwa s[8:9], v17, v12 src0_sel:BYTE_3 src1_sel:DWORD
	s_andn2_b64 s[4:5], s[4:5], exec
	s_and_b64 s[8:9], s[8:9], exec
	s_or_b64 s[4:5], s[4:5], s[8:9]
	s_or_b64 exec, exec, s[6:7]
	s_and_saveexec_b64 s[6:7], s[4:5]
	s_cbranch_execz .LBB1_9373
; %bb.14645:
	s_getpc_b64 s[14:15]
.Lpost_getpc3226:
	s_add_u32 s14, s14, (.LBB1_2363-.Lpost_getpc3226)&4294967295
	s_addc_u32 s15, s15, (.LBB1_2363-.Lpost_getpc3226)>>32
	s_setpc_b64 s[14:15]
.LBB1_9373:
	s_getpc_b64 s[14:15]
.Lpost_getpc590:
	s_add_u32 s14, s14, (.LBB1_2364-.Lpost_getpc590)&4294967295
	s_addc_u32 s15, s15, (.LBB1_2364-.Lpost_getpc590)>>32
	s_setpc_b64 s[14:15]
.LBB1_6461:
	s_movk_i32 s4, 0x80
	v_cmp_eq_u16_sdwa s[12:13], v13, s4 src0_sel:BYTE_3 src1_sel:DWORD
	s_mov_b64 s[4:5], -1
                                        ; implicit-def: $sgpr10
	s_and_saveexec_b64 s[8:9], s[12:13]
; %bb.6462:
	s_mov_b32 s10, 0x7f800001
	s_xor_b64 s[4:5], exec, -1
; %bb.6463:
	s_or_b64 exec, exec, s[8:9]
	s_and_b64 s[4:5], s[4:5], exec
	s_or_saveexec_b64 s[6:7], s[6:7]
	v_mov_b32_e32 v16, s10
	s_xor_b64 exec, exec, s[6:7]
	s_cbranch_execnz .LBB1_6464
; %bb.14647:
	s_getpc_b64 s[14:15]
.Lpost_getpc3227:
	s_add_u32 s14, s14, (.LBB1_2366-.Lpost_getpc3227)&4294967295
	s_addc_u32 s15, s15, (.LBB1_2366-.Lpost_getpc3227)>>32
	s_setpc_b64 s[14:15]
.LBB1_6464:
	v_mov_b32_e32 v16, 0
	v_cmp_ne_u16_sdwa s[8:9], v13, v16 src0_sel:BYTE_3 src1_sel:DWORD
	s_andn2_b64 s[4:5], s[4:5], exec
	s_and_b64 s[8:9], s[8:9], exec
	s_or_b64 s[4:5], s[4:5], s[8:9]
	s_or_b64 exec, exec, s[6:7]
	s_and_saveexec_b64 s[6:7], s[4:5]
	s_cbranch_execz .LBB1_9375
; %bb.14649:
	s_getpc_b64 s[14:15]
.Lpost_getpc3228:
	s_add_u32 s14, s14, (.LBB1_2367-.Lpost_getpc3228)&4294967295
	s_addc_u32 s15, s15, (.LBB1_2367-.Lpost_getpc3228)>>32
	s_setpc_b64 s[14:15]
.LBB1_9375:
	s_getpc_b64 s[14:15]
.Lpost_getpc591:
	s_add_u32 s14, s14, (.LBB1_2368-.Lpost_getpc591)&4294967295
	s_addc_u32 s15, s15, (.LBB1_2368-.Lpost_getpc591)>>32
	s_setpc_b64 s[14:15]
.LBB1_6465:
	s_movk_i32 s4, 0x80
	v_cmp_eq_u16_sdwa s[12:13], v18, s4 src0_sel:BYTE_0 src1_sel:DWORD
	s_mov_b64 s[4:5], -1
                                        ; implicit-def: $sgpr10
	s_and_saveexec_b64 s[8:9], s[12:13]
; %bb.6466:
	s_mov_b32 s10, 0x7f800001
	s_xor_b64 s[4:5], exec, -1
; %bb.6467:
	s_or_b64 exec, exec, s[8:9]
	s_and_b64 s[4:5], s[4:5], exec
	s_or_saveexec_b64 s[6:7], s[6:7]
	v_mov_b32_e32 v13, s10
	s_xor_b64 exec, exec, s[6:7]
	s_cbranch_execnz .LBB1_6468
; %bb.14651:
	s_getpc_b64 s[14:15]
.Lpost_getpc3229:
	s_add_u32 s14, s14, (.LBB1_2370-.Lpost_getpc3229)&4294967295
	s_addc_u32 s15, s15, (.LBB1_2370-.Lpost_getpc3229)>>32
	s_setpc_b64 s[14:15]
.LBB1_6468:
	v_mov_b32_e32 v13, 0
	v_cmp_ne_u16_sdwa s[8:9], v18, v13 src0_sel:BYTE_0 src1_sel:DWORD
	s_andn2_b64 s[4:5], s[4:5], exec
	s_and_b64 s[8:9], s[8:9], exec
	s_or_b64 s[4:5], s[4:5], s[8:9]
	s_or_b64 exec, exec, s[6:7]
	s_and_saveexec_b64 s[6:7], s[4:5]
	s_cbranch_execz .LBB1_9377
; %bb.14653:
	s_getpc_b64 s[14:15]
.Lpost_getpc3230:
	s_add_u32 s14, s14, (.LBB1_2371-.Lpost_getpc3230)&4294967295
	s_addc_u32 s15, s15, (.LBB1_2371-.Lpost_getpc3230)>>32
	s_setpc_b64 s[14:15]
.LBB1_9377:
	s_getpc_b64 s[14:15]
.Lpost_getpc592:
	s_add_u32 s14, s14, (.LBB1_2372-.Lpost_getpc592)&4294967295
	s_addc_u32 s15, s15, (.LBB1_2372-.Lpost_getpc592)>>32
	s_setpc_b64 s[14:15]
.LBB1_6469:
	s_movk_i32 s4, 0x80
	v_cmp_eq_u16_sdwa s[12:13], v16, s4 src0_sel:BYTE_0 src1_sel:DWORD
	s_mov_b64 s[4:5], -1
                                        ; implicit-def: $sgpr10
	s_and_saveexec_b64 s[8:9], s[12:13]
; %bb.6470:
	s_mov_b32 s10, 0x7f800001
	s_xor_b64 s[4:5], exec, -1
; %bb.6471:
	s_or_b64 exec, exec, s[8:9]
	s_and_b64 s[4:5], s[4:5], exec
	s_or_saveexec_b64 s[6:7], s[6:7]
	v_mov_b32_e32 v14, s10
	s_xor_b64 exec, exec, s[6:7]
	s_cbranch_execnz .LBB1_6472
; %bb.14655:
	s_getpc_b64 s[14:15]
.Lpost_getpc3231:
	s_add_u32 s14, s14, (.LBB1_2374-.Lpost_getpc3231)&4294967295
	s_addc_u32 s15, s15, (.LBB1_2374-.Lpost_getpc3231)>>32
	s_setpc_b64 s[14:15]
.LBB1_6472:
	v_mov_b32_e32 v14, 0
	v_cmp_ne_u16_sdwa s[8:9], v16, v14 src0_sel:BYTE_0 src1_sel:DWORD
	s_andn2_b64 s[4:5], s[4:5], exec
	s_and_b64 s[8:9], s[8:9], exec
	s_or_b64 s[4:5], s[4:5], s[8:9]
	s_or_b64 exec, exec, s[6:7]
	v_or_b32_sdwa v12, v16, v12 dst_sel:DWORD dst_unused:UNUSED_PAD src0_sel:WORD_0 src1_sel:DWORD
	s_and_saveexec_b64 s[6:7], s[4:5]
	s_cbranch_execz .LBB1_9379
; %bb.14657:
	s_getpc_b64 s[14:15]
.Lpost_getpc3232:
	s_add_u32 s14, s14, (.LBB1_2375-.Lpost_getpc3232)&4294967295
	s_addc_u32 s15, s15, (.LBB1_2375-.Lpost_getpc3232)>>32
	s_setpc_b64 s[14:15]
.LBB1_9379:
	s_getpc_b64 s[14:15]
.Lpost_getpc593:
	s_add_u32 s14, s14, (.LBB1_2376-.Lpost_getpc593)&4294967295
	s_addc_u32 s15, s15, (.LBB1_2376-.Lpost_getpc593)>>32
	s_setpc_b64 s[14:15]
.LBB1_6473:
	s_movk_i32 s4, 0x80
	v_cmp_eq_u16_sdwa s[12:13], v14, s4 src0_sel:BYTE_0 src1_sel:DWORD
	s_mov_b64 s[4:5], -1
                                        ; implicit-def: $sgpr10
	s_and_saveexec_b64 s[8:9], s[12:13]
; %bb.6474:
	s_mov_b32 s10, 0x7f800001
	s_xor_b64 s[4:5], exec, -1
; %bb.6475:
	s_or_b64 exec, exec, s[8:9]
	s_and_b64 s[4:5], s[4:5], exec
	s_or_saveexec_b64 s[6:7], s[6:7]
	v_mov_b32_e32 v13, s10
	s_xor_b64 exec, exec, s[6:7]
	s_cbranch_execnz .LBB1_6476
; %bb.14659:
	s_getpc_b64 s[14:15]
.Lpost_getpc3233:
	s_add_u32 s14, s14, (.LBB1_2378-.Lpost_getpc3233)&4294967295
	s_addc_u32 s15, s15, (.LBB1_2378-.Lpost_getpc3233)>>32
	s_setpc_b64 s[14:15]
.LBB1_6476:
	v_mov_b32_e32 v13, 0
	v_cmp_ne_u16_sdwa s[8:9], v14, v13 src0_sel:BYTE_0 src1_sel:DWORD
	s_andn2_b64 s[4:5], s[4:5], exec
	s_and_b64 s[8:9], s[8:9], exec
	s_or_b64 s[4:5], s[4:5], s[8:9]
	s_or_b64 exec, exec, s[6:7]
	s_and_saveexec_b64 s[6:7], s[4:5]
	s_cbranch_execz .LBB1_9381
; %bb.14661:
	s_getpc_b64 s[14:15]
.Lpost_getpc3234:
	s_add_u32 s14, s14, (.LBB1_2379-.Lpost_getpc3234)&4294967295
	s_addc_u32 s15, s15, (.LBB1_2379-.Lpost_getpc3234)>>32
	s_setpc_b64 s[14:15]
.LBB1_9381:
	s_getpc_b64 s[14:15]
.Lpost_getpc594:
	s_add_u32 s14, s14, (.LBB1_2380-.Lpost_getpc594)&4294967295
	s_addc_u32 s15, s15, (.LBB1_2380-.Lpost_getpc594)>>32
	s_setpc_b64 s[14:15]
.LBB1_6477:
	s_movk_i32 s4, 0x80
	v_cmp_eq_u16_sdwa s[12:13], v14, s4 src0_sel:BYTE_0 src1_sel:DWORD
	s_mov_b64 s[4:5], -1
                                        ; implicit-def: $sgpr10
	s_and_saveexec_b64 s[8:9], s[12:13]
; %bb.6478:
	s_mov_b32 s10, 0x7f800001
	s_xor_b64 s[4:5], exec, -1
; %bb.6479:
	s_or_b64 exec, exec, s[8:9]
	s_and_b64 s[4:5], s[4:5], exec
	s_or_saveexec_b64 s[6:7], s[6:7]
	v_mov_b32_e32 v16, s10
	s_xor_b64 exec, exec, s[6:7]
	s_cbranch_execnz .LBB1_6480
; %bb.14663:
	s_getpc_b64 s[14:15]
.Lpost_getpc3235:
	s_add_u32 s14, s14, (.LBB1_2382-.Lpost_getpc3235)&4294967295
	s_addc_u32 s15, s15, (.LBB1_2382-.Lpost_getpc3235)>>32
	s_setpc_b64 s[14:15]
.LBB1_6480:
	v_mov_b32_e32 v16, 0
	v_cmp_ne_u16_sdwa s[8:9], v14, v16 src0_sel:BYTE_0 src1_sel:DWORD
	s_andn2_b64 s[4:5], s[4:5], exec
	s_and_b64 s[8:9], s[8:9], exec
	s_or_b64 s[4:5], s[4:5], s[8:9]
	s_or_b64 exec, exec, s[6:7]
	s_and_saveexec_b64 s[6:7], s[4:5]
	s_cbranch_execz .LBB1_9383
; %bb.14665:
	s_getpc_b64 s[14:15]
.Lpost_getpc3236:
	s_add_u32 s14, s14, (.LBB1_2383-.Lpost_getpc3236)&4294967295
	s_addc_u32 s15, s15, (.LBB1_2383-.Lpost_getpc3236)>>32
	s_setpc_b64 s[14:15]
.LBB1_9383:
	s_getpc_b64 s[14:15]
.Lpost_getpc595:
	s_add_u32 s14, s14, (.LBB1_2384-.Lpost_getpc595)&4294967295
	s_addc_u32 s15, s15, (.LBB1_2384-.Lpost_getpc595)>>32
	s_setpc_b64 s[14:15]
.LBB1_6481:
	s_movk_i32 s4, 0x80
	v_cmp_eq_u16_e32 vcc, s4, v14
	s_mov_b64 s[4:5], -1
                                        ; implicit-def: $sgpr10
	s_and_saveexec_b64 s[8:9], vcc
; %bb.6482:
	s_mov_b32 s10, 0x7f800001
	s_xor_b64 s[4:5], exec, -1
; %bb.6483:
	s_or_b64 exec, exec, s[8:9]
	s_and_b64 s[4:5], s[4:5], exec
                                        ; implicit-def: $vgpr14
	s_or_saveexec_b64 s[6:7], s[6:7]
	v_mov_b32_e32 v13, s10
	s_xor_b64 exec, exec, s[6:7]
	s_cbranch_execnz .LBB1_6484
; %bb.14667:
	s_getpc_b64 s[14:15]
.Lpost_getpc3237:
	s_add_u32 s14, s14, (.LBB1_2386-.Lpost_getpc3237)&4294967295
	s_addc_u32 s15, s15, (.LBB1_2386-.Lpost_getpc3237)>>32
	s_setpc_b64 s[14:15]
.LBB1_6484:
	v_cmp_ne_u16_e32 vcc, 0, v14
	s_andn2_b64 s[4:5], s[4:5], exec
	s_and_b64 s[8:9], vcc, exec
	v_mov_b32_e32 v13, 0
	s_or_b64 s[4:5], s[4:5], s[8:9]
	s_or_b64 exec, exec, s[6:7]
	s_and_saveexec_b64 s[6:7], s[4:5]
	s_cbranch_execz .LBB1_9385
; %bb.14669:
	s_getpc_b64 s[14:15]
.Lpost_getpc3238:
	s_add_u32 s14, s14, (.LBB1_2387-.Lpost_getpc3238)&4294967295
	s_addc_u32 s15, s15, (.LBB1_2387-.Lpost_getpc3238)>>32
	s_setpc_b64 s[14:15]
.LBB1_9385:
	s_getpc_b64 s[14:15]
.Lpost_getpc596:
	s_add_u32 s14, s14, (.LBB1_2388-.Lpost_getpc596)&4294967295
	s_addc_u32 s15, s15, (.LBB1_2388-.Lpost_getpc596)>>32
	s_setpc_b64 s[14:15]
.LBB1_6485:
	s_movk_i32 s4, 0x80
	v_cmp_eq_u16_e32 vcc, s4, v14
	s_mov_b64 s[4:5], -1
                                        ; implicit-def: $sgpr10
	s_and_saveexec_b64 s[8:9], vcc
; %bb.6486:
	s_mov_b32 s10, 0x7f800001
	s_xor_b64 s[4:5], exec, -1
; %bb.6487:
	s_or_b64 exec, exec, s[8:9]
	s_and_b64 s[4:5], s[4:5], exec
                                        ; implicit-def: $vgpr14
	s_or_saveexec_b64 s[6:7], s[6:7]
	v_mov_b32_e32 v16, s10
	s_xor_b64 exec, exec, s[6:7]
	s_cbranch_execnz .LBB1_6488
; %bb.14671:
	s_getpc_b64 s[14:15]
.Lpost_getpc3239:
	s_add_u32 s14, s14, (.LBB1_2390-.Lpost_getpc3239)&4294967295
	s_addc_u32 s15, s15, (.LBB1_2390-.Lpost_getpc3239)>>32
	s_setpc_b64 s[14:15]
.LBB1_6488:
	v_cmp_ne_u16_e32 vcc, 0, v14
	s_andn2_b64 s[4:5], s[4:5], exec
	s_and_b64 s[8:9], vcc, exec
	v_mov_b32_e32 v16, 0
	s_or_b64 s[4:5], s[4:5], s[8:9]
	s_or_b64 exec, exec, s[6:7]
	s_and_saveexec_b64 s[6:7], s[4:5]
	s_cbranch_execz .LBB1_9387
; %bb.14673:
	s_getpc_b64 s[14:15]
.Lpost_getpc3240:
	s_add_u32 s14, s14, (.LBB1_2391-.Lpost_getpc3240)&4294967295
	s_addc_u32 s15, s15, (.LBB1_2391-.Lpost_getpc3240)>>32
	s_setpc_b64 s[14:15]
.LBB1_9387:
	s_getpc_b64 s[14:15]
.Lpost_getpc597:
	s_add_u32 s14, s14, (.LBB1_2392-.Lpost_getpc597)&4294967295
	s_addc_u32 s15, s15, (.LBB1_2392-.Lpost_getpc597)>>32
	s_setpc_b64 s[14:15]
.LBB1_6489:
	s_movk_i32 s4, 0x80
	v_cmp_eq_u16_sdwa s[12:13], v18, s4 src0_sel:BYTE_3 src1_sel:DWORD
	s_mov_b64 s[4:5], -1
                                        ; implicit-def: $sgpr10
	s_and_saveexec_b64 s[8:9], s[12:13]
; %bb.6490:
	s_mov_b32 s10, 0x7f800001
	s_xor_b64 s[4:5], exec, -1
; %bb.6491:
	s_or_b64 exec, exec, s[8:9]
	s_and_b64 s[4:5], s[4:5], exec
	s_or_saveexec_b64 s[6:7], s[6:7]
	v_mov_b32_e32 v13, s10
	s_xor_b64 exec, exec, s[6:7]
	s_cbranch_execnz .LBB1_6492
; %bb.14675:
	s_getpc_b64 s[14:15]
.Lpost_getpc3241:
	s_add_u32 s14, s14, (.LBB1_2394-.Lpost_getpc3241)&4294967295
	s_addc_u32 s15, s15, (.LBB1_2394-.Lpost_getpc3241)>>32
	s_setpc_b64 s[14:15]
.LBB1_6492:
	v_mov_b32_e32 v13, 0
	v_cmp_ne_u16_sdwa s[8:9], v18, v13 src0_sel:BYTE_3 src1_sel:DWORD
	s_andn2_b64 s[4:5], s[4:5], exec
	s_and_b64 s[8:9], s[8:9], exec
	s_or_b64 s[4:5], s[4:5], s[8:9]
	s_or_b64 exec, exec, s[6:7]
	s_and_saveexec_b64 s[6:7], s[4:5]
	s_cbranch_execz .LBB1_9389
; %bb.14677:
	s_getpc_b64 s[14:15]
.Lpost_getpc3242:
	s_add_u32 s14, s14, (.LBB1_2395-.Lpost_getpc3242)&4294967295
	s_addc_u32 s15, s15, (.LBB1_2395-.Lpost_getpc3242)>>32
	s_setpc_b64 s[14:15]
.LBB1_9389:
	s_getpc_b64 s[14:15]
.Lpost_getpc598:
	s_add_u32 s14, s14, (.LBB1_2396-.Lpost_getpc598)&4294967295
	s_addc_u32 s15, s15, (.LBB1_2396-.Lpost_getpc598)>>32
	s_setpc_b64 s[14:15]
.LBB1_6493:
	s_movk_i32 s4, 0x80
	v_cmp_eq_u16_sdwa s[12:13], v12, s4 src0_sel:BYTE_3 src1_sel:DWORD
	s_mov_b64 s[4:5], -1
                                        ; implicit-def: $sgpr10
	s_and_saveexec_b64 s[8:9], s[12:13]
; %bb.6494:
	s_mov_b32 s10, 0x7f800001
	s_xor_b64 s[4:5], exec, -1
; %bb.6495:
	s_or_b64 exec, exec, s[8:9]
	s_and_b64 s[4:5], s[4:5], exec
	s_or_saveexec_b64 s[6:7], s[6:7]
	v_mov_b32_e32 v14, s10
	s_xor_b64 exec, exec, s[6:7]
	s_cbranch_execnz .LBB1_6496
; %bb.14679:
	s_getpc_b64 s[14:15]
.Lpost_getpc3243:
	s_add_u32 s14, s14, (.LBB1_2398-.Lpost_getpc3243)&4294967295
	s_addc_u32 s15, s15, (.LBB1_2398-.Lpost_getpc3243)>>32
	s_setpc_b64 s[14:15]
.LBB1_6496:
	v_mov_b32_e32 v14, 0
	v_cmp_ne_u16_sdwa s[8:9], v12, v14 src0_sel:BYTE_3 src1_sel:DWORD
	s_andn2_b64 s[4:5], s[4:5], exec
	s_and_b64 s[8:9], s[8:9], exec
	s_or_b64 s[4:5], s[4:5], s[8:9]
	s_or_b64 exec, exec, s[6:7]
	s_and_saveexec_b64 s[6:7], s[4:5]
	s_cbranch_execz .LBB1_9391
; %bb.14681:
	s_getpc_b64 s[14:15]
.Lpost_getpc3244:
	s_add_u32 s14, s14, (.LBB1_2399-.Lpost_getpc3244)&4294967295
	s_addc_u32 s15, s15, (.LBB1_2399-.Lpost_getpc3244)>>32
	s_setpc_b64 s[14:15]
.LBB1_9391:
	s_getpc_b64 s[14:15]
.Lpost_getpc599:
	s_add_u32 s14, s14, (.LBB1_2400-.Lpost_getpc599)&4294967295
	s_addc_u32 s15, s15, (.LBB1_2400-.Lpost_getpc599)>>32
	s_setpc_b64 s[14:15]
.LBB1_6497:
	s_movk_i32 s4, 0x80
	v_cmp_eq_u16_sdwa s[12:13], v19, s4 src0_sel:BYTE_0 src1_sel:DWORD
	s_mov_b64 s[4:5], -1
                                        ; implicit-def: $sgpr10
	s_and_saveexec_b64 s[8:9], s[12:13]
; %bb.6498:
	s_mov_b32 s10, 0x7f800001
	s_xor_b64 s[4:5], exec, -1
; %bb.6499:
	s_or_b64 exec, exec, s[8:9]
	s_and_b64 s[4:5], s[4:5], exec
	s_or_saveexec_b64 s[6:7], s[6:7]
	v_mov_b32_e32 v12, s10
	s_xor_b64 exec, exec, s[6:7]
	s_cbranch_execnz .LBB1_6500
; %bb.14683:
	s_getpc_b64 s[14:15]
.Lpost_getpc3245:
	s_add_u32 s14, s14, (.LBB1_2402-.Lpost_getpc3245)&4294967295
	s_addc_u32 s15, s15, (.LBB1_2402-.Lpost_getpc3245)>>32
	s_setpc_b64 s[14:15]
.LBB1_6500:
	v_mov_b32_e32 v12, 0
	v_cmp_ne_u16_sdwa s[8:9], v19, v12 src0_sel:BYTE_0 src1_sel:DWORD
	s_andn2_b64 s[4:5], s[4:5], exec
	s_and_b64 s[8:9], s[8:9], exec
	s_or_b64 s[4:5], s[4:5], s[8:9]
	s_or_b64 exec, exec, s[6:7]
	s_and_saveexec_b64 s[6:7], s[4:5]
	s_cbranch_execz .LBB1_9393
; %bb.14685:
	s_getpc_b64 s[14:15]
.Lpost_getpc3246:
	s_add_u32 s14, s14, (.LBB1_2403-.Lpost_getpc3246)&4294967295
	s_addc_u32 s15, s15, (.LBB1_2403-.Lpost_getpc3246)>>32
	s_setpc_b64 s[14:15]
.LBB1_9393:
	s_getpc_b64 s[14:15]
.Lpost_getpc600:
	s_add_u32 s14, s14, (.LBB1_2404-.Lpost_getpc600)&4294967295
	s_addc_u32 s15, s15, (.LBB1_2404-.Lpost_getpc600)>>32
	s_setpc_b64 s[14:15]
.LBB1_6501:
	s_movk_i32 s4, 0x80
	v_cmp_eq_u16_sdwa s[12:13], v15, s4 src0_sel:BYTE_0 src1_sel:DWORD
	s_mov_b64 s[4:5], -1
                                        ; implicit-def: $sgpr10
	s_and_saveexec_b64 s[8:9], s[12:13]
; %bb.6502:
	s_mov_b32 s10, 0x7f800001
	s_xor_b64 s[4:5], exec, -1
; %bb.6503:
	s_or_b64 exec, exec, s[8:9]
	s_and_b64 s[4:5], s[4:5], exec
	s_or_saveexec_b64 s[6:7], s[6:7]
	v_mov_b32_e32 v13, s10
	s_xor_b64 exec, exec, s[6:7]
	s_cbranch_execnz .LBB1_6504
; %bb.14687:
	s_getpc_b64 s[14:15]
.Lpost_getpc3247:
	s_add_u32 s14, s14, (.LBB1_2406-.Lpost_getpc3247)&4294967295
	s_addc_u32 s15, s15, (.LBB1_2406-.Lpost_getpc3247)>>32
	s_setpc_b64 s[14:15]
.LBB1_6504:
	v_mov_b32_e32 v13, 0
	v_cmp_ne_u16_sdwa s[8:9], v15, v13 src0_sel:BYTE_0 src1_sel:DWORD
	s_andn2_b64 s[4:5], s[4:5], exec
	s_and_b64 s[8:9], s[8:9], exec
	s_or_b64 s[4:5], s[4:5], s[8:9]
	s_or_b64 exec, exec, s[6:7]
	s_and_saveexec_b64 s[6:7], s[4:5]
	s_cbranch_execz .LBB1_9395
; %bb.14689:
	s_getpc_b64 s[14:15]
.Lpost_getpc3248:
	s_add_u32 s14, s14, (.LBB1_2407-.Lpost_getpc3248)&4294967295
	s_addc_u32 s15, s15, (.LBB1_2407-.Lpost_getpc3248)>>32
	s_setpc_b64 s[14:15]
.LBB1_9395:
	s_getpc_b64 s[14:15]
.Lpost_getpc601:
	s_add_u32 s14, s14, (.LBB1_2408-.Lpost_getpc601)&4294967295
	s_addc_u32 s15, s15, (.LBB1_2408-.Lpost_getpc601)>>32
	s_setpc_b64 s[14:15]
.LBB1_6505:
	s_movk_i32 s4, 0x80
	v_cmp_eq_u16_sdwa s[12:13], v13, s4 src0_sel:BYTE_0 src1_sel:DWORD
	s_mov_b64 s[4:5], -1
                                        ; implicit-def: $sgpr10
	s_and_saveexec_b64 s[8:9], s[12:13]
; %bb.6506:
	s_mov_b32 s10, 0x7f800001
	s_xor_b64 s[4:5], exec, -1
; %bb.6507:
	s_or_b64 exec, exec, s[8:9]
	s_and_b64 s[4:5], s[4:5], exec
	s_or_saveexec_b64 s[6:7], s[6:7]
	v_mov_b32_e32 v12, s10
	s_xor_b64 exec, exec, s[6:7]
	s_cbranch_execnz .LBB1_6508
; %bb.14691:
	s_getpc_b64 s[14:15]
.Lpost_getpc3249:
	s_add_u32 s14, s14, (.LBB1_2410-.Lpost_getpc3249)&4294967295
	s_addc_u32 s15, s15, (.LBB1_2410-.Lpost_getpc3249)>>32
	s_setpc_b64 s[14:15]
.LBB1_6508:
	v_mov_b32_e32 v12, 0
	v_cmp_ne_u16_sdwa s[8:9], v13, v12 src0_sel:BYTE_0 src1_sel:DWORD
	s_andn2_b64 s[4:5], s[4:5], exec
	s_and_b64 s[8:9], s[8:9], exec
	s_or_b64 s[4:5], s[4:5], s[8:9]
	s_or_b64 exec, exec, s[6:7]
	s_and_saveexec_b64 s[6:7], s[4:5]
	s_cbranch_execz .LBB1_9397
; %bb.14693:
	s_getpc_b64 s[14:15]
.Lpost_getpc3250:
	s_add_u32 s14, s14, (.LBB1_2411-.Lpost_getpc3250)&4294967295
	s_addc_u32 s15, s15, (.LBB1_2411-.Lpost_getpc3250)>>32
	s_setpc_b64 s[14:15]
.LBB1_9397:
	s_getpc_b64 s[14:15]
.Lpost_getpc602:
	s_add_u32 s14, s14, (.LBB1_2412-.Lpost_getpc602)&4294967295
	s_addc_u32 s15, s15, (.LBB1_2412-.Lpost_getpc602)>>32
	s_setpc_b64 s[14:15]
.LBB1_6509:
	s_movk_i32 s4, 0x80
	v_cmp_eq_u16_sdwa s[12:13], v13, s4 src0_sel:BYTE_0 src1_sel:DWORD
	s_mov_b64 s[4:5], -1
                                        ; implicit-def: $sgpr10
	s_and_saveexec_b64 s[8:9], s[12:13]
; %bb.6510:
	s_mov_b32 s10, 0x7f800001
	s_xor_b64 s[4:5], exec, -1
; %bb.6511:
	s_or_b64 exec, exec, s[8:9]
	s_and_b64 s[4:5], s[4:5], exec
	s_or_saveexec_b64 s[6:7], s[6:7]
	v_mov_b32_e32 v14, s10
	s_xor_b64 exec, exec, s[6:7]
	s_cbranch_execnz .LBB1_6512
; %bb.14695:
	s_getpc_b64 s[14:15]
.Lpost_getpc3251:
	s_add_u32 s14, s14, (.LBB1_2414-.Lpost_getpc3251)&4294967295
	s_addc_u32 s15, s15, (.LBB1_2414-.Lpost_getpc3251)>>32
	s_setpc_b64 s[14:15]
.LBB1_6512:
	v_mov_b32_e32 v14, 0
	v_cmp_ne_u16_sdwa s[8:9], v13, v14 src0_sel:BYTE_0 src1_sel:DWORD
	s_andn2_b64 s[4:5], s[4:5], exec
	s_and_b64 s[8:9], s[8:9], exec
	s_or_b64 s[4:5], s[4:5], s[8:9]
	s_or_b64 exec, exec, s[6:7]
	s_and_saveexec_b64 s[6:7], s[4:5]
	s_cbranch_execz .LBB1_9399
; %bb.14697:
	s_getpc_b64 s[14:15]
.Lpost_getpc3252:
	s_add_u32 s14, s14, (.LBB1_2415-.Lpost_getpc3252)&4294967295
	s_addc_u32 s15, s15, (.LBB1_2415-.Lpost_getpc3252)>>32
	s_setpc_b64 s[14:15]
.LBB1_9399:
	s_getpc_b64 s[14:15]
.Lpost_getpc603:
	s_add_u32 s14, s14, (.LBB1_2416-.Lpost_getpc603)&4294967295
	s_addc_u32 s15, s15, (.LBB1_2416-.Lpost_getpc603)>>32
	s_setpc_b64 s[14:15]
.LBB1_6513:
	s_movk_i32 s4, 0x80
	v_cmp_eq_u16_e32 vcc, s4, v13
	s_mov_b64 s[4:5], -1
                                        ; implicit-def: $sgpr10
	s_and_saveexec_b64 s[8:9], vcc
; %bb.6514:
	s_mov_b32 s10, 0x7f800001
	s_xor_b64 s[4:5], exec, -1
; %bb.6515:
	s_or_b64 exec, exec, s[8:9]
	s_and_b64 s[4:5], s[4:5], exec
                                        ; implicit-def: $vgpr13
	s_or_saveexec_b64 s[6:7], s[6:7]
	v_mov_b32_e32 v12, s10
	s_xor_b64 exec, exec, s[6:7]
	s_cbranch_execnz .LBB1_6516
; %bb.14699:
	s_getpc_b64 s[14:15]
.Lpost_getpc3253:
	s_add_u32 s14, s14, (.LBB1_2418-.Lpost_getpc3253)&4294967295
	s_addc_u32 s15, s15, (.LBB1_2418-.Lpost_getpc3253)>>32
	s_setpc_b64 s[14:15]
.LBB1_6516:
	v_cmp_ne_u16_e32 vcc, 0, v13
	s_andn2_b64 s[4:5], s[4:5], exec
	s_and_b64 s[8:9], vcc, exec
	v_mov_b32_e32 v12, 0
	s_or_b64 s[4:5], s[4:5], s[8:9]
	s_or_b64 exec, exec, s[6:7]
	s_and_saveexec_b64 s[6:7], s[4:5]
	s_cbranch_execz .LBB1_9401
; %bb.14701:
	s_getpc_b64 s[14:15]
.Lpost_getpc3254:
	s_add_u32 s14, s14, (.LBB1_2419-.Lpost_getpc3254)&4294967295
	s_addc_u32 s15, s15, (.LBB1_2419-.Lpost_getpc3254)>>32
	s_setpc_b64 s[14:15]
.LBB1_9401:
	s_getpc_b64 s[14:15]
.Lpost_getpc604:
	s_add_u32 s14, s14, (.LBB1_2420-.Lpost_getpc604)&4294967295
	s_addc_u32 s15, s15, (.LBB1_2420-.Lpost_getpc604)>>32
	s_setpc_b64 s[14:15]
.LBB1_6517:
	s_movk_i32 s4, 0x80
	v_cmp_eq_u16_e32 vcc, s4, v13
	s_mov_b64 s[4:5], -1
                                        ; implicit-def: $sgpr10
	s_and_saveexec_b64 s[8:9], vcc
; %bb.6518:
	s_mov_b32 s10, 0x7f800001
	s_xor_b64 s[4:5], exec, -1
; %bb.6519:
	s_or_b64 exec, exec, s[8:9]
	s_and_b64 s[4:5], s[4:5], exec
                                        ; implicit-def: $vgpr13
	s_or_saveexec_b64 s[6:7], s[6:7]
	v_mov_b32_e32 v14, s10
	s_xor_b64 exec, exec, s[6:7]
	s_cbranch_execnz .LBB1_6520
; %bb.14703:
	s_getpc_b64 s[14:15]
.Lpost_getpc3255:
	s_add_u32 s14, s14, (.LBB1_2422-.Lpost_getpc3255)&4294967295
	s_addc_u32 s15, s15, (.LBB1_2422-.Lpost_getpc3255)>>32
	s_setpc_b64 s[14:15]
.LBB1_6520:
	v_cmp_ne_u16_e32 vcc, 0, v13
	s_andn2_b64 s[4:5], s[4:5], exec
	s_and_b64 s[8:9], vcc, exec
	v_mov_b32_e32 v14, 0
	s_or_b64 s[4:5], s[4:5], s[8:9]
	s_or_b64 exec, exec, s[6:7]
	s_and_saveexec_b64 s[6:7], s[4:5]
	s_cbranch_execz .LBB1_9403
; %bb.14705:
	s_getpc_b64 s[14:15]
.Lpost_getpc3256:
	s_add_u32 s14, s14, (.LBB1_2423-.Lpost_getpc3256)&4294967295
	s_addc_u32 s15, s15, (.LBB1_2423-.Lpost_getpc3256)>>32
	s_setpc_b64 s[14:15]
.LBB1_9403:
	s_getpc_b64 s[14:15]
.Lpost_getpc605:
	s_add_u32 s14, s14, (.LBB1_2424-.Lpost_getpc605)&4294967295
	s_addc_u32 s15, s15, (.LBB1_2424-.Lpost_getpc605)>>32
	s_setpc_b64 s[14:15]
.LBB1_6521:
	s_movk_i32 s4, 0x80
	v_cmp_eq_u16_sdwa s[12:13], v19, s4 src0_sel:BYTE_3 src1_sel:DWORD
	s_mov_b64 s[4:5], -1
                                        ; implicit-def: $sgpr10
	s_and_saveexec_b64 s[8:9], s[12:13]
; %bb.6522:
	s_mov_b32 s10, 0x7f800001
	s_xor_b64 s[4:5], exec, -1
; %bb.6523:
	s_or_b64 exec, exec, s[8:9]
	s_and_b64 s[4:5], s[4:5], exec
	s_or_saveexec_b64 s[6:7], s[6:7]
	v_mov_b32_e32 v12, s10
	s_xor_b64 exec, exec, s[6:7]
	s_cbranch_execnz .LBB1_6524
; %bb.14707:
	s_getpc_b64 s[14:15]
.Lpost_getpc3257:
	s_add_u32 s14, s14, (.LBB1_2426-.Lpost_getpc3257)&4294967295
	s_addc_u32 s15, s15, (.LBB1_2426-.Lpost_getpc3257)>>32
	s_setpc_b64 s[14:15]
.LBB1_6524:
	v_mov_b32_e32 v12, 0
	v_cmp_ne_u16_sdwa s[8:9], v19, v12 src0_sel:BYTE_3 src1_sel:DWORD
	s_andn2_b64 s[4:5], s[4:5], exec
	s_and_b64 s[8:9], s[8:9], exec
	s_or_b64 s[4:5], s[4:5], s[8:9]
	s_or_b64 exec, exec, s[6:7]
	s_and_saveexec_b64 s[6:7], s[4:5]
	s_cbranch_execz .LBB1_9405
; %bb.14709:
	s_getpc_b64 s[14:15]
.Lpost_getpc3258:
	s_add_u32 s14, s14, (.LBB1_2427-.Lpost_getpc3258)&4294967295
	s_addc_u32 s15, s15, (.LBB1_2427-.Lpost_getpc3258)>>32
	s_setpc_b64 s[14:15]
.LBB1_9405:
	s_getpc_b64 s[14:15]
.Lpost_getpc606:
	s_add_u32 s14, s14, (.LBB1_2428-.Lpost_getpc606)&4294967295
	s_addc_u32 s15, s15, (.LBB1_2428-.Lpost_getpc606)>>32
	s_setpc_b64 s[14:15]
.LBB1_6525:
	s_movk_i32 s4, 0x80
	v_cmp_eq_u16_sdwa s[12:13], v15, s4 src0_sel:BYTE_3 src1_sel:DWORD
	s_mov_b64 s[4:5], -1
                                        ; implicit-def: $sgpr10
	s_and_saveexec_b64 s[8:9], s[12:13]
; %bb.6526:
	s_mov_b32 s10, 0x7f800001
	s_xor_b64 s[4:5], exec, -1
; %bb.6527:
	s_or_b64 exec, exec, s[8:9]
	s_and_b64 s[4:5], s[4:5], exec
	s_or_saveexec_b64 s[6:7], s[6:7]
	v_mov_b32_e32 v13, s10
	s_xor_b64 exec, exec, s[6:7]
	s_cbranch_execnz .LBB1_6528
; %bb.14711:
	s_getpc_b64 s[14:15]
.Lpost_getpc3259:
	s_add_u32 s14, s14, (.LBB1_2430-.Lpost_getpc3259)&4294967295
	s_addc_u32 s15, s15, (.LBB1_2430-.Lpost_getpc3259)>>32
	s_setpc_b64 s[14:15]
.LBB1_6528:
	v_mov_b32_e32 v13, 0
	v_cmp_ne_u16_sdwa s[8:9], v15, v13 src0_sel:BYTE_3 src1_sel:DWORD
	s_andn2_b64 s[4:5], s[4:5], exec
	s_and_b64 s[8:9], s[8:9], exec
	s_or_b64 s[4:5], s[4:5], s[8:9]
	s_or_b64 exec, exec, s[6:7]
	s_and_saveexec_b64 s[6:7], s[4:5]
	s_cbranch_execz .LBB1_9407
; %bb.14713:
	s_getpc_b64 s[14:15]
.Lpost_getpc3260:
	s_add_u32 s14, s14, (.LBB1_2431-.Lpost_getpc3260)&4294967295
	s_addc_u32 s15, s15, (.LBB1_2431-.Lpost_getpc3260)>>32
	s_setpc_b64 s[14:15]
.LBB1_9407:
	s_getpc_b64 s[14:15]
.Lpost_getpc607:
	s_add_u32 s14, s14, (.LBB1_2432-.Lpost_getpc607)&4294967295
	s_addc_u32 s15, s15, (.LBB1_2432-.Lpost_getpc607)>>32
	s_setpc_b64 s[14:15]
.LBB1_6529:
	s_movk_i32 s4, 0x80
	v_cmp_eq_u16_sdwa s[12:13], v16, s4 src0_sel:BYTE_0 src1_sel:DWORD
	s_mov_b64 s[4:5], -1
                                        ; implicit-def: $sgpr10
	s_and_saveexec_b64 s[8:9], s[12:13]
; %bb.6530:
	s_mov_b32 s10, 0x7f800001
	s_xor_b64 s[4:5], exec, -1
; %bb.6531:
	s_or_b64 exec, exec, s[8:9]
	s_and_b64 s[4:5], s[4:5], exec
	s_or_saveexec_b64 s[6:7], s[6:7]
	v_mov_b32_e32 v21, s10
	s_xor_b64 exec, exec, s[6:7]
	s_cbranch_execnz .LBB1_6532
; %bb.14715:
	s_getpc_b64 s[14:15]
.Lpost_getpc3261:
	s_add_u32 s14, s14, (.LBB1_2434-.Lpost_getpc3261)&4294967295
	s_addc_u32 s15, s15, (.LBB1_2434-.Lpost_getpc3261)>>32
	s_setpc_b64 s[14:15]
.LBB1_6532:
	v_mov_b32_e32 v21, 0
	v_cmp_ne_u16_sdwa s[8:9], v16, v21 src0_sel:BYTE_0 src1_sel:DWORD
	s_andn2_b64 s[4:5], s[4:5], exec
	s_and_b64 s[8:9], s[8:9], exec
	s_or_b64 s[4:5], s[4:5], s[8:9]
	s_or_b64 exec, exec, s[6:7]
	s_and_saveexec_b64 s[6:7], s[4:5]
	s_cbranch_execz .LBB1_9409
; %bb.14717:
	s_getpc_b64 s[14:15]
.Lpost_getpc3262:
	s_add_u32 s14, s14, (.LBB1_2435-.Lpost_getpc3262)&4294967295
	s_addc_u32 s15, s15, (.LBB1_2435-.Lpost_getpc3262)>>32
	s_setpc_b64 s[14:15]
.LBB1_9409:
	s_getpc_b64 s[14:15]
.Lpost_getpc608:
	s_add_u32 s14, s14, (.LBB1_2436-.Lpost_getpc608)&4294967295
	s_addc_u32 s15, s15, (.LBB1_2436-.Lpost_getpc608)>>32
	s_setpc_b64 s[14:15]
.LBB1_6533:
	s_movk_i32 s4, 0x80
	v_cmp_eq_u16_sdwa s[12:13], v12, s4 src0_sel:BYTE_0 src1_sel:DWORD
	s_mov_b64 s[4:5], -1
                                        ; implicit-def: $sgpr10
	s_and_saveexec_b64 s[8:9], s[12:13]
; %bb.6534:
	s_mov_b32 s10, 0x7f800001
	s_xor_b64 s[4:5], exec, -1
; %bb.6535:
	s_or_b64 exec, exec, s[8:9]
	s_and_b64 s[4:5], s[4:5], exec
	s_or_saveexec_b64 s[6:7], s[6:7]
	v_mov_b32_e32 v22, s10
	s_xor_b64 exec, exec, s[6:7]
	s_cbranch_execnz .LBB1_6536
; %bb.14719:
	s_getpc_b64 s[14:15]
.Lpost_getpc3263:
	s_add_u32 s14, s14, (.LBB1_2438-.Lpost_getpc3263)&4294967295
	s_addc_u32 s15, s15, (.LBB1_2438-.Lpost_getpc3263)>>32
	s_setpc_b64 s[14:15]
.LBB1_6536:
	v_mov_b32_e32 v22, 0
	v_cmp_ne_u16_sdwa s[8:9], v12, v22 src0_sel:BYTE_0 src1_sel:DWORD
	s_andn2_b64 s[4:5], s[4:5], exec
	s_and_b64 s[8:9], s[8:9], exec
	s_or_b64 s[4:5], s[4:5], s[8:9]
	s_or_b64 exec, exec, s[6:7]
	s_and_saveexec_b64 s[6:7], s[4:5]
	s_cbranch_execz .LBB1_9411
; %bb.14721:
	s_getpc_b64 s[14:15]
.Lpost_getpc3264:
	s_add_u32 s14, s14, (.LBB1_2439-.Lpost_getpc3264)&4294967295
	s_addc_u32 s15, s15, (.LBB1_2439-.Lpost_getpc3264)>>32
	s_setpc_b64 s[14:15]
.LBB1_9411:
	s_getpc_b64 s[14:15]
.Lpost_getpc609:
	s_add_u32 s14, s14, (.LBB1_2440-.Lpost_getpc609)&4294967295
	s_addc_u32 s15, s15, (.LBB1_2440-.Lpost_getpc609)>>32
	s_setpc_b64 s[14:15]
.LBB1_6537:
	s_movk_i32 s4, 0x80
	v_cmp_eq_u16_sdwa s[12:13], v22, s4 src0_sel:BYTE_0 src1_sel:DWORD
	s_mov_b64 s[4:5], -1
                                        ; implicit-def: $sgpr10
	s_and_saveexec_b64 s[8:9], s[12:13]
; %bb.6538:
	s_mov_b32 s10, 0x7f800001
	s_xor_b64 s[4:5], exec, -1
; %bb.6539:
	s_or_b64 exec, exec, s[8:9]
	s_and_b64 s[4:5], s[4:5], exec
	s_or_saveexec_b64 s[6:7], s[6:7]
	v_mov_b32_e32 v21, s10
	s_xor_b64 exec, exec, s[6:7]
	s_cbranch_execnz .LBB1_6540
; %bb.14723:
	s_getpc_b64 s[14:15]
.Lpost_getpc3265:
	s_add_u32 s14, s14, (.LBB1_2442-.Lpost_getpc3265)&4294967295
	s_addc_u32 s15, s15, (.LBB1_2442-.Lpost_getpc3265)>>32
	s_setpc_b64 s[14:15]
.LBB1_6540:
	v_mov_b32_e32 v21, 0
	v_cmp_ne_u16_sdwa s[8:9], v22, v21 src0_sel:BYTE_0 src1_sel:DWORD
	s_andn2_b64 s[4:5], s[4:5], exec
	s_and_b64 s[8:9], s[8:9], exec
	s_or_b64 s[4:5], s[4:5], s[8:9]
	s_or_b64 exec, exec, s[6:7]
	s_and_saveexec_b64 s[6:7], s[4:5]
	s_cbranch_execz .LBB1_9413
; %bb.14725:
	s_getpc_b64 s[14:15]
.Lpost_getpc3266:
	s_add_u32 s14, s14, (.LBB1_2443-.Lpost_getpc3266)&4294967295
	s_addc_u32 s15, s15, (.LBB1_2443-.Lpost_getpc3266)>>32
	s_setpc_b64 s[14:15]
.LBB1_9413:
	s_getpc_b64 s[14:15]
.Lpost_getpc610:
	s_add_u32 s14, s14, (.LBB1_2444-.Lpost_getpc610)&4294967295
	s_addc_u32 s15, s15, (.LBB1_2444-.Lpost_getpc610)>>32
	s_setpc_b64 s[14:15]
.LBB1_6541:
	s_movk_i32 s4, 0x80
	v_cmp_eq_u16_sdwa s[12:13], v22, s4 src0_sel:BYTE_0 src1_sel:DWORD
	s_mov_b64 s[4:5], -1
                                        ; implicit-def: $sgpr10
	s_and_saveexec_b64 s[8:9], s[12:13]
; %bb.6542:
	s_mov_b32 s10, 0x7f800001
	s_xor_b64 s[4:5], exec, -1
; %bb.6543:
	s_or_b64 exec, exec, s[8:9]
	s_and_b64 s[4:5], s[4:5], exec
	s_or_saveexec_b64 s[6:7], s[6:7]
	v_mov_b32_e32 v23, s10
	s_xor_b64 exec, exec, s[6:7]
	s_cbranch_execnz .LBB1_6544
; %bb.14727:
	s_getpc_b64 s[14:15]
.Lpost_getpc3267:
	s_add_u32 s14, s14, (.LBB1_2446-.Lpost_getpc3267)&4294967295
	s_addc_u32 s15, s15, (.LBB1_2446-.Lpost_getpc3267)>>32
	s_setpc_b64 s[14:15]
.LBB1_6544:
	v_mov_b32_e32 v23, 0
	v_cmp_ne_u16_sdwa s[8:9], v22, v23 src0_sel:BYTE_0 src1_sel:DWORD
	s_andn2_b64 s[4:5], s[4:5], exec
	s_and_b64 s[8:9], s[8:9], exec
	s_or_b64 s[4:5], s[4:5], s[8:9]
	s_or_b64 exec, exec, s[6:7]
	s_and_saveexec_b64 s[6:7], s[4:5]
	s_cbranch_execz .LBB1_9415
; %bb.14729:
	s_getpc_b64 s[14:15]
.Lpost_getpc3268:
	s_add_u32 s14, s14, (.LBB1_2447-.Lpost_getpc3268)&4294967295
	s_addc_u32 s15, s15, (.LBB1_2447-.Lpost_getpc3268)>>32
	s_setpc_b64 s[14:15]
.LBB1_9415:
	s_getpc_b64 s[14:15]
.Lpost_getpc611:
	s_add_u32 s14, s14, (.LBB1_2448-.Lpost_getpc611)&4294967295
	s_addc_u32 s15, s15, (.LBB1_2448-.Lpost_getpc611)>>32
	s_setpc_b64 s[14:15]
.LBB1_6545:
	s_movk_i32 s4, 0x80
	v_cmp_eq_u16_e32 vcc, s4, v22
	s_mov_b64 s[4:5], -1
                                        ; implicit-def: $sgpr10
	s_and_saveexec_b64 s[8:9], vcc
; %bb.6546:
	s_mov_b32 s10, 0x7f800001
	s_xor_b64 s[4:5], exec, -1
; %bb.6547:
	s_or_b64 exec, exec, s[8:9]
	s_and_b64 s[4:5], s[4:5], exec
                                        ; implicit-def: $vgpr22
	s_or_saveexec_b64 s[6:7], s[6:7]
	v_mov_b32_e32 v21, s10
	s_xor_b64 exec, exec, s[6:7]
	s_cbranch_execnz .LBB1_6548
; %bb.14731:
	s_getpc_b64 s[14:15]
.Lpost_getpc3269:
	s_add_u32 s14, s14, (.LBB1_2450-.Lpost_getpc3269)&4294967295
	s_addc_u32 s15, s15, (.LBB1_2450-.Lpost_getpc3269)>>32
	s_setpc_b64 s[14:15]
.LBB1_6548:
	v_cmp_ne_u16_e32 vcc, 0, v22
	s_andn2_b64 s[4:5], s[4:5], exec
	s_and_b64 s[8:9], vcc, exec
	v_mov_b32_e32 v21, 0
	s_or_b64 s[4:5], s[4:5], s[8:9]
	s_or_b64 exec, exec, s[6:7]
	s_and_saveexec_b64 s[6:7], s[4:5]
	s_cbranch_execz .LBB1_9417
; %bb.14733:
	s_getpc_b64 s[14:15]
.Lpost_getpc3270:
	s_add_u32 s14, s14, (.LBB1_2451-.Lpost_getpc3270)&4294967295
	s_addc_u32 s15, s15, (.LBB1_2451-.Lpost_getpc3270)>>32
	s_setpc_b64 s[14:15]
.LBB1_9417:
	s_getpc_b64 s[14:15]
.Lpost_getpc612:
	s_add_u32 s14, s14, (.LBB1_2452-.Lpost_getpc612)&4294967295
	s_addc_u32 s15, s15, (.LBB1_2452-.Lpost_getpc612)>>32
	s_setpc_b64 s[14:15]
.LBB1_6549:
	s_movk_i32 s4, 0x80
	v_cmp_eq_u16_e32 vcc, s4, v22
	s_mov_b64 s[4:5], -1
                                        ; implicit-def: $sgpr10
	s_and_saveexec_b64 s[8:9], vcc
; %bb.6550:
	s_mov_b32 s10, 0x7f800001
	s_xor_b64 s[4:5], exec, -1
; %bb.6551:
	s_or_b64 exec, exec, s[8:9]
	s_and_b64 s[4:5], s[4:5], exec
                                        ; implicit-def: $vgpr22
	s_or_saveexec_b64 s[6:7], s[6:7]
	v_mov_b32_e32 v23, s10
	s_xor_b64 exec, exec, s[6:7]
	s_cbranch_execnz .LBB1_6552
; %bb.14735:
	s_getpc_b64 s[14:15]
.Lpost_getpc3271:
	s_add_u32 s14, s14, (.LBB1_2454-.Lpost_getpc3271)&4294967295
	s_addc_u32 s15, s15, (.LBB1_2454-.Lpost_getpc3271)>>32
	s_setpc_b64 s[14:15]
.LBB1_6552:
	v_cmp_ne_u16_e32 vcc, 0, v22
	s_andn2_b64 s[4:5], s[4:5], exec
	s_and_b64 s[8:9], vcc, exec
	v_mov_b32_e32 v23, 0
	s_or_b64 s[4:5], s[4:5], s[8:9]
	s_or_b64 exec, exec, s[6:7]
	s_and_saveexec_b64 s[6:7], s[4:5]
	s_cbranch_execz .LBB1_9419
; %bb.14737:
	s_getpc_b64 s[14:15]
.Lpost_getpc3272:
	s_add_u32 s14, s14, (.LBB1_2455-.Lpost_getpc3272)&4294967295
	s_addc_u32 s15, s15, (.LBB1_2455-.Lpost_getpc3272)>>32
	s_setpc_b64 s[14:15]
.LBB1_9419:
	s_getpc_b64 s[14:15]
.Lpost_getpc613:
	s_add_u32 s14, s14, (.LBB1_2456-.Lpost_getpc613)&4294967295
	s_addc_u32 s15, s15, (.LBB1_2456-.Lpost_getpc613)>>32
	s_setpc_b64 s[14:15]
.LBB1_6553:
	s_movk_i32 s4, 0x80
	v_cmp_eq_u16_sdwa s[12:13], v16, s4 src0_sel:BYTE_3 src1_sel:DWORD
	s_mov_b64 s[4:5], -1
                                        ; implicit-def: $sgpr10
	s_and_saveexec_b64 s[8:9], s[12:13]
; %bb.6554:
	s_mov_b32 s10, 0x7f800001
	s_xor_b64 s[4:5], exec, -1
; %bb.6555:
	s_or_b64 exec, exec, s[8:9]
	s_and_b64 s[4:5], s[4:5], exec
	s_or_saveexec_b64 s[6:7], s[6:7]
	v_mov_b32_e32 v21, s10
	s_xor_b64 exec, exec, s[6:7]
	s_cbranch_execnz .LBB1_6556
; %bb.14739:
	s_getpc_b64 s[14:15]
.Lpost_getpc3273:
	s_add_u32 s14, s14, (.LBB1_2458-.Lpost_getpc3273)&4294967295
	s_addc_u32 s15, s15, (.LBB1_2458-.Lpost_getpc3273)>>32
	s_setpc_b64 s[14:15]
.LBB1_6556:
	v_mov_b32_e32 v21, 0
	v_cmp_ne_u16_sdwa s[8:9], v16, v21 src0_sel:BYTE_3 src1_sel:DWORD
	s_andn2_b64 s[4:5], s[4:5], exec
	s_and_b64 s[8:9], s[8:9], exec
	s_or_b64 s[4:5], s[4:5], s[8:9]
	s_or_b64 exec, exec, s[6:7]
	s_and_saveexec_b64 s[6:7], s[4:5]
	s_cbranch_execz .LBB1_9421
; %bb.14741:
	s_getpc_b64 s[14:15]
.Lpost_getpc3274:
	s_add_u32 s14, s14, (.LBB1_2459-.Lpost_getpc3274)&4294967295
	s_addc_u32 s15, s15, (.LBB1_2459-.Lpost_getpc3274)>>32
	s_setpc_b64 s[14:15]
.LBB1_9421:
	s_getpc_b64 s[14:15]
.Lpost_getpc614:
	s_add_u32 s14, s14, (.LBB1_2460-.Lpost_getpc614)&4294967295
	s_addc_u32 s15, s15, (.LBB1_2460-.Lpost_getpc614)>>32
	s_setpc_b64 s[14:15]
.LBB1_6557:
	s_movk_i32 s4, 0x80
	v_cmp_eq_u16_sdwa s[12:13], v12, s4 src0_sel:BYTE_3 src1_sel:DWORD
	s_mov_b64 s[4:5], -1
                                        ; implicit-def: $sgpr10
	s_and_saveexec_b64 s[8:9], s[12:13]
; %bb.6558:
	s_mov_b32 s10, 0x7f800001
	s_xor_b64 s[4:5], exec, -1
; %bb.6559:
	s_or_b64 exec, exec, s[8:9]
	s_and_b64 s[4:5], s[4:5], exec
	s_or_saveexec_b64 s[6:7], s[6:7]
	v_mov_b32_e32 v16, s10
	s_xor_b64 exec, exec, s[6:7]
	s_cbranch_execnz .LBB1_6560
; %bb.14743:
	s_getpc_b64 s[14:15]
.Lpost_getpc3275:
	s_add_u32 s14, s14, (.LBB1_2462-.Lpost_getpc3275)&4294967295
	s_addc_u32 s15, s15, (.LBB1_2462-.Lpost_getpc3275)>>32
	s_setpc_b64 s[14:15]
.LBB1_6560:
	v_mov_b32_e32 v16, 0
	v_cmp_ne_u16_sdwa s[8:9], v12, v16 src0_sel:BYTE_3 src1_sel:DWORD
	s_andn2_b64 s[4:5], s[4:5], exec
	s_and_b64 s[8:9], s[8:9], exec
	s_or_b64 s[4:5], s[4:5], s[8:9]
	s_or_b64 exec, exec, s[6:7]
	s_and_saveexec_b64 s[6:7], s[4:5]
	s_cbranch_execz .LBB1_9423
; %bb.14745:
	s_getpc_b64 s[14:15]
.Lpost_getpc3276:
	s_add_u32 s14, s14, (.LBB1_2463-.Lpost_getpc3276)&4294967295
	s_addc_u32 s15, s15, (.LBB1_2463-.Lpost_getpc3276)>>32
	s_setpc_b64 s[14:15]
.LBB1_9423:
	s_getpc_b64 s[14:15]
.Lpost_getpc615:
	s_add_u32 s14, s14, (.LBB1_2464-.Lpost_getpc615)&4294967295
	s_addc_u32 s15, s15, (.LBB1_2464-.Lpost_getpc615)>>32
	s_setpc_b64 s[14:15]
.LBB1_6561:
	s_movk_i32 s4, 0x80
	v_cmp_eq_u16_sdwa s[12:13], v17, s4 src0_sel:BYTE_0 src1_sel:DWORD
	s_mov_b64 s[4:5], -1
                                        ; implicit-def: $sgpr10
	s_and_saveexec_b64 s[8:9], s[12:13]
; %bb.6562:
	s_mov_b32 s10, 0x7f800001
	s_xor_b64 s[4:5], exec, -1
; %bb.6563:
	s_or_b64 exec, exec, s[8:9]
	s_and_b64 s[4:5], s[4:5], exec
	s_or_saveexec_b64 s[6:7], s[6:7]
	v_mov_b32_e32 v12, s10
	s_xor_b64 exec, exec, s[6:7]
	s_cbranch_execnz .LBB1_6564
; %bb.14747:
	s_getpc_b64 s[14:15]
.Lpost_getpc3277:
	s_add_u32 s14, s14, (.LBB1_2466-.Lpost_getpc3277)&4294967295
	s_addc_u32 s15, s15, (.LBB1_2466-.Lpost_getpc3277)>>32
	s_setpc_b64 s[14:15]
.LBB1_6564:
	v_mov_b32_e32 v12, 0
	v_cmp_ne_u16_sdwa s[8:9], v17, v12 src0_sel:BYTE_0 src1_sel:DWORD
	s_andn2_b64 s[4:5], s[4:5], exec
	s_and_b64 s[8:9], s[8:9], exec
	s_or_b64 s[4:5], s[4:5], s[8:9]
	s_or_b64 exec, exec, s[6:7]
	s_and_saveexec_b64 s[6:7], s[4:5]
	s_cbranch_execz .LBB1_9425
; %bb.14749:
	s_getpc_b64 s[14:15]
.Lpost_getpc3278:
	s_add_u32 s14, s14, (.LBB1_2467-.Lpost_getpc3278)&4294967295
	s_addc_u32 s15, s15, (.LBB1_2467-.Lpost_getpc3278)>>32
	s_setpc_b64 s[14:15]
.LBB1_9425:
	s_getpc_b64 s[14:15]
.Lpost_getpc616:
	s_add_u32 s14, s14, (.LBB1_2468-.Lpost_getpc616)&4294967295
	s_addc_u32 s15, s15, (.LBB1_2468-.Lpost_getpc616)>>32
	s_setpc_b64 s[14:15]
.LBB1_6565:
	s_movk_i32 s4, 0x80
	v_cmp_eq_u16_sdwa s[12:13], v13, s4 src0_sel:BYTE_0 src1_sel:DWORD
	s_mov_b64 s[4:5], -1
                                        ; implicit-def: $sgpr10
	s_and_saveexec_b64 s[8:9], s[12:13]
; %bb.6566:
	s_mov_b32 s10, 0x7f800001
	s_xor_b64 s[4:5], exec, -1
; %bb.6567:
	s_or_b64 exec, exec, s[8:9]
	s_and_b64 s[4:5], s[4:5], exec
	s_or_saveexec_b64 s[6:7], s[6:7]
	v_mov_b32_e32 v16, s10
	s_xor_b64 exec, exec, s[6:7]
	s_cbranch_execnz .LBB1_6568
; %bb.14751:
	s_getpc_b64 s[14:15]
.Lpost_getpc3279:
	s_add_u32 s14, s14, (.LBB1_2470-.Lpost_getpc3279)&4294967295
	s_addc_u32 s15, s15, (.LBB1_2470-.Lpost_getpc3279)>>32
	s_setpc_b64 s[14:15]
.LBB1_6568:
	v_mov_b32_e32 v16, 0
	v_cmp_ne_u16_sdwa s[8:9], v13, v16 src0_sel:BYTE_0 src1_sel:DWORD
	s_andn2_b64 s[4:5], s[4:5], exec
	s_and_b64 s[8:9], s[8:9], exec
	s_or_b64 s[4:5], s[4:5], s[8:9]
	s_or_b64 exec, exec, s[6:7]
	s_and_saveexec_b64 s[6:7], s[4:5]
	s_cbranch_execz .LBB1_9427
; %bb.14753:
	s_getpc_b64 s[14:15]
.Lpost_getpc3280:
	s_add_u32 s14, s14, (.LBB1_2471-.Lpost_getpc3280)&4294967295
	s_addc_u32 s15, s15, (.LBB1_2471-.Lpost_getpc3280)>>32
	s_setpc_b64 s[14:15]
.LBB1_9427:
	s_getpc_b64 s[14:15]
.Lpost_getpc617:
	s_add_u32 s14, s14, (.LBB1_2472-.Lpost_getpc617)&4294967295
	s_addc_u32 s15, s15, (.LBB1_2472-.Lpost_getpc617)>>32
	s_setpc_b64 s[14:15]
.LBB1_6569:
	s_movk_i32 s4, 0x80
	v_cmp_eq_u16_sdwa s[12:13], v16, s4 src0_sel:BYTE_0 src1_sel:DWORD
	s_mov_b64 s[4:5], -1
                                        ; implicit-def: $sgpr10
	s_and_saveexec_b64 s[8:9], s[12:13]
; %bb.6570:
	s_mov_b32 s10, 0x7f800001
	s_xor_b64 s[4:5], exec, -1
; %bb.6571:
	s_or_b64 exec, exec, s[8:9]
	s_and_b64 s[4:5], s[4:5], exec
	s_or_saveexec_b64 s[6:7], s[6:7]
	v_mov_b32_e32 v12, s10
	s_xor_b64 exec, exec, s[6:7]
	s_cbranch_execnz .LBB1_6572
; %bb.14755:
	s_getpc_b64 s[14:15]
.Lpost_getpc3281:
	s_add_u32 s14, s14, (.LBB1_2474-.Lpost_getpc3281)&4294967295
	s_addc_u32 s15, s15, (.LBB1_2474-.Lpost_getpc3281)>>32
	s_setpc_b64 s[14:15]
.LBB1_6572:
	v_mov_b32_e32 v12, 0
	v_cmp_ne_u16_sdwa s[8:9], v16, v12 src0_sel:BYTE_0 src1_sel:DWORD
	s_andn2_b64 s[4:5], s[4:5], exec
	s_and_b64 s[8:9], s[8:9], exec
	s_or_b64 s[4:5], s[4:5], s[8:9]
	s_or_b64 exec, exec, s[6:7]
	s_and_saveexec_b64 s[6:7], s[4:5]
	s_cbranch_execz .LBB1_9429
; %bb.14757:
	s_getpc_b64 s[14:15]
.Lpost_getpc3282:
	s_add_u32 s14, s14, (.LBB1_2475-.Lpost_getpc3282)&4294967295
	s_addc_u32 s15, s15, (.LBB1_2475-.Lpost_getpc3282)>>32
	s_setpc_b64 s[14:15]
.LBB1_9429:
	s_getpc_b64 s[14:15]
.Lpost_getpc618:
	s_add_u32 s14, s14, (.LBB1_2476-.Lpost_getpc618)&4294967295
	s_addc_u32 s15, s15, (.LBB1_2476-.Lpost_getpc618)>>32
	s_setpc_b64 s[14:15]
.LBB1_6573:
	s_movk_i32 s4, 0x80
	v_cmp_eq_u16_sdwa s[12:13], v16, s4 src0_sel:BYTE_0 src1_sel:DWORD
	s_mov_b64 s[4:5], -1
                                        ; implicit-def: $sgpr10
	s_and_saveexec_b64 s[8:9], s[12:13]
; %bb.6574:
	s_mov_b32 s10, 0x7f800001
	s_xor_b64 s[4:5], exec, -1
; %bb.6575:
	s_or_b64 exec, exec, s[8:9]
	s_and_b64 s[4:5], s[4:5], exec
	s_or_saveexec_b64 s[6:7], s[6:7]
	v_mov_b32_e32 v21, s10
	s_xor_b64 exec, exec, s[6:7]
	s_cbranch_execnz .LBB1_6576
; %bb.14759:
	s_getpc_b64 s[14:15]
.Lpost_getpc3283:
	s_add_u32 s14, s14, (.LBB1_2478-.Lpost_getpc3283)&4294967295
	s_addc_u32 s15, s15, (.LBB1_2478-.Lpost_getpc3283)>>32
	s_setpc_b64 s[14:15]
.LBB1_6576:
	v_mov_b32_e32 v21, 0
	v_cmp_ne_u16_sdwa s[8:9], v16, v21 src0_sel:BYTE_0 src1_sel:DWORD
	s_andn2_b64 s[4:5], s[4:5], exec
	s_and_b64 s[8:9], s[8:9], exec
	s_or_b64 s[4:5], s[4:5], s[8:9]
	s_or_b64 exec, exec, s[6:7]
	s_and_saveexec_b64 s[6:7], s[4:5]
	s_cbranch_execz .LBB1_9431
; %bb.14761:
	s_getpc_b64 s[14:15]
.Lpost_getpc3284:
	s_add_u32 s14, s14, (.LBB1_2479-.Lpost_getpc3284)&4294967295
	s_addc_u32 s15, s15, (.LBB1_2479-.Lpost_getpc3284)>>32
	s_setpc_b64 s[14:15]
.LBB1_9431:
	s_getpc_b64 s[14:15]
.Lpost_getpc619:
	s_add_u32 s14, s14, (.LBB1_2480-.Lpost_getpc619)&4294967295
	s_addc_u32 s15, s15, (.LBB1_2480-.Lpost_getpc619)>>32
	s_setpc_b64 s[14:15]
.LBB1_6577:
	s_movk_i32 s4, 0x80
	v_cmp_eq_u16_e32 vcc, s4, v16
	s_mov_b64 s[4:5], -1
                                        ; implicit-def: $sgpr10
	s_and_saveexec_b64 s[8:9], vcc
; %bb.6578:
	s_mov_b32 s10, 0x7f800001
	s_xor_b64 s[4:5], exec, -1
; %bb.6579:
	s_or_b64 exec, exec, s[8:9]
	s_and_b64 s[4:5], s[4:5], exec
                                        ; implicit-def: $vgpr16
	s_or_saveexec_b64 s[6:7], s[6:7]
	v_mov_b32_e32 v12, s10
	s_xor_b64 exec, exec, s[6:7]
	s_cbranch_execnz .LBB1_6580
; %bb.14763:
	s_getpc_b64 s[14:15]
.Lpost_getpc3285:
	s_add_u32 s14, s14, (.LBB1_2482-.Lpost_getpc3285)&4294967295
	s_addc_u32 s15, s15, (.LBB1_2482-.Lpost_getpc3285)>>32
	s_setpc_b64 s[14:15]
.LBB1_6580:
	v_cmp_ne_u16_e32 vcc, 0, v16
	s_andn2_b64 s[4:5], s[4:5], exec
	s_and_b64 s[8:9], vcc, exec
	v_mov_b32_e32 v12, 0
	s_or_b64 s[4:5], s[4:5], s[8:9]
	s_or_b64 exec, exec, s[6:7]
	s_and_saveexec_b64 s[6:7], s[4:5]
	s_cbranch_execz .LBB1_9433
; %bb.14765:
	s_getpc_b64 s[14:15]
.Lpost_getpc3286:
	s_add_u32 s14, s14, (.LBB1_2483-.Lpost_getpc3286)&4294967295
	s_addc_u32 s15, s15, (.LBB1_2483-.Lpost_getpc3286)>>32
	s_setpc_b64 s[14:15]
.LBB1_9433:
	s_getpc_b64 s[14:15]
.Lpost_getpc620:
	s_add_u32 s14, s14, (.LBB1_2484-.Lpost_getpc620)&4294967295
	s_addc_u32 s15, s15, (.LBB1_2484-.Lpost_getpc620)>>32
	s_setpc_b64 s[14:15]
.LBB1_6581:
	s_movk_i32 s4, 0x80
	v_cmp_eq_u16_e32 vcc, s4, v16
	s_mov_b64 s[4:5], -1
                                        ; implicit-def: $sgpr10
	s_and_saveexec_b64 s[8:9], vcc
; %bb.6582:
	s_mov_b32 s10, 0x7f800001
	s_xor_b64 s[4:5], exec, -1
; %bb.6583:
	s_or_b64 exec, exec, s[8:9]
	s_and_b64 s[4:5], s[4:5], exec
                                        ; implicit-def: $vgpr16
	s_or_saveexec_b64 s[6:7], s[6:7]
	v_mov_b32_e32 v21, s10
	s_xor_b64 exec, exec, s[6:7]
	s_cbranch_execnz .LBB1_6584
; %bb.14767:
	s_getpc_b64 s[14:15]
.Lpost_getpc3287:
	s_add_u32 s14, s14, (.LBB1_2486-.Lpost_getpc3287)&4294967295
	s_addc_u32 s15, s15, (.LBB1_2486-.Lpost_getpc3287)>>32
	s_setpc_b64 s[14:15]
.LBB1_6584:
	v_cmp_ne_u16_e32 vcc, 0, v16
	s_andn2_b64 s[4:5], s[4:5], exec
	s_and_b64 s[8:9], vcc, exec
	v_mov_b32_e32 v21, 0
	s_or_b64 s[4:5], s[4:5], s[8:9]
	s_or_b64 exec, exec, s[6:7]
	s_and_saveexec_b64 s[6:7], s[4:5]
	s_cbranch_execz .LBB1_9435
; %bb.14769:
	s_getpc_b64 s[14:15]
.Lpost_getpc3288:
	s_add_u32 s14, s14, (.LBB1_2487-.Lpost_getpc3288)&4294967295
	s_addc_u32 s15, s15, (.LBB1_2487-.Lpost_getpc3288)>>32
	s_setpc_b64 s[14:15]
.LBB1_9435:
	s_getpc_b64 s[14:15]
.Lpost_getpc621:
	s_add_u32 s14, s14, (.LBB1_2488-.Lpost_getpc621)&4294967295
	s_addc_u32 s15, s15, (.LBB1_2488-.Lpost_getpc621)>>32
	s_setpc_b64 s[14:15]
.LBB1_6585:
	s_movk_i32 s4, 0x80
	v_cmp_eq_u16_sdwa s[12:13], v17, s4 src0_sel:BYTE_3 src1_sel:DWORD
	s_mov_b64 s[4:5], -1
                                        ; implicit-def: $sgpr10
	s_and_saveexec_b64 s[8:9], s[12:13]
; %bb.6586:
	s_mov_b32 s10, 0x7f800001
	s_xor_b64 s[4:5], exec, -1
; %bb.6587:
	s_or_b64 exec, exec, s[8:9]
	s_and_b64 s[4:5], s[4:5], exec
	s_or_saveexec_b64 s[6:7], s[6:7]
	v_mov_b32_e32 v12, s10
	s_xor_b64 exec, exec, s[6:7]
	s_cbranch_execnz .LBB1_6588
; %bb.14771:
	s_getpc_b64 s[14:15]
.Lpost_getpc3289:
	s_add_u32 s14, s14, (.LBB1_2490-.Lpost_getpc3289)&4294967295
	s_addc_u32 s15, s15, (.LBB1_2490-.Lpost_getpc3289)>>32
	s_setpc_b64 s[14:15]
.LBB1_6588:
	v_mov_b32_e32 v12, 0
	v_cmp_ne_u16_sdwa s[8:9], v17, v12 src0_sel:BYTE_3 src1_sel:DWORD
	s_andn2_b64 s[4:5], s[4:5], exec
	s_and_b64 s[8:9], s[8:9], exec
	s_or_b64 s[4:5], s[4:5], s[8:9]
	s_or_b64 exec, exec, s[6:7]
	s_and_saveexec_b64 s[6:7], s[4:5]
	s_cbranch_execz .LBB1_9437
; %bb.14773:
	s_getpc_b64 s[14:15]
.Lpost_getpc3290:
	s_add_u32 s14, s14, (.LBB1_2491-.Lpost_getpc3290)&4294967295
	s_addc_u32 s15, s15, (.LBB1_2491-.Lpost_getpc3290)>>32
	s_setpc_b64 s[14:15]
.LBB1_9437:
	s_getpc_b64 s[14:15]
.Lpost_getpc622:
	s_add_u32 s14, s14, (.LBB1_2492-.Lpost_getpc622)&4294967295
	s_addc_u32 s15, s15, (.LBB1_2492-.Lpost_getpc622)>>32
	s_setpc_b64 s[14:15]
.LBB1_6589:
	s_movk_i32 s4, 0x80
	v_cmp_eq_u16_sdwa s[12:13], v13, s4 src0_sel:BYTE_3 src1_sel:DWORD
	s_mov_b64 s[4:5], -1
                                        ; implicit-def: $sgpr10
	s_and_saveexec_b64 s[8:9], s[12:13]
; %bb.6590:
	s_mov_b32 s10, 0x7f800001
	s_xor_b64 s[4:5], exec, -1
; %bb.6591:
	s_or_b64 exec, exec, s[8:9]
	s_and_b64 s[4:5], s[4:5], exec
	s_or_saveexec_b64 s[6:7], s[6:7]
	v_mov_b32_e32 v16, s10
	s_xor_b64 exec, exec, s[6:7]
	s_cbranch_execnz .LBB1_6592
; %bb.14775:
	s_getpc_b64 s[14:15]
.Lpost_getpc3291:
	s_add_u32 s14, s14, (.LBB1_2494-.Lpost_getpc3291)&4294967295
	s_addc_u32 s15, s15, (.LBB1_2494-.Lpost_getpc3291)>>32
	s_setpc_b64 s[14:15]
.LBB1_6592:
	v_mov_b32_e32 v16, 0
	v_cmp_ne_u16_sdwa s[8:9], v13, v16 src0_sel:BYTE_3 src1_sel:DWORD
	s_andn2_b64 s[4:5], s[4:5], exec
	s_and_b64 s[8:9], s[8:9], exec
	s_or_b64 s[4:5], s[4:5], s[8:9]
	s_or_b64 exec, exec, s[6:7]
	s_and_saveexec_b64 s[6:7], s[4:5]
	s_cbranch_execz .LBB1_9439
; %bb.14777:
	s_getpc_b64 s[14:15]
.Lpost_getpc3292:
	s_add_u32 s14, s14, (.LBB1_2495-.Lpost_getpc3292)&4294967295
	s_addc_u32 s15, s15, (.LBB1_2495-.Lpost_getpc3292)>>32
	s_setpc_b64 s[14:15]
.LBB1_9439:
	s_getpc_b64 s[14:15]
.Lpost_getpc623:
	s_add_u32 s14, s14, (.LBB1_2496-.Lpost_getpc623)&4294967295
	s_addc_u32 s15, s15, (.LBB1_2496-.Lpost_getpc623)>>32
	s_setpc_b64 s[14:15]
.LBB1_6593:
	s_movk_i32 s4, 0x80
	v_cmp_eq_u16_sdwa s[12:13], v18, s4 src0_sel:BYTE_0 src1_sel:DWORD
	s_mov_b64 s[4:5], -1
                                        ; implicit-def: $sgpr10
	s_and_saveexec_b64 s[8:9], s[12:13]
; %bb.6594:
	s_mov_b32 s10, 0x7f800001
	s_xor_b64 s[4:5], exec, -1
; %bb.6595:
	s_or_b64 exec, exec, s[8:9]
	s_and_b64 s[4:5], s[4:5], exec
	s_or_saveexec_b64 s[6:7], s[6:7]
	v_mov_b32_e32 v13, s10
	s_xor_b64 exec, exec, s[6:7]
	s_cbranch_execnz .LBB1_6596
; %bb.14779:
	s_getpc_b64 s[14:15]
.Lpost_getpc3293:
	s_add_u32 s14, s14, (.LBB1_2498-.Lpost_getpc3293)&4294967295
	s_addc_u32 s15, s15, (.LBB1_2498-.Lpost_getpc3293)>>32
	s_setpc_b64 s[14:15]
.LBB1_6596:
	v_mov_b32_e32 v13, 0
	v_cmp_ne_u16_sdwa s[8:9], v18, v13 src0_sel:BYTE_0 src1_sel:DWORD
	s_andn2_b64 s[4:5], s[4:5], exec
	s_and_b64 s[8:9], s[8:9], exec
	s_or_b64 s[4:5], s[4:5], s[8:9]
	s_or_b64 exec, exec, s[6:7]
	s_and_saveexec_b64 s[6:7], s[4:5]
	s_cbranch_execz .LBB1_9441
; %bb.14781:
	s_getpc_b64 s[14:15]
.Lpost_getpc3294:
	s_add_u32 s14, s14, (.LBB1_2499-.Lpost_getpc3294)&4294967295
	s_addc_u32 s15, s15, (.LBB1_2499-.Lpost_getpc3294)>>32
	s_setpc_b64 s[14:15]
.LBB1_9441:
	s_getpc_b64 s[14:15]
.Lpost_getpc624:
	s_add_u32 s14, s14, (.LBB1_2500-.Lpost_getpc624)&4294967295
	s_addc_u32 s15, s15, (.LBB1_2500-.Lpost_getpc624)>>32
	s_setpc_b64 s[14:15]
.LBB1_6597:
	s_movk_i32 s4, 0x80
	v_cmp_eq_u16_sdwa s[12:13], v16, s4 src0_sel:BYTE_0 src1_sel:DWORD
	s_mov_b64 s[4:5], -1
                                        ; implicit-def: $sgpr10
	s_and_saveexec_b64 s[8:9], s[12:13]
; %bb.6598:
	s_mov_b32 s10, 0x7f800001
	s_xor_b64 s[4:5], exec, -1
; %bb.6599:
	s_or_b64 exec, exec, s[8:9]
	s_and_b64 s[4:5], s[4:5], exec
	s_or_saveexec_b64 s[6:7], s[6:7]
	v_mov_b32_e32 v14, s10
	s_xor_b64 exec, exec, s[6:7]
	s_cbranch_execnz .LBB1_6600
; %bb.14783:
	s_getpc_b64 s[14:15]
.Lpost_getpc3295:
	s_add_u32 s14, s14, (.LBB1_2502-.Lpost_getpc3295)&4294967295
	s_addc_u32 s15, s15, (.LBB1_2502-.Lpost_getpc3295)>>32
	s_setpc_b64 s[14:15]
.LBB1_6600:
	v_mov_b32_e32 v14, 0
	v_cmp_ne_u16_sdwa s[8:9], v16, v14 src0_sel:BYTE_0 src1_sel:DWORD
	s_andn2_b64 s[4:5], s[4:5], exec
	s_and_b64 s[8:9], s[8:9], exec
	s_or_b64 s[4:5], s[4:5], s[8:9]
	s_or_b64 exec, exec, s[6:7]
	v_or_b32_sdwa v12, v16, v12 dst_sel:DWORD dst_unused:UNUSED_PAD src0_sel:WORD_0 src1_sel:DWORD
	s_and_saveexec_b64 s[6:7], s[4:5]
	s_cbranch_execz .LBB1_9443
; %bb.14785:
	s_getpc_b64 s[14:15]
.Lpost_getpc3296:
	s_add_u32 s14, s14, (.LBB1_2503-.Lpost_getpc3296)&4294967295
	s_addc_u32 s15, s15, (.LBB1_2503-.Lpost_getpc3296)>>32
	s_setpc_b64 s[14:15]
.LBB1_9443:
	s_getpc_b64 s[14:15]
.Lpost_getpc625:
	s_add_u32 s14, s14, (.LBB1_2504-.Lpost_getpc625)&4294967295
	s_addc_u32 s15, s15, (.LBB1_2504-.Lpost_getpc625)>>32
	s_setpc_b64 s[14:15]
.LBB1_6601:
	s_movk_i32 s4, 0x80
	v_cmp_eq_u16_sdwa s[12:13], v14, s4 src0_sel:BYTE_0 src1_sel:DWORD
	s_mov_b64 s[4:5], -1
                                        ; implicit-def: $sgpr10
	s_and_saveexec_b64 s[8:9], s[12:13]
; %bb.6602:
	s_mov_b32 s10, 0x7f800001
	s_xor_b64 s[4:5], exec, -1
; %bb.6603:
	s_or_b64 exec, exec, s[8:9]
	s_and_b64 s[4:5], s[4:5], exec
	s_or_saveexec_b64 s[6:7], s[6:7]
	v_mov_b32_e32 v13, s10
	s_xor_b64 exec, exec, s[6:7]
	s_cbranch_execnz .LBB1_6604
; %bb.14787:
	s_getpc_b64 s[14:15]
.Lpost_getpc3297:
	s_add_u32 s14, s14, (.LBB1_2506-.Lpost_getpc3297)&4294967295
	s_addc_u32 s15, s15, (.LBB1_2506-.Lpost_getpc3297)>>32
	s_setpc_b64 s[14:15]
.LBB1_6604:
	v_mov_b32_e32 v13, 0
	v_cmp_ne_u16_sdwa s[8:9], v14, v13 src0_sel:BYTE_0 src1_sel:DWORD
	s_andn2_b64 s[4:5], s[4:5], exec
	s_and_b64 s[8:9], s[8:9], exec
	s_or_b64 s[4:5], s[4:5], s[8:9]
	s_or_b64 exec, exec, s[6:7]
	s_and_saveexec_b64 s[6:7], s[4:5]
	s_cbranch_execz .LBB1_9445
; %bb.14789:
	s_getpc_b64 s[14:15]
.Lpost_getpc3298:
	s_add_u32 s14, s14, (.LBB1_2507-.Lpost_getpc3298)&4294967295
	s_addc_u32 s15, s15, (.LBB1_2507-.Lpost_getpc3298)>>32
	s_setpc_b64 s[14:15]
.LBB1_9445:
	s_getpc_b64 s[14:15]
.Lpost_getpc626:
	s_add_u32 s14, s14, (.LBB1_2508-.Lpost_getpc626)&4294967295
	s_addc_u32 s15, s15, (.LBB1_2508-.Lpost_getpc626)>>32
	s_setpc_b64 s[14:15]
.LBB1_6605:
	s_movk_i32 s4, 0x80
	v_cmp_eq_u16_sdwa s[12:13], v14, s4 src0_sel:BYTE_0 src1_sel:DWORD
	s_mov_b64 s[4:5], -1
                                        ; implicit-def: $sgpr10
	s_and_saveexec_b64 s[8:9], s[12:13]
; %bb.6606:
	s_mov_b32 s10, 0x7f800001
	s_xor_b64 s[4:5], exec, -1
; %bb.6607:
	s_or_b64 exec, exec, s[8:9]
	s_and_b64 s[4:5], s[4:5], exec
	s_or_saveexec_b64 s[6:7], s[6:7]
	v_mov_b32_e32 v16, s10
	s_xor_b64 exec, exec, s[6:7]
	s_cbranch_execnz .LBB1_6608
; %bb.14791:
	s_getpc_b64 s[14:15]
.Lpost_getpc3299:
	s_add_u32 s14, s14, (.LBB1_2510-.Lpost_getpc3299)&4294967295
	s_addc_u32 s15, s15, (.LBB1_2510-.Lpost_getpc3299)>>32
	s_setpc_b64 s[14:15]
.LBB1_6608:
	v_mov_b32_e32 v16, 0
	v_cmp_ne_u16_sdwa s[8:9], v14, v16 src0_sel:BYTE_0 src1_sel:DWORD
	s_andn2_b64 s[4:5], s[4:5], exec
	s_and_b64 s[8:9], s[8:9], exec
	s_or_b64 s[4:5], s[4:5], s[8:9]
	s_or_b64 exec, exec, s[6:7]
	s_and_saveexec_b64 s[6:7], s[4:5]
	s_cbranch_execz .LBB1_9447
; %bb.14793:
	s_getpc_b64 s[14:15]
.Lpost_getpc3300:
	s_add_u32 s14, s14, (.LBB1_2511-.Lpost_getpc3300)&4294967295
	s_addc_u32 s15, s15, (.LBB1_2511-.Lpost_getpc3300)>>32
	s_setpc_b64 s[14:15]
.LBB1_9447:
	s_getpc_b64 s[14:15]
.Lpost_getpc627:
	s_add_u32 s14, s14, (.LBB1_2512-.Lpost_getpc627)&4294967295
	s_addc_u32 s15, s15, (.LBB1_2512-.Lpost_getpc627)>>32
	s_setpc_b64 s[14:15]
.LBB1_6609:
	s_movk_i32 s4, 0x80
	v_cmp_eq_u16_e32 vcc, s4, v14
	s_mov_b64 s[4:5], -1
                                        ; implicit-def: $sgpr10
	s_and_saveexec_b64 s[8:9], vcc
; %bb.6610:
	s_mov_b32 s10, 0x7f800001
	s_xor_b64 s[4:5], exec, -1
; %bb.6611:
	s_or_b64 exec, exec, s[8:9]
	s_and_b64 s[4:5], s[4:5], exec
                                        ; implicit-def: $vgpr14
	s_or_saveexec_b64 s[6:7], s[6:7]
	v_mov_b32_e32 v13, s10
	s_xor_b64 exec, exec, s[6:7]
	s_cbranch_execnz .LBB1_6612
; %bb.14795:
	s_getpc_b64 s[14:15]
.Lpost_getpc3301:
	s_add_u32 s14, s14, (.LBB1_2514-.Lpost_getpc3301)&4294967295
	s_addc_u32 s15, s15, (.LBB1_2514-.Lpost_getpc3301)>>32
	s_setpc_b64 s[14:15]
.LBB1_6612:
	v_cmp_ne_u16_e32 vcc, 0, v14
	s_andn2_b64 s[4:5], s[4:5], exec
	s_and_b64 s[8:9], vcc, exec
	v_mov_b32_e32 v13, 0
	s_or_b64 s[4:5], s[4:5], s[8:9]
	s_or_b64 exec, exec, s[6:7]
	s_and_saveexec_b64 s[6:7], s[4:5]
	s_cbranch_execz .LBB1_9449
; %bb.14797:
	s_getpc_b64 s[14:15]
.Lpost_getpc3302:
	s_add_u32 s14, s14, (.LBB1_2515-.Lpost_getpc3302)&4294967295
	s_addc_u32 s15, s15, (.LBB1_2515-.Lpost_getpc3302)>>32
	s_setpc_b64 s[14:15]
.LBB1_9449:
	s_getpc_b64 s[14:15]
.Lpost_getpc628:
	s_add_u32 s14, s14, (.LBB1_2516-.Lpost_getpc628)&4294967295
	s_addc_u32 s15, s15, (.LBB1_2516-.Lpost_getpc628)>>32
	s_setpc_b64 s[14:15]
.LBB1_6613:
	s_movk_i32 s4, 0x80
	v_cmp_eq_u16_e32 vcc, s4, v14
	s_mov_b64 s[4:5], -1
                                        ; implicit-def: $sgpr10
	s_and_saveexec_b64 s[8:9], vcc
; %bb.6614:
	s_mov_b32 s10, 0x7f800001
	s_xor_b64 s[4:5], exec, -1
; %bb.6615:
	s_or_b64 exec, exec, s[8:9]
	s_and_b64 s[4:5], s[4:5], exec
                                        ; implicit-def: $vgpr14
	s_or_saveexec_b64 s[6:7], s[6:7]
	v_mov_b32_e32 v16, s10
	s_xor_b64 exec, exec, s[6:7]
	s_cbranch_execnz .LBB1_6616
; %bb.14799:
	s_getpc_b64 s[14:15]
.Lpost_getpc3303:
	s_add_u32 s14, s14, (.LBB1_2518-.Lpost_getpc3303)&4294967295
	s_addc_u32 s15, s15, (.LBB1_2518-.Lpost_getpc3303)>>32
	s_setpc_b64 s[14:15]
.LBB1_6616:
	v_cmp_ne_u16_e32 vcc, 0, v14
	s_andn2_b64 s[4:5], s[4:5], exec
	s_and_b64 s[8:9], vcc, exec
	v_mov_b32_e32 v16, 0
	s_or_b64 s[4:5], s[4:5], s[8:9]
	s_or_b64 exec, exec, s[6:7]
	s_and_saveexec_b64 s[6:7], s[4:5]
	s_cbranch_execz .LBB1_9451
; %bb.14801:
	s_getpc_b64 s[14:15]
.Lpost_getpc3304:
	s_add_u32 s14, s14, (.LBB1_2519-.Lpost_getpc3304)&4294967295
	s_addc_u32 s15, s15, (.LBB1_2519-.Lpost_getpc3304)>>32
	s_setpc_b64 s[14:15]
.LBB1_9451:
	s_getpc_b64 s[14:15]
.Lpost_getpc629:
	s_add_u32 s14, s14, (.LBB1_2520-.Lpost_getpc629)&4294967295
	s_addc_u32 s15, s15, (.LBB1_2520-.Lpost_getpc629)>>32
	s_setpc_b64 s[14:15]
.LBB1_6617:
	s_movk_i32 s4, 0x80
	v_cmp_eq_u16_sdwa s[12:13], v18, s4 src0_sel:BYTE_3 src1_sel:DWORD
	s_mov_b64 s[4:5], -1
                                        ; implicit-def: $sgpr10
	s_and_saveexec_b64 s[8:9], s[12:13]
; %bb.6618:
	s_mov_b32 s10, 0x7f800001
	s_xor_b64 s[4:5], exec, -1
; %bb.6619:
	s_or_b64 exec, exec, s[8:9]
	s_and_b64 s[4:5], s[4:5], exec
	s_or_saveexec_b64 s[6:7], s[6:7]
	v_mov_b32_e32 v13, s10
	s_xor_b64 exec, exec, s[6:7]
	s_cbranch_execnz .LBB1_6620
; %bb.14803:
	s_getpc_b64 s[14:15]
.Lpost_getpc3305:
	s_add_u32 s14, s14, (.LBB1_2522-.Lpost_getpc3305)&4294967295
	s_addc_u32 s15, s15, (.LBB1_2522-.Lpost_getpc3305)>>32
	s_setpc_b64 s[14:15]
.LBB1_6620:
	v_mov_b32_e32 v13, 0
	v_cmp_ne_u16_sdwa s[8:9], v18, v13 src0_sel:BYTE_3 src1_sel:DWORD
	s_andn2_b64 s[4:5], s[4:5], exec
	s_and_b64 s[8:9], s[8:9], exec
	s_or_b64 s[4:5], s[4:5], s[8:9]
	s_or_b64 exec, exec, s[6:7]
	s_and_saveexec_b64 s[6:7], s[4:5]
	s_cbranch_execz .LBB1_9453
; %bb.14805:
	s_getpc_b64 s[14:15]
.Lpost_getpc3306:
	s_add_u32 s14, s14, (.LBB1_2523-.Lpost_getpc3306)&4294967295
	s_addc_u32 s15, s15, (.LBB1_2523-.Lpost_getpc3306)>>32
	s_setpc_b64 s[14:15]
.LBB1_9453:
	s_getpc_b64 s[14:15]
.Lpost_getpc630:
	s_add_u32 s14, s14, (.LBB1_2524-.Lpost_getpc630)&4294967295
	s_addc_u32 s15, s15, (.LBB1_2524-.Lpost_getpc630)>>32
	s_setpc_b64 s[14:15]
.LBB1_6621:
	s_movk_i32 s4, 0x80
	v_cmp_eq_u16_sdwa s[12:13], v12, s4 src0_sel:BYTE_3 src1_sel:DWORD
	s_mov_b64 s[4:5], -1
                                        ; implicit-def: $sgpr10
	s_and_saveexec_b64 s[8:9], s[12:13]
; %bb.6622:
	s_mov_b32 s10, 0x7f800001
	s_xor_b64 s[4:5], exec, -1
; %bb.6623:
	s_or_b64 exec, exec, s[8:9]
	s_and_b64 s[4:5], s[4:5], exec
	s_or_saveexec_b64 s[6:7], s[6:7]
	v_mov_b32_e32 v14, s10
	s_xor_b64 exec, exec, s[6:7]
	s_cbranch_execnz .LBB1_6624
; %bb.14807:
	s_getpc_b64 s[14:15]
.Lpost_getpc3307:
	s_add_u32 s14, s14, (.LBB1_2526-.Lpost_getpc3307)&4294967295
	s_addc_u32 s15, s15, (.LBB1_2526-.Lpost_getpc3307)>>32
	s_setpc_b64 s[14:15]
.LBB1_6624:
	v_mov_b32_e32 v14, 0
	v_cmp_ne_u16_sdwa s[8:9], v12, v14 src0_sel:BYTE_3 src1_sel:DWORD
	s_andn2_b64 s[4:5], s[4:5], exec
	s_and_b64 s[8:9], s[8:9], exec
	s_or_b64 s[4:5], s[4:5], s[8:9]
	s_or_b64 exec, exec, s[6:7]
	s_and_saveexec_b64 s[6:7], s[4:5]
	s_cbranch_execz .LBB1_9455
; %bb.14809:
	s_getpc_b64 s[14:15]
.Lpost_getpc3308:
	s_add_u32 s14, s14, (.LBB1_2527-.Lpost_getpc3308)&4294967295
	s_addc_u32 s15, s15, (.LBB1_2527-.Lpost_getpc3308)>>32
	s_setpc_b64 s[14:15]
.LBB1_9455:
	s_getpc_b64 s[14:15]
.Lpost_getpc631:
	s_add_u32 s14, s14, (.LBB1_2528-.Lpost_getpc631)&4294967295
	s_addc_u32 s15, s15, (.LBB1_2528-.Lpost_getpc631)>>32
	s_setpc_b64 s[14:15]
.LBB1_6625:
	s_movk_i32 s4, 0x80
	v_cmp_eq_u16_sdwa s[12:13], v19, s4 src0_sel:BYTE_0 src1_sel:DWORD
	s_mov_b64 s[4:5], -1
                                        ; implicit-def: $sgpr10
	s_and_saveexec_b64 s[8:9], s[12:13]
; %bb.6626:
	s_mov_b32 s10, 0x7f800001
	s_xor_b64 s[4:5], exec, -1
; %bb.6627:
	s_or_b64 exec, exec, s[8:9]
	s_and_b64 s[4:5], s[4:5], exec
	s_or_saveexec_b64 s[6:7], s[6:7]
	v_mov_b32_e32 v12, s10
	s_xor_b64 exec, exec, s[6:7]
	s_cbranch_execnz .LBB1_6628
; %bb.14811:
	s_getpc_b64 s[14:15]
.Lpost_getpc3309:
	s_add_u32 s14, s14, (.LBB1_2530-.Lpost_getpc3309)&4294967295
	s_addc_u32 s15, s15, (.LBB1_2530-.Lpost_getpc3309)>>32
	s_setpc_b64 s[14:15]
.LBB1_6628:
	v_mov_b32_e32 v12, 0
	v_cmp_ne_u16_sdwa s[8:9], v19, v12 src0_sel:BYTE_0 src1_sel:DWORD
	s_andn2_b64 s[4:5], s[4:5], exec
	s_and_b64 s[8:9], s[8:9], exec
	s_or_b64 s[4:5], s[4:5], s[8:9]
	s_or_b64 exec, exec, s[6:7]
	s_and_saveexec_b64 s[6:7], s[4:5]
	s_cbranch_execz .LBB1_9457
; %bb.14813:
	s_getpc_b64 s[14:15]
.Lpost_getpc3310:
	s_add_u32 s14, s14, (.LBB1_2531-.Lpost_getpc3310)&4294967295
	s_addc_u32 s15, s15, (.LBB1_2531-.Lpost_getpc3310)>>32
	s_setpc_b64 s[14:15]
.LBB1_9457:
	s_getpc_b64 s[14:15]
.Lpost_getpc632:
	s_add_u32 s14, s14, (.LBB1_2532-.Lpost_getpc632)&4294967295
	s_addc_u32 s15, s15, (.LBB1_2532-.Lpost_getpc632)>>32
	s_setpc_b64 s[14:15]
.LBB1_6629:
	s_movk_i32 s4, 0x80
	v_cmp_eq_u16_sdwa s[12:13], v15, s4 src0_sel:BYTE_0 src1_sel:DWORD
	s_mov_b64 s[4:5], -1
                                        ; implicit-def: $sgpr10
	s_and_saveexec_b64 s[8:9], s[12:13]
; %bb.6630:
	s_mov_b32 s10, 0x7f800001
	s_xor_b64 s[4:5], exec, -1
; %bb.6631:
	s_or_b64 exec, exec, s[8:9]
	s_and_b64 s[4:5], s[4:5], exec
	s_or_saveexec_b64 s[6:7], s[6:7]
	v_mov_b32_e32 v13, s10
	s_xor_b64 exec, exec, s[6:7]
	s_cbranch_execnz .LBB1_6632
; %bb.14815:
	s_getpc_b64 s[14:15]
.Lpost_getpc3311:
	s_add_u32 s14, s14, (.LBB1_2534-.Lpost_getpc3311)&4294967295
	s_addc_u32 s15, s15, (.LBB1_2534-.Lpost_getpc3311)>>32
	s_setpc_b64 s[14:15]
.LBB1_6632:
	v_mov_b32_e32 v13, 0
	v_cmp_ne_u16_sdwa s[8:9], v15, v13 src0_sel:BYTE_0 src1_sel:DWORD
	s_andn2_b64 s[4:5], s[4:5], exec
	s_and_b64 s[8:9], s[8:9], exec
	s_or_b64 s[4:5], s[4:5], s[8:9]
	s_or_b64 exec, exec, s[6:7]
	s_and_saveexec_b64 s[6:7], s[4:5]
	s_cbranch_execz .LBB1_9459
; %bb.14817:
	s_getpc_b64 s[14:15]
.Lpost_getpc3312:
	s_add_u32 s14, s14, (.LBB1_2535-.Lpost_getpc3312)&4294967295
	s_addc_u32 s15, s15, (.LBB1_2535-.Lpost_getpc3312)>>32
	s_setpc_b64 s[14:15]
.LBB1_9459:
	s_getpc_b64 s[14:15]
.Lpost_getpc633:
	s_add_u32 s14, s14, (.LBB1_2536-.Lpost_getpc633)&4294967295
	s_addc_u32 s15, s15, (.LBB1_2536-.Lpost_getpc633)>>32
	s_setpc_b64 s[14:15]
.LBB1_6633:
	s_movk_i32 s4, 0x80
	v_cmp_eq_u16_sdwa s[12:13], v13, s4 src0_sel:BYTE_0 src1_sel:DWORD
	s_mov_b64 s[4:5], -1
                                        ; implicit-def: $sgpr10
	s_and_saveexec_b64 s[8:9], s[12:13]
; %bb.6634:
	s_mov_b32 s10, 0x7f800001
	s_xor_b64 s[4:5], exec, -1
; %bb.6635:
	s_or_b64 exec, exec, s[8:9]
	s_and_b64 s[4:5], s[4:5], exec
	s_or_saveexec_b64 s[6:7], s[6:7]
	v_mov_b32_e32 v12, s10
	s_xor_b64 exec, exec, s[6:7]
	s_cbranch_execnz .LBB1_6636
; %bb.14819:
	s_getpc_b64 s[14:15]
.Lpost_getpc3313:
	s_add_u32 s14, s14, (.LBB1_2538-.Lpost_getpc3313)&4294967295
	s_addc_u32 s15, s15, (.LBB1_2538-.Lpost_getpc3313)>>32
	s_setpc_b64 s[14:15]
.LBB1_6636:
	v_mov_b32_e32 v12, 0
	v_cmp_ne_u16_sdwa s[8:9], v13, v12 src0_sel:BYTE_0 src1_sel:DWORD
	s_andn2_b64 s[4:5], s[4:5], exec
	s_and_b64 s[8:9], s[8:9], exec
	s_or_b64 s[4:5], s[4:5], s[8:9]
	s_or_b64 exec, exec, s[6:7]
	s_and_saveexec_b64 s[6:7], s[4:5]
	s_cbranch_execz .LBB1_9461
; %bb.14821:
	s_getpc_b64 s[14:15]
.Lpost_getpc3314:
	s_add_u32 s14, s14, (.LBB1_2539-.Lpost_getpc3314)&4294967295
	s_addc_u32 s15, s15, (.LBB1_2539-.Lpost_getpc3314)>>32
	s_setpc_b64 s[14:15]
.LBB1_9461:
	s_getpc_b64 s[14:15]
.Lpost_getpc634:
	s_add_u32 s14, s14, (.LBB1_2540-.Lpost_getpc634)&4294967295
	s_addc_u32 s15, s15, (.LBB1_2540-.Lpost_getpc634)>>32
	s_setpc_b64 s[14:15]
.LBB1_6637:
	s_movk_i32 s4, 0x80
	v_cmp_eq_u16_sdwa s[12:13], v13, s4 src0_sel:BYTE_0 src1_sel:DWORD
	s_mov_b64 s[4:5], -1
                                        ; implicit-def: $sgpr10
	s_and_saveexec_b64 s[8:9], s[12:13]
; %bb.6638:
	s_mov_b32 s10, 0x7f800001
	s_xor_b64 s[4:5], exec, -1
; %bb.6639:
	s_or_b64 exec, exec, s[8:9]
	s_and_b64 s[4:5], s[4:5], exec
	s_or_saveexec_b64 s[6:7], s[6:7]
	v_mov_b32_e32 v14, s10
	s_xor_b64 exec, exec, s[6:7]
	s_cbranch_execnz .LBB1_6640
; %bb.14823:
	s_getpc_b64 s[14:15]
.Lpost_getpc3315:
	s_add_u32 s14, s14, (.LBB1_2542-.Lpost_getpc3315)&4294967295
	s_addc_u32 s15, s15, (.LBB1_2542-.Lpost_getpc3315)>>32
	s_setpc_b64 s[14:15]
.LBB1_6640:
	v_mov_b32_e32 v14, 0
	v_cmp_ne_u16_sdwa s[8:9], v13, v14 src0_sel:BYTE_0 src1_sel:DWORD
	s_andn2_b64 s[4:5], s[4:5], exec
	s_and_b64 s[8:9], s[8:9], exec
	s_or_b64 s[4:5], s[4:5], s[8:9]
	s_or_b64 exec, exec, s[6:7]
	s_and_saveexec_b64 s[6:7], s[4:5]
	s_cbranch_execz .LBB1_9463
; %bb.14825:
	s_getpc_b64 s[14:15]
.Lpost_getpc3316:
	s_add_u32 s14, s14, (.LBB1_2543-.Lpost_getpc3316)&4294967295
	s_addc_u32 s15, s15, (.LBB1_2543-.Lpost_getpc3316)>>32
	s_setpc_b64 s[14:15]
.LBB1_9463:
	s_getpc_b64 s[14:15]
.Lpost_getpc635:
	s_add_u32 s14, s14, (.LBB1_2544-.Lpost_getpc635)&4294967295
	s_addc_u32 s15, s15, (.LBB1_2544-.Lpost_getpc635)>>32
	s_setpc_b64 s[14:15]
.LBB1_6641:
	s_movk_i32 s4, 0x80
	v_cmp_eq_u16_e32 vcc, s4, v13
	s_mov_b64 s[4:5], -1
                                        ; implicit-def: $sgpr10
	s_and_saveexec_b64 s[8:9], vcc
; %bb.6642:
	s_mov_b32 s10, 0x7f800001
	s_xor_b64 s[4:5], exec, -1
; %bb.6643:
	s_or_b64 exec, exec, s[8:9]
	s_and_b64 s[4:5], s[4:5], exec
                                        ; implicit-def: $vgpr13
	s_or_saveexec_b64 s[6:7], s[6:7]
	v_mov_b32_e32 v12, s10
	s_xor_b64 exec, exec, s[6:7]
	s_cbranch_execnz .LBB1_6644
; %bb.14827:
	s_getpc_b64 s[14:15]
.Lpost_getpc3317:
	s_add_u32 s14, s14, (.LBB1_2546-.Lpost_getpc3317)&4294967295
	s_addc_u32 s15, s15, (.LBB1_2546-.Lpost_getpc3317)>>32
	s_setpc_b64 s[14:15]
.LBB1_6644:
	v_cmp_ne_u16_e32 vcc, 0, v13
	s_andn2_b64 s[4:5], s[4:5], exec
	s_and_b64 s[8:9], vcc, exec
	v_mov_b32_e32 v12, 0
	s_or_b64 s[4:5], s[4:5], s[8:9]
	s_or_b64 exec, exec, s[6:7]
	s_and_saveexec_b64 s[6:7], s[4:5]
	s_cbranch_execz .LBB1_9465
; %bb.14829:
	s_getpc_b64 s[14:15]
.Lpost_getpc3318:
	s_add_u32 s14, s14, (.LBB1_2547-.Lpost_getpc3318)&4294967295
	s_addc_u32 s15, s15, (.LBB1_2547-.Lpost_getpc3318)>>32
	s_setpc_b64 s[14:15]
.LBB1_9465:
	s_getpc_b64 s[14:15]
.Lpost_getpc636:
	s_add_u32 s14, s14, (.LBB1_2548-.Lpost_getpc636)&4294967295
	s_addc_u32 s15, s15, (.LBB1_2548-.Lpost_getpc636)>>32
	s_setpc_b64 s[14:15]
.LBB1_6645:
	s_movk_i32 s4, 0x80
	v_cmp_eq_u16_e32 vcc, s4, v13
	s_mov_b64 s[4:5], -1
                                        ; implicit-def: $sgpr10
	s_and_saveexec_b64 s[8:9], vcc
; %bb.6646:
	s_mov_b32 s10, 0x7f800001
	s_xor_b64 s[4:5], exec, -1
; %bb.6647:
	s_or_b64 exec, exec, s[8:9]
	s_and_b64 s[4:5], s[4:5], exec
                                        ; implicit-def: $vgpr13
	s_or_saveexec_b64 s[6:7], s[6:7]
	v_mov_b32_e32 v14, s10
	s_xor_b64 exec, exec, s[6:7]
	s_cbranch_execnz .LBB1_6648
; %bb.14831:
	s_getpc_b64 s[14:15]
.Lpost_getpc3319:
	s_add_u32 s14, s14, (.LBB1_2550-.Lpost_getpc3319)&4294967295
	s_addc_u32 s15, s15, (.LBB1_2550-.Lpost_getpc3319)>>32
	s_setpc_b64 s[14:15]
.LBB1_6648:
	v_cmp_ne_u16_e32 vcc, 0, v13
	s_andn2_b64 s[4:5], s[4:5], exec
	s_and_b64 s[8:9], vcc, exec
	v_mov_b32_e32 v14, 0
	s_or_b64 s[4:5], s[4:5], s[8:9]
	s_or_b64 exec, exec, s[6:7]
	s_and_saveexec_b64 s[6:7], s[4:5]
	s_cbranch_execz .LBB1_9467
; %bb.14833:
	s_getpc_b64 s[14:15]
.Lpost_getpc3320:
	s_add_u32 s14, s14, (.LBB1_2551-.Lpost_getpc3320)&4294967295
	s_addc_u32 s15, s15, (.LBB1_2551-.Lpost_getpc3320)>>32
	s_setpc_b64 s[14:15]
.LBB1_9467:
	s_getpc_b64 s[14:15]
.Lpost_getpc637:
	s_add_u32 s14, s14, (.LBB1_2552-.Lpost_getpc637)&4294967295
	s_addc_u32 s15, s15, (.LBB1_2552-.Lpost_getpc637)>>32
	s_setpc_b64 s[14:15]
.LBB1_6649:
	s_movk_i32 s4, 0x80
	v_cmp_eq_u16_sdwa s[12:13], v19, s4 src0_sel:BYTE_3 src1_sel:DWORD
	s_mov_b64 s[4:5], -1
                                        ; implicit-def: $sgpr10
	s_and_saveexec_b64 s[8:9], s[12:13]
; %bb.6650:
	s_mov_b32 s10, 0x7f800001
	s_xor_b64 s[4:5], exec, -1
; %bb.6651:
	s_or_b64 exec, exec, s[8:9]
	s_and_b64 s[4:5], s[4:5], exec
	s_or_saveexec_b64 s[6:7], s[6:7]
	v_mov_b32_e32 v12, s10
	s_xor_b64 exec, exec, s[6:7]
	s_cbranch_execnz .LBB1_6652
; %bb.14835:
	s_getpc_b64 s[14:15]
.Lpost_getpc3321:
	s_add_u32 s14, s14, (.LBB1_2554-.Lpost_getpc3321)&4294967295
	s_addc_u32 s15, s15, (.LBB1_2554-.Lpost_getpc3321)>>32
	s_setpc_b64 s[14:15]
.LBB1_6652:
	v_mov_b32_e32 v12, 0
	v_cmp_ne_u16_sdwa s[8:9], v19, v12 src0_sel:BYTE_3 src1_sel:DWORD
	s_andn2_b64 s[4:5], s[4:5], exec
	s_and_b64 s[8:9], s[8:9], exec
	s_or_b64 s[4:5], s[4:5], s[8:9]
	s_or_b64 exec, exec, s[6:7]
	s_and_saveexec_b64 s[6:7], s[4:5]
	s_cbranch_execz .LBB1_9469
; %bb.14837:
	s_getpc_b64 s[14:15]
.Lpost_getpc3322:
	s_add_u32 s14, s14, (.LBB1_2555-.Lpost_getpc3322)&4294967295
	s_addc_u32 s15, s15, (.LBB1_2555-.Lpost_getpc3322)>>32
	s_setpc_b64 s[14:15]
.LBB1_9469:
	s_getpc_b64 s[14:15]
.Lpost_getpc638:
	s_add_u32 s14, s14, (.LBB1_2556-.Lpost_getpc638)&4294967295
	s_addc_u32 s15, s15, (.LBB1_2556-.Lpost_getpc638)>>32
	s_setpc_b64 s[14:15]
.LBB1_6653:
	s_movk_i32 s4, 0x80
	v_cmp_eq_u16_sdwa s[12:13], v15, s4 src0_sel:BYTE_3 src1_sel:DWORD
	s_mov_b64 s[4:5], -1
                                        ; implicit-def: $sgpr10
	s_and_saveexec_b64 s[8:9], s[12:13]
; %bb.6654:
	s_mov_b32 s10, 0x7f800001
	s_xor_b64 s[4:5], exec, -1
; %bb.6655:
	s_or_b64 exec, exec, s[8:9]
	s_and_b64 s[4:5], s[4:5], exec
	s_or_saveexec_b64 s[6:7], s[6:7]
	v_mov_b32_e32 v13, s10
	s_xor_b64 exec, exec, s[6:7]
	s_cbranch_execnz .LBB1_6656
; %bb.14839:
	s_getpc_b64 s[14:15]
.Lpost_getpc3323:
	s_add_u32 s14, s14, (.LBB1_2558-.Lpost_getpc3323)&4294967295
	s_addc_u32 s15, s15, (.LBB1_2558-.Lpost_getpc3323)>>32
	s_setpc_b64 s[14:15]
.LBB1_6656:
	v_mov_b32_e32 v13, 0
	v_cmp_ne_u16_sdwa s[8:9], v15, v13 src0_sel:BYTE_3 src1_sel:DWORD
	s_andn2_b64 s[4:5], s[4:5], exec
	s_and_b64 s[8:9], s[8:9], exec
	s_or_b64 s[4:5], s[4:5], s[8:9]
	s_or_b64 exec, exec, s[6:7]
	s_and_saveexec_b64 s[6:7], s[4:5]
	s_cbranch_execz .LBB1_9471
; %bb.14841:
	s_getpc_b64 s[14:15]
.Lpost_getpc3324:
	s_add_u32 s14, s14, (.LBB1_2559-.Lpost_getpc3324)&4294967295
	s_addc_u32 s15, s15, (.LBB1_2559-.Lpost_getpc3324)>>32
	s_setpc_b64 s[14:15]
.LBB1_9471:
	s_getpc_b64 s[14:15]
.Lpost_getpc639:
	s_add_u32 s14, s14, (.LBB1_2560-.Lpost_getpc639)&4294967295
	s_addc_u32 s15, s15, (.LBB1_2560-.Lpost_getpc639)>>32
	s_setpc_b64 s[14:15]
.LBB1_6657:
	s_movk_i32 s4, 0x80
	v_cmp_eq_u16_sdwa s[12:13], v16, s4 src0_sel:BYTE_0 src1_sel:DWORD
	s_mov_b64 s[4:5], -1
                                        ; implicit-def: $sgpr10
	s_and_saveexec_b64 s[8:9], s[12:13]
; %bb.6658:
	s_mov_b32 s10, 0x7f800001
	s_xor_b64 s[4:5], exec, -1
; %bb.6659:
	s_or_b64 exec, exec, s[8:9]
	s_and_b64 s[4:5], s[4:5], exec
	s_or_saveexec_b64 s[6:7], s[6:7]
	v_mov_b32_e32 v21, s10
	s_xor_b64 exec, exec, s[6:7]
	s_cbranch_execnz .LBB1_6660
; %bb.14843:
	s_getpc_b64 s[14:15]
.Lpost_getpc3325:
	s_add_u32 s14, s14, (.LBB1_2562-.Lpost_getpc3325)&4294967295
	s_addc_u32 s15, s15, (.LBB1_2562-.Lpost_getpc3325)>>32
	s_setpc_b64 s[14:15]
.LBB1_6660:
	v_mov_b32_e32 v21, 0
	v_cmp_ne_u16_sdwa s[8:9], v16, v21 src0_sel:BYTE_0 src1_sel:DWORD
	s_andn2_b64 s[4:5], s[4:5], exec
	s_and_b64 s[8:9], s[8:9], exec
	s_or_b64 s[4:5], s[4:5], s[8:9]
	s_or_b64 exec, exec, s[6:7]
	s_and_saveexec_b64 s[6:7], s[4:5]
	s_cbranch_execz .LBB1_9473
; %bb.14845:
	s_getpc_b64 s[14:15]
.Lpost_getpc3326:
	s_add_u32 s14, s14, (.LBB1_2563-.Lpost_getpc3326)&4294967295
	s_addc_u32 s15, s15, (.LBB1_2563-.Lpost_getpc3326)>>32
	s_setpc_b64 s[14:15]
.LBB1_9473:
	s_getpc_b64 s[14:15]
.Lpost_getpc640:
	s_add_u32 s14, s14, (.LBB1_2564-.Lpost_getpc640)&4294967295
	s_addc_u32 s15, s15, (.LBB1_2564-.Lpost_getpc640)>>32
	s_setpc_b64 s[14:15]
.LBB1_6661:
	s_movk_i32 s4, 0x80
	v_cmp_eq_u16_sdwa s[12:13], v12, s4 src0_sel:BYTE_0 src1_sel:DWORD
	s_mov_b64 s[4:5], -1
                                        ; implicit-def: $sgpr10
	s_and_saveexec_b64 s[8:9], s[12:13]
; %bb.6662:
	s_mov_b32 s10, 0x7f800001
	s_xor_b64 s[4:5], exec, -1
; %bb.6663:
	s_or_b64 exec, exec, s[8:9]
	s_and_b64 s[4:5], s[4:5], exec
	s_or_saveexec_b64 s[6:7], s[6:7]
	v_mov_b32_e32 v22, s10
	s_xor_b64 exec, exec, s[6:7]
	s_cbranch_execnz .LBB1_6664
; %bb.14847:
	s_getpc_b64 s[14:15]
.Lpost_getpc3327:
	s_add_u32 s14, s14, (.LBB1_2566-.Lpost_getpc3327)&4294967295
	s_addc_u32 s15, s15, (.LBB1_2566-.Lpost_getpc3327)>>32
	s_setpc_b64 s[14:15]
.LBB1_6664:
	v_mov_b32_e32 v22, 0
	v_cmp_ne_u16_sdwa s[8:9], v12, v22 src0_sel:BYTE_0 src1_sel:DWORD
	s_andn2_b64 s[4:5], s[4:5], exec
	s_and_b64 s[8:9], s[8:9], exec
	s_or_b64 s[4:5], s[4:5], s[8:9]
	s_or_b64 exec, exec, s[6:7]
	s_and_saveexec_b64 s[6:7], s[4:5]
	s_cbranch_execz .LBB1_9475
; %bb.14849:
	s_getpc_b64 s[14:15]
.Lpost_getpc3328:
	s_add_u32 s14, s14, (.LBB1_2567-.Lpost_getpc3328)&4294967295
	s_addc_u32 s15, s15, (.LBB1_2567-.Lpost_getpc3328)>>32
	s_setpc_b64 s[14:15]
.LBB1_9475:
	s_getpc_b64 s[14:15]
.Lpost_getpc641:
	s_add_u32 s14, s14, (.LBB1_2568-.Lpost_getpc641)&4294967295
	s_addc_u32 s15, s15, (.LBB1_2568-.Lpost_getpc641)>>32
	s_setpc_b64 s[14:15]
.LBB1_6665:
	s_movk_i32 s4, 0x80
	v_cmp_eq_u16_sdwa s[12:13], v22, s4 src0_sel:BYTE_0 src1_sel:DWORD
	s_mov_b64 s[4:5], -1
                                        ; implicit-def: $sgpr10
	s_and_saveexec_b64 s[8:9], s[12:13]
; %bb.6666:
	s_mov_b32 s10, 0x7f800001
	s_xor_b64 s[4:5], exec, -1
; %bb.6667:
	s_or_b64 exec, exec, s[8:9]
	s_and_b64 s[4:5], s[4:5], exec
	s_or_saveexec_b64 s[6:7], s[6:7]
	v_mov_b32_e32 v21, s10
	s_xor_b64 exec, exec, s[6:7]
	s_cbranch_execnz .LBB1_6668
; %bb.14851:
	s_getpc_b64 s[14:15]
.Lpost_getpc3329:
	s_add_u32 s14, s14, (.LBB1_2570-.Lpost_getpc3329)&4294967295
	s_addc_u32 s15, s15, (.LBB1_2570-.Lpost_getpc3329)>>32
	s_setpc_b64 s[14:15]
.LBB1_6668:
	v_mov_b32_e32 v21, 0
	v_cmp_ne_u16_sdwa s[8:9], v22, v21 src0_sel:BYTE_0 src1_sel:DWORD
	s_andn2_b64 s[4:5], s[4:5], exec
	s_and_b64 s[8:9], s[8:9], exec
	s_or_b64 s[4:5], s[4:5], s[8:9]
	s_or_b64 exec, exec, s[6:7]
	s_and_saveexec_b64 s[6:7], s[4:5]
	s_cbranch_execz .LBB1_9477
; %bb.14853:
	s_getpc_b64 s[14:15]
.Lpost_getpc3330:
	s_add_u32 s14, s14, (.LBB1_2571-.Lpost_getpc3330)&4294967295
	s_addc_u32 s15, s15, (.LBB1_2571-.Lpost_getpc3330)>>32
	s_setpc_b64 s[14:15]
.LBB1_9477:
	s_getpc_b64 s[14:15]
.Lpost_getpc642:
	s_add_u32 s14, s14, (.LBB1_2572-.Lpost_getpc642)&4294967295
	s_addc_u32 s15, s15, (.LBB1_2572-.Lpost_getpc642)>>32
	s_setpc_b64 s[14:15]
.LBB1_6669:
	s_movk_i32 s4, 0x80
	v_cmp_eq_u16_sdwa s[12:13], v22, s4 src0_sel:BYTE_0 src1_sel:DWORD
	s_mov_b64 s[4:5], -1
                                        ; implicit-def: $sgpr10
	s_and_saveexec_b64 s[8:9], s[12:13]
; %bb.6670:
	s_mov_b32 s10, 0x7f800001
	s_xor_b64 s[4:5], exec, -1
; %bb.6671:
	s_or_b64 exec, exec, s[8:9]
	s_and_b64 s[4:5], s[4:5], exec
	s_or_saveexec_b64 s[6:7], s[6:7]
	v_mov_b32_e32 v23, s10
	s_xor_b64 exec, exec, s[6:7]
	s_cbranch_execnz .LBB1_6672
; %bb.14855:
	s_getpc_b64 s[14:15]
.Lpost_getpc3331:
	s_add_u32 s14, s14, (.LBB1_2574-.Lpost_getpc3331)&4294967295
	s_addc_u32 s15, s15, (.LBB1_2574-.Lpost_getpc3331)>>32
	s_setpc_b64 s[14:15]
.LBB1_6672:
	v_mov_b32_e32 v23, 0
	v_cmp_ne_u16_sdwa s[8:9], v22, v23 src0_sel:BYTE_0 src1_sel:DWORD
	s_andn2_b64 s[4:5], s[4:5], exec
	s_and_b64 s[8:9], s[8:9], exec
	s_or_b64 s[4:5], s[4:5], s[8:9]
	s_or_b64 exec, exec, s[6:7]
	s_and_saveexec_b64 s[6:7], s[4:5]
	s_cbranch_execz .LBB1_9479
; %bb.14857:
	s_getpc_b64 s[14:15]
.Lpost_getpc3332:
	s_add_u32 s14, s14, (.LBB1_2575-.Lpost_getpc3332)&4294967295
	s_addc_u32 s15, s15, (.LBB1_2575-.Lpost_getpc3332)>>32
	s_setpc_b64 s[14:15]
.LBB1_9479:
	s_getpc_b64 s[14:15]
.Lpost_getpc643:
	s_add_u32 s14, s14, (.LBB1_2576-.Lpost_getpc643)&4294967295
	s_addc_u32 s15, s15, (.LBB1_2576-.Lpost_getpc643)>>32
	s_setpc_b64 s[14:15]
.LBB1_6673:
	s_movk_i32 s4, 0x80
	v_cmp_eq_u16_e32 vcc, s4, v22
	s_mov_b64 s[4:5], -1
                                        ; implicit-def: $sgpr10
	s_and_saveexec_b64 s[8:9], vcc
; %bb.6674:
	s_mov_b32 s10, 0x7f800001
	s_xor_b64 s[4:5], exec, -1
; %bb.6675:
	s_or_b64 exec, exec, s[8:9]
	s_and_b64 s[4:5], s[4:5], exec
                                        ; implicit-def: $vgpr22
	s_or_saveexec_b64 s[6:7], s[6:7]
	v_mov_b32_e32 v21, s10
	s_xor_b64 exec, exec, s[6:7]
	s_cbranch_execnz .LBB1_6676
; %bb.14859:
	s_getpc_b64 s[14:15]
.Lpost_getpc3333:
	s_add_u32 s14, s14, (.LBB1_2578-.Lpost_getpc3333)&4294967295
	s_addc_u32 s15, s15, (.LBB1_2578-.Lpost_getpc3333)>>32
	s_setpc_b64 s[14:15]
.LBB1_6676:
	v_cmp_ne_u16_e32 vcc, 0, v22
	s_andn2_b64 s[4:5], s[4:5], exec
	s_and_b64 s[8:9], vcc, exec
	v_mov_b32_e32 v21, 0
	s_or_b64 s[4:5], s[4:5], s[8:9]
	s_or_b64 exec, exec, s[6:7]
	s_and_saveexec_b64 s[6:7], s[4:5]
	s_cbranch_execz .LBB1_9481
; %bb.14861:
	s_getpc_b64 s[14:15]
.Lpost_getpc3334:
	s_add_u32 s14, s14, (.LBB1_2579-.Lpost_getpc3334)&4294967295
	s_addc_u32 s15, s15, (.LBB1_2579-.Lpost_getpc3334)>>32
	s_setpc_b64 s[14:15]
.LBB1_9481:
	s_getpc_b64 s[14:15]
.Lpost_getpc644:
	s_add_u32 s14, s14, (.LBB1_2580-.Lpost_getpc644)&4294967295
	s_addc_u32 s15, s15, (.LBB1_2580-.Lpost_getpc644)>>32
	s_setpc_b64 s[14:15]
.LBB1_6677:
	s_movk_i32 s4, 0x80
	v_cmp_eq_u16_e32 vcc, s4, v22
	s_mov_b64 s[4:5], -1
                                        ; implicit-def: $sgpr10
	s_and_saveexec_b64 s[8:9], vcc
; %bb.6678:
	s_mov_b32 s10, 0x7f800001
	s_xor_b64 s[4:5], exec, -1
; %bb.6679:
	s_or_b64 exec, exec, s[8:9]
	s_and_b64 s[4:5], s[4:5], exec
                                        ; implicit-def: $vgpr22
	s_or_saveexec_b64 s[6:7], s[6:7]
	v_mov_b32_e32 v23, s10
	s_xor_b64 exec, exec, s[6:7]
	s_cbranch_execnz .LBB1_6680
; %bb.14863:
	s_getpc_b64 s[14:15]
.Lpost_getpc3335:
	s_add_u32 s14, s14, (.LBB1_2582-.Lpost_getpc3335)&4294967295
	s_addc_u32 s15, s15, (.LBB1_2582-.Lpost_getpc3335)>>32
	s_setpc_b64 s[14:15]
.LBB1_6680:
	v_cmp_ne_u16_e32 vcc, 0, v22
	s_andn2_b64 s[4:5], s[4:5], exec
	s_and_b64 s[8:9], vcc, exec
	v_mov_b32_e32 v23, 0
	s_or_b64 s[4:5], s[4:5], s[8:9]
	s_or_b64 exec, exec, s[6:7]
	s_and_saveexec_b64 s[6:7], s[4:5]
	s_cbranch_execz .LBB1_9483
; %bb.14865:
	s_getpc_b64 s[14:15]
.Lpost_getpc3336:
	s_add_u32 s14, s14, (.LBB1_2583-.Lpost_getpc3336)&4294967295
	s_addc_u32 s15, s15, (.LBB1_2583-.Lpost_getpc3336)>>32
	s_setpc_b64 s[14:15]
.LBB1_9483:
	s_getpc_b64 s[14:15]
.Lpost_getpc645:
	s_add_u32 s14, s14, (.LBB1_2584-.Lpost_getpc645)&4294967295
	s_addc_u32 s15, s15, (.LBB1_2584-.Lpost_getpc645)>>32
	s_setpc_b64 s[14:15]
.LBB1_6681:
	s_movk_i32 s4, 0x80
	v_cmp_eq_u16_sdwa s[12:13], v16, s4 src0_sel:BYTE_3 src1_sel:DWORD
	s_mov_b64 s[4:5], -1
                                        ; implicit-def: $sgpr10
	s_and_saveexec_b64 s[8:9], s[12:13]
; %bb.6682:
	s_mov_b32 s10, 0x7f800001
	s_xor_b64 s[4:5], exec, -1
; %bb.6683:
	s_or_b64 exec, exec, s[8:9]
	s_and_b64 s[4:5], s[4:5], exec
	s_or_saveexec_b64 s[6:7], s[6:7]
	v_mov_b32_e32 v21, s10
	s_xor_b64 exec, exec, s[6:7]
	s_cbranch_execnz .LBB1_6684
; %bb.14867:
	s_getpc_b64 s[14:15]
.Lpost_getpc3337:
	s_add_u32 s14, s14, (.LBB1_2586-.Lpost_getpc3337)&4294967295
	s_addc_u32 s15, s15, (.LBB1_2586-.Lpost_getpc3337)>>32
	s_setpc_b64 s[14:15]
.LBB1_6684:
	v_mov_b32_e32 v21, 0
	v_cmp_ne_u16_sdwa s[8:9], v16, v21 src0_sel:BYTE_3 src1_sel:DWORD
	s_andn2_b64 s[4:5], s[4:5], exec
	s_and_b64 s[8:9], s[8:9], exec
	s_or_b64 s[4:5], s[4:5], s[8:9]
	s_or_b64 exec, exec, s[6:7]
	s_and_saveexec_b64 s[6:7], s[4:5]
	s_cbranch_execz .LBB1_9485
; %bb.14869:
	s_getpc_b64 s[14:15]
.Lpost_getpc3338:
	s_add_u32 s14, s14, (.LBB1_2587-.Lpost_getpc3338)&4294967295
	s_addc_u32 s15, s15, (.LBB1_2587-.Lpost_getpc3338)>>32
	s_setpc_b64 s[14:15]
.LBB1_9485:
	s_getpc_b64 s[14:15]
.Lpost_getpc646:
	s_add_u32 s14, s14, (.LBB1_2588-.Lpost_getpc646)&4294967295
	s_addc_u32 s15, s15, (.LBB1_2588-.Lpost_getpc646)>>32
	s_setpc_b64 s[14:15]
.LBB1_6685:
	s_movk_i32 s4, 0x80
	v_cmp_eq_u16_sdwa s[12:13], v12, s4 src0_sel:BYTE_3 src1_sel:DWORD
	s_mov_b64 s[4:5], -1
                                        ; implicit-def: $sgpr10
	s_and_saveexec_b64 s[8:9], s[12:13]
; %bb.6686:
	s_mov_b32 s10, 0x7f800001
	s_xor_b64 s[4:5], exec, -1
; %bb.6687:
	s_or_b64 exec, exec, s[8:9]
	s_and_b64 s[4:5], s[4:5], exec
	s_or_saveexec_b64 s[6:7], s[6:7]
	v_mov_b32_e32 v16, s10
	s_xor_b64 exec, exec, s[6:7]
	s_cbranch_execnz .LBB1_6688
; %bb.14871:
	s_getpc_b64 s[14:15]
.Lpost_getpc3339:
	s_add_u32 s14, s14, (.LBB1_2590-.Lpost_getpc3339)&4294967295
	s_addc_u32 s15, s15, (.LBB1_2590-.Lpost_getpc3339)>>32
	s_setpc_b64 s[14:15]
.LBB1_6688:
	v_mov_b32_e32 v16, 0
	v_cmp_ne_u16_sdwa s[8:9], v12, v16 src0_sel:BYTE_3 src1_sel:DWORD
	s_andn2_b64 s[4:5], s[4:5], exec
	s_and_b64 s[8:9], s[8:9], exec
	s_or_b64 s[4:5], s[4:5], s[8:9]
	s_or_b64 exec, exec, s[6:7]
	s_and_saveexec_b64 s[6:7], s[4:5]
	s_cbranch_execz .LBB1_9487
; %bb.14873:
	s_getpc_b64 s[14:15]
.Lpost_getpc3340:
	s_add_u32 s14, s14, (.LBB1_2591-.Lpost_getpc3340)&4294967295
	s_addc_u32 s15, s15, (.LBB1_2591-.Lpost_getpc3340)>>32
	s_setpc_b64 s[14:15]
.LBB1_9487:
	s_getpc_b64 s[14:15]
.Lpost_getpc647:
	s_add_u32 s14, s14, (.LBB1_2592-.Lpost_getpc647)&4294967295
	s_addc_u32 s15, s15, (.LBB1_2592-.Lpost_getpc647)>>32
	s_setpc_b64 s[14:15]
.LBB1_6689:
	s_movk_i32 s4, 0x80
	v_cmp_eq_u16_sdwa s[12:13], v17, s4 src0_sel:BYTE_0 src1_sel:DWORD
	s_mov_b64 s[4:5], -1
                                        ; implicit-def: $sgpr10
	s_and_saveexec_b64 s[8:9], s[12:13]
; %bb.6690:
	s_mov_b32 s10, 0x7f800001
	s_xor_b64 s[4:5], exec, -1
; %bb.6691:
	s_or_b64 exec, exec, s[8:9]
	s_and_b64 s[4:5], s[4:5], exec
	s_or_saveexec_b64 s[6:7], s[6:7]
	v_mov_b32_e32 v12, s10
	s_xor_b64 exec, exec, s[6:7]
	s_cbranch_execnz .LBB1_6692
; %bb.14875:
	s_getpc_b64 s[14:15]
.Lpost_getpc3341:
	s_add_u32 s14, s14, (.LBB1_2594-.Lpost_getpc3341)&4294967295
	s_addc_u32 s15, s15, (.LBB1_2594-.Lpost_getpc3341)>>32
	s_setpc_b64 s[14:15]
.LBB1_6692:
	v_mov_b32_e32 v12, 0
	v_cmp_ne_u16_sdwa s[8:9], v17, v12 src0_sel:BYTE_0 src1_sel:DWORD
	s_andn2_b64 s[4:5], s[4:5], exec
	s_and_b64 s[8:9], s[8:9], exec
	s_or_b64 s[4:5], s[4:5], s[8:9]
	s_or_b64 exec, exec, s[6:7]
	s_and_saveexec_b64 s[6:7], s[4:5]
	s_cbranch_execz .LBB1_9489
; %bb.14877:
	s_getpc_b64 s[14:15]
.Lpost_getpc3342:
	s_add_u32 s14, s14, (.LBB1_2595-.Lpost_getpc3342)&4294967295
	s_addc_u32 s15, s15, (.LBB1_2595-.Lpost_getpc3342)>>32
	s_setpc_b64 s[14:15]
.LBB1_9489:
	s_getpc_b64 s[14:15]
.Lpost_getpc648:
	s_add_u32 s14, s14, (.LBB1_2596-.Lpost_getpc648)&4294967295
	s_addc_u32 s15, s15, (.LBB1_2596-.Lpost_getpc648)>>32
	s_setpc_b64 s[14:15]
.LBB1_6693:
	s_movk_i32 s4, 0x80
	v_cmp_eq_u16_sdwa s[12:13], v13, s4 src0_sel:BYTE_0 src1_sel:DWORD
	s_mov_b64 s[4:5], -1
                                        ; implicit-def: $sgpr10
	s_and_saveexec_b64 s[8:9], s[12:13]
; %bb.6694:
	s_mov_b32 s10, 0x7f800001
	s_xor_b64 s[4:5], exec, -1
; %bb.6695:
	s_or_b64 exec, exec, s[8:9]
	s_and_b64 s[4:5], s[4:5], exec
	s_or_saveexec_b64 s[6:7], s[6:7]
	v_mov_b32_e32 v16, s10
	s_xor_b64 exec, exec, s[6:7]
	s_cbranch_execnz .LBB1_6696
; %bb.14879:
	s_getpc_b64 s[14:15]
.Lpost_getpc3343:
	s_add_u32 s14, s14, (.LBB1_2598-.Lpost_getpc3343)&4294967295
	s_addc_u32 s15, s15, (.LBB1_2598-.Lpost_getpc3343)>>32
	s_setpc_b64 s[14:15]
.LBB1_6696:
	v_mov_b32_e32 v16, 0
	v_cmp_ne_u16_sdwa s[8:9], v13, v16 src0_sel:BYTE_0 src1_sel:DWORD
	s_andn2_b64 s[4:5], s[4:5], exec
	s_and_b64 s[8:9], s[8:9], exec
	s_or_b64 s[4:5], s[4:5], s[8:9]
	s_or_b64 exec, exec, s[6:7]
	s_and_saveexec_b64 s[6:7], s[4:5]
	s_cbranch_execz .LBB1_9491
; %bb.14881:
	s_getpc_b64 s[14:15]
.Lpost_getpc3344:
	s_add_u32 s14, s14, (.LBB1_2599-.Lpost_getpc3344)&4294967295
	s_addc_u32 s15, s15, (.LBB1_2599-.Lpost_getpc3344)>>32
	s_setpc_b64 s[14:15]
.LBB1_9491:
	s_getpc_b64 s[14:15]
.Lpost_getpc649:
	s_add_u32 s14, s14, (.LBB1_2600-.Lpost_getpc649)&4294967295
	s_addc_u32 s15, s15, (.LBB1_2600-.Lpost_getpc649)>>32
	s_setpc_b64 s[14:15]
.LBB1_6697:
	s_movk_i32 s4, 0x80
	v_cmp_eq_u16_sdwa s[12:13], v16, s4 src0_sel:BYTE_0 src1_sel:DWORD
	s_mov_b64 s[4:5], -1
                                        ; implicit-def: $sgpr10
	s_and_saveexec_b64 s[8:9], s[12:13]
; %bb.6698:
	s_mov_b32 s10, 0x7f800001
	s_xor_b64 s[4:5], exec, -1
; %bb.6699:
	s_or_b64 exec, exec, s[8:9]
	s_and_b64 s[4:5], s[4:5], exec
	s_or_saveexec_b64 s[6:7], s[6:7]
	v_mov_b32_e32 v12, s10
	s_xor_b64 exec, exec, s[6:7]
	s_cbranch_execnz .LBB1_6700
; %bb.14883:
	s_getpc_b64 s[14:15]
.Lpost_getpc3345:
	s_add_u32 s14, s14, (.LBB1_2602-.Lpost_getpc3345)&4294967295
	s_addc_u32 s15, s15, (.LBB1_2602-.Lpost_getpc3345)>>32
	s_setpc_b64 s[14:15]
.LBB1_6700:
	v_mov_b32_e32 v12, 0
	v_cmp_ne_u16_sdwa s[8:9], v16, v12 src0_sel:BYTE_0 src1_sel:DWORD
	s_andn2_b64 s[4:5], s[4:5], exec
	s_and_b64 s[8:9], s[8:9], exec
	s_or_b64 s[4:5], s[4:5], s[8:9]
	s_or_b64 exec, exec, s[6:7]
	s_and_saveexec_b64 s[6:7], s[4:5]
	s_cbranch_execz .LBB1_9493
; %bb.14885:
	s_getpc_b64 s[14:15]
.Lpost_getpc3346:
	s_add_u32 s14, s14, (.LBB1_2603-.Lpost_getpc3346)&4294967295
	s_addc_u32 s15, s15, (.LBB1_2603-.Lpost_getpc3346)>>32
	s_setpc_b64 s[14:15]
.LBB1_9493:
	s_getpc_b64 s[14:15]
.Lpost_getpc650:
	s_add_u32 s14, s14, (.LBB1_2604-.Lpost_getpc650)&4294967295
	s_addc_u32 s15, s15, (.LBB1_2604-.Lpost_getpc650)>>32
	s_setpc_b64 s[14:15]
.LBB1_6701:
	s_movk_i32 s4, 0x80
	v_cmp_eq_u16_sdwa s[12:13], v16, s4 src0_sel:BYTE_0 src1_sel:DWORD
	s_mov_b64 s[4:5], -1
                                        ; implicit-def: $sgpr10
	s_and_saveexec_b64 s[8:9], s[12:13]
; %bb.6702:
	s_mov_b32 s10, 0x7f800001
	s_xor_b64 s[4:5], exec, -1
; %bb.6703:
	s_or_b64 exec, exec, s[8:9]
	s_and_b64 s[4:5], s[4:5], exec
	s_or_saveexec_b64 s[6:7], s[6:7]
	v_mov_b32_e32 v21, s10
	s_xor_b64 exec, exec, s[6:7]
	s_cbranch_execnz .LBB1_6704
; %bb.14887:
	s_getpc_b64 s[14:15]
.Lpost_getpc3347:
	s_add_u32 s14, s14, (.LBB1_2606-.Lpost_getpc3347)&4294967295
	s_addc_u32 s15, s15, (.LBB1_2606-.Lpost_getpc3347)>>32
	s_setpc_b64 s[14:15]
.LBB1_6704:
	v_mov_b32_e32 v21, 0
	v_cmp_ne_u16_sdwa s[8:9], v16, v21 src0_sel:BYTE_0 src1_sel:DWORD
	s_andn2_b64 s[4:5], s[4:5], exec
	s_and_b64 s[8:9], s[8:9], exec
	s_or_b64 s[4:5], s[4:5], s[8:9]
	s_or_b64 exec, exec, s[6:7]
	s_and_saveexec_b64 s[6:7], s[4:5]
	s_cbranch_execz .LBB1_9495
; %bb.14889:
	s_getpc_b64 s[14:15]
.Lpost_getpc3348:
	s_add_u32 s14, s14, (.LBB1_2607-.Lpost_getpc3348)&4294967295
	s_addc_u32 s15, s15, (.LBB1_2607-.Lpost_getpc3348)>>32
	s_setpc_b64 s[14:15]
.LBB1_9495:
	s_getpc_b64 s[14:15]
.Lpost_getpc651:
	s_add_u32 s14, s14, (.LBB1_2608-.Lpost_getpc651)&4294967295
	s_addc_u32 s15, s15, (.LBB1_2608-.Lpost_getpc651)>>32
	s_setpc_b64 s[14:15]
.LBB1_6705:
	s_movk_i32 s4, 0x80
	v_cmp_eq_u16_e32 vcc, s4, v16
	s_mov_b64 s[4:5], -1
                                        ; implicit-def: $sgpr10
	s_and_saveexec_b64 s[8:9], vcc
; %bb.6706:
	s_mov_b32 s10, 0x7f800001
	s_xor_b64 s[4:5], exec, -1
; %bb.6707:
	s_or_b64 exec, exec, s[8:9]
	s_and_b64 s[4:5], s[4:5], exec
                                        ; implicit-def: $vgpr16
	s_or_saveexec_b64 s[6:7], s[6:7]
	v_mov_b32_e32 v12, s10
	s_xor_b64 exec, exec, s[6:7]
	s_cbranch_execnz .LBB1_6708
; %bb.14891:
	s_getpc_b64 s[14:15]
.Lpost_getpc3349:
	s_add_u32 s14, s14, (.LBB1_2610-.Lpost_getpc3349)&4294967295
	s_addc_u32 s15, s15, (.LBB1_2610-.Lpost_getpc3349)>>32
	s_setpc_b64 s[14:15]
.LBB1_6708:
	v_cmp_ne_u16_e32 vcc, 0, v16
	s_andn2_b64 s[4:5], s[4:5], exec
	s_and_b64 s[8:9], vcc, exec
	v_mov_b32_e32 v12, 0
	s_or_b64 s[4:5], s[4:5], s[8:9]
	s_or_b64 exec, exec, s[6:7]
	s_and_saveexec_b64 s[6:7], s[4:5]
	s_cbranch_execz .LBB1_9497
; %bb.14893:
	s_getpc_b64 s[14:15]
.Lpost_getpc3350:
	s_add_u32 s14, s14, (.LBB1_2611-.Lpost_getpc3350)&4294967295
	s_addc_u32 s15, s15, (.LBB1_2611-.Lpost_getpc3350)>>32
	s_setpc_b64 s[14:15]
.LBB1_9497:
	s_getpc_b64 s[14:15]
.Lpost_getpc652:
	s_add_u32 s14, s14, (.LBB1_2612-.Lpost_getpc652)&4294967295
	s_addc_u32 s15, s15, (.LBB1_2612-.Lpost_getpc652)>>32
	s_setpc_b64 s[14:15]
.LBB1_6709:
	s_movk_i32 s4, 0x80
	v_cmp_eq_u16_e32 vcc, s4, v16
	s_mov_b64 s[4:5], -1
                                        ; implicit-def: $sgpr10
	s_and_saveexec_b64 s[8:9], vcc
; %bb.6710:
	s_mov_b32 s10, 0x7f800001
	s_xor_b64 s[4:5], exec, -1
; %bb.6711:
	s_or_b64 exec, exec, s[8:9]
	s_and_b64 s[4:5], s[4:5], exec
                                        ; implicit-def: $vgpr16
	s_or_saveexec_b64 s[6:7], s[6:7]
	v_mov_b32_e32 v21, s10
	s_xor_b64 exec, exec, s[6:7]
	s_cbranch_execnz .LBB1_6712
; %bb.14895:
	s_getpc_b64 s[14:15]
.Lpost_getpc3351:
	s_add_u32 s14, s14, (.LBB1_2614-.Lpost_getpc3351)&4294967295
	s_addc_u32 s15, s15, (.LBB1_2614-.Lpost_getpc3351)>>32
	s_setpc_b64 s[14:15]
.LBB1_6712:
	v_cmp_ne_u16_e32 vcc, 0, v16
	s_andn2_b64 s[4:5], s[4:5], exec
	s_and_b64 s[8:9], vcc, exec
	v_mov_b32_e32 v21, 0
	s_or_b64 s[4:5], s[4:5], s[8:9]
	s_or_b64 exec, exec, s[6:7]
	s_and_saveexec_b64 s[6:7], s[4:5]
	s_cbranch_execz .LBB1_9499
; %bb.14897:
	s_getpc_b64 s[14:15]
.Lpost_getpc3352:
	s_add_u32 s14, s14, (.LBB1_2615-.Lpost_getpc3352)&4294967295
	s_addc_u32 s15, s15, (.LBB1_2615-.Lpost_getpc3352)>>32
	s_setpc_b64 s[14:15]
.LBB1_9499:
	s_getpc_b64 s[14:15]
.Lpost_getpc653:
	s_add_u32 s14, s14, (.LBB1_2616-.Lpost_getpc653)&4294967295
	s_addc_u32 s15, s15, (.LBB1_2616-.Lpost_getpc653)>>32
	s_setpc_b64 s[14:15]
.LBB1_6713:
	s_movk_i32 s4, 0x80
	v_cmp_eq_u16_sdwa s[12:13], v17, s4 src0_sel:BYTE_3 src1_sel:DWORD
	s_mov_b64 s[4:5], -1
                                        ; implicit-def: $sgpr10
	s_and_saveexec_b64 s[8:9], s[12:13]
; %bb.6714:
	s_mov_b32 s10, 0x7f800001
	s_xor_b64 s[4:5], exec, -1
; %bb.6715:
	s_or_b64 exec, exec, s[8:9]
	s_and_b64 s[4:5], s[4:5], exec
	s_or_saveexec_b64 s[6:7], s[6:7]
	v_mov_b32_e32 v12, s10
	s_xor_b64 exec, exec, s[6:7]
	s_cbranch_execnz .LBB1_6716
; %bb.14899:
	s_getpc_b64 s[14:15]
.Lpost_getpc3353:
	s_add_u32 s14, s14, (.LBB1_2618-.Lpost_getpc3353)&4294967295
	s_addc_u32 s15, s15, (.LBB1_2618-.Lpost_getpc3353)>>32
	s_setpc_b64 s[14:15]
.LBB1_6716:
	v_mov_b32_e32 v12, 0
	v_cmp_ne_u16_sdwa s[8:9], v17, v12 src0_sel:BYTE_3 src1_sel:DWORD
	s_andn2_b64 s[4:5], s[4:5], exec
	s_and_b64 s[8:9], s[8:9], exec
	s_or_b64 s[4:5], s[4:5], s[8:9]
	s_or_b64 exec, exec, s[6:7]
	s_and_saveexec_b64 s[6:7], s[4:5]
	s_cbranch_execz .LBB1_9501
; %bb.14901:
	s_getpc_b64 s[14:15]
.Lpost_getpc3354:
	s_add_u32 s14, s14, (.LBB1_2619-.Lpost_getpc3354)&4294967295
	s_addc_u32 s15, s15, (.LBB1_2619-.Lpost_getpc3354)>>32
	s_setpc_b64 s[14:15]
.LBB1_9501:
	s_getpc_b64 s[14:15]
.Lpost_getpc654:
	s_add_u32 s14, s14, (.LBB1_2620-.Lpost_getpc654)&4294967295
	s_addc_u32 s15, s15, (.LBB1_2620-.Lpost_getpc654)>>32
	s_setpc_b64 s[14:15]
.LBB1_6717:
	s_movk_i32 s4, 0x80
	v_cmp_eq_u16_sdwa s[12:13], v13, s4 src0_sel:BYTE_3 src1_sel:DWORD
	s_mov_b64 s[4:5], -1
                                        ; implicit-def: $sgpr10
	s_and_saveexec_b64 s[8:9], s[12:13]
; %bb.6718:
	s_mov_b32 s10, 0x7f800001
	s_xor_b64 s[4:5], exec, -1
; %bb.6719:
	s_or_b64 exec, exec, s[8:9]
	s_and_b64 s[4:5], s[4:5], exec
	s_or_saveexec_b64 s[6:7], s[6:7]
	v_mov_b32_e32 v16, s10
	s_xor_b64 exec, exec, s[6:7]
	s_cbranch_execnz .LBB1_6720
; %bb.14903:
	s_getpc_b64 s[14:15]
.Lpost_getpc3355:
	s_add_u32 s14, s14, (.LBB1_2622-.Lpost_getpc3355)&4294967295
	s_addc_u32 s15, s15, (.LBB1_2622-.Lpost_getpc3355)>>32
	s_setpc_b64 s[14:15]
.LBB1_6720:
	v_mov_b32_e32 v16, 0
	v_cmp_ne_u16_sdwa s[8:9], v13, v16 src0_sel:BYTE_3 src1_sel:DWORD
	s_andn2_b64 s[4:5], s[4:5], exec
	s_and_b64 s[8:9], s[8:9], exec
	s_or_b64 s[4:5], s[4:5], s[8:9]
	s_or_b64 exec, exec, s[6:7]
	s_and_saveexec_b64 s[6:7], s[4:5]
	s_cbranch_execz .LBB1_9503
; %bb.14905:
	s_getpc_b64 s[14:15]
.Lpost_getpc3356:
	s_add_u32 s14, s14, (.LBB1_2623-.Lpost_getpc3356)&4294967295
	s_addc_u32 s15, s15, (.LBB1_2623-.Lpost_getpc3356)>>32
	s_setpc_b64 s[14:15]
.LBB1_9503:
	s_getpc_b64 s[14:15]
.Lpost_getpc655:
	s_add_u32 s14, s14, (.LBB1_2624-.Lpost_getpc655)&4294967295
	s_addc_u32 s15, s15, (.LBB1_2624-.Lpost_getpc655)>>32
	s_setpc_b64 s[14:15]
.LBB1_6721:
	s_movk_i32 s4, 0x80
	v_cmp_eq_u16_sdwa s[12:13], v18, s4 src0_sel:BYTE_0 src1_sel:DWORD
	s_mov_b64 s[4:5], -1
                                        ; implicit-def: $sgpr10
	s_and_saveexec_b64 s[8:9], s[12:13]
; %bb.6722:
	s_mov_b32 s10, 0x7f800001
	s_xor_b64 s[4:5], exec, -1
; %bb.6723:
	s_or_b64 exec, exec, s[8:9]
	s_and_b64 s[4:5], s[4:5], exec
	s_or_saveexec_b64 s[6:7], s[6:7]
	v_mov_b32_e32 v13, s10
	s_xor_b64 exec, exec, s[6:7]
	s_cbranch_execnz .LBB1_6724
; %bb.14907:
	s_getpc_b64 s[14:15]
.Lpost_getpc3357:
	s_add_u32 s14, s14, (.LBB1_2626-.Lpost_getpc3357)&4294967295
	s_addc_u32 s15, s15, (.LBB1_2626-.Lpost_getpc3357)>>32
	s_setpc_b64 s[14:15]
.LBB1_6724:
	v_mov_b32_e32 v13, 0
	v_cmp_ne_u16_sdwa s[8:9], v18, v13 src0_sel:BYTE_0 src1_sel:DWORD
	s_andn2_b64 s[4:5], s[4:5], exec
	s_and_b64 s[8:9], s[8:9], exec
	s_or_b64 s[4:5], s[4:5], s[8:9]
	s_or_b64 exec, exec, s[6:7]
	s_and_saveexec_b64 s[6:7], s[4:5]
	s_cbranch_execz .LBB1_9505
; %bb.14909:
	s_getpc_b64 s[14:15]
.Lpost_getpc3358:
	s_add_u32 s14, s14, (.LBB1_2627-.Lpost_getpc3358)&4294967295
	s_addc_u32 s15, s15, (.LBB1_2627-.Lpost_getpc3358)>>32
	s_setpc_b64 s[14:15]
.LBB1_9505:
	s_getpc_b64 s[14:15]
.Lpost_getpc656:
	s_add_u32 s14, s14, (.LBB1_2628-.Lpost_getpc656)&4294967295
	s_addc_u32 s15, s15, (.LBB1_2628-.Lpost_getpc656)>>32
	s_setpc_b64 s[14:15]
.LBB1_6725:
	s_movk_i32 s4, 0x80
	v_cmp_eq_u16_sdwa s[12:13], v16, s4 src0_sel:BYTE_0 src1_sel:DWORD
	s_mov_b64 s[4:5], -1
                                        ; implicit-def: $sgpr10
	s_and_saveexec_b64 s[8:9], s[12:13]
; %bb.6726:
	s_mov_b32 s10, 0x7f800001
	s_xor_b64 s[4:5], exec, -1
; %bb.6727:
	s_or_b64 exec, exec, s[8:9]
	s_and_b64 s[4:5], s[4:5], exec
	s_or_saveexec_b64 s[6:7], s[6:7]
	v_mov_b32_e32 v14, s10
	s_xor_b64 exec, exec, s[6:7]
	s_cbranch_execnz .LBB1_6728
; %bb.14911:
	s_getpc_b64 s[14:15]
.Lpost_getpc3359:
	s_add_u32 s14, s14, (.LBB1_2630-.Lpost_getpc3359)&4294967295
	s_addc_u32 s15, s15, (.LBB1_2630-.Lpost_getpc3359)>>32
	s_setpc_b64 s[14:15]
.LBB1_6728:
	v_mov_b32_e32 v14, 0
	v_cmp_ne_u16_sdwa s[8:9], v16, v14 src0_sel:BYTE_0 src1_sel:DWORD
	s_andn2_b64 s[4:5], s[4:5], exec
	s_and_b64 s[8:9], s[8:9], exec
	s_or_b64 s[4:5], s[4:5], s[8:9]
	s_or_b64 exec, exec, s[6:7]
	v_or_b32_sdwa v12, v16, v12 dst_sel:DWORD dst_unused:UNUSED_PAD src0_sel:WORD_0 src1_sel:DWORD
	s_and_saveexec_b64 s[6:7], s[4:5]
	s_cbranch_execz .LBB1_9507
; %bb.14913:
	s_getpc_b64 s[14:15]
.Lpost_getpc3360:
	s_add_u32 s14, s14, (.LBB1_2631-.Lpost_getpc3360)&4294967295
	s_addc_u32 s15, s15, (.LBB1_2631-.Lpost_getpc3360)>>32
	s_setpc_b64 s[14:15]
.LBB1_9507:
	s_getpc_b64 s[14:15]
.Lpost_getpc657:
	s_add_u32 s14, s14, (.LBB1_2632-.Lpost_getpc657)&4294967295
	s_addc_u32 s15, s15, (.LBB1_2632-.Lpost_getpc657)>>32
	s_setpc_b64 s[14:15]
.LBB1_6729:
	s_movk_i32 s4, 0x80
	v_cmp_eq_u16_sdwa s[12:13], v14, s4 src0_sel:BYTE_0 src1_sel:DWORD
	s_mov_b64 s[4:5], -1
                                        ; implicit-def: $sgpr10
	s_and_saveexec_b64 s[8:9], s[12:13]
; %bb.6730:
	s_mov_b32 s10, 0x7f800001
	s_xor_b64 s[4:5], exec, -1
; %bb.6731:
	s_or_b64 exec, exec, s[8:9]
	s_and_b64 s[4:5], s[4:5], exec
	s_or_saveexec_b64 s[6:7], s[6:7]
	v_mov_b32_e32 v13, s10
	s_xor_b64 exec, exec, s[6:7]
	s_cbranch_execnz .LBB1_6732
; %bb.14915:
	s_getpc_b64 s[14:15]
.Lpost_getpc3361:
	s_add_u32 s14, s14, (.LBB1_2634-.Lpost_getpc3361)&4294967295
	s_addc_u32 s15, s15, (.LBB1_2634-.Lpost_getpc3361)>>32
	s_setpc_b64 s[14:15]
.LBB1_6732:
	v_mov_b32_e32 v13, 0
	v_cmp_ne_u16_sdwa s[8:9], v14, v13 src0_sel:BYTE_0 src1_sel:DWORD
	s_andn2_b64 s[4:5], s[4:5], exec
	s_and_b64 s[8:9], s[8:9], exec
	s_or_b64 s[4:5], s[4:5], s[8:9]
	s_or_b64 exec, exec, s[6:7]
	s_and_saveexec_b64 s[6:7], s[4:5]
	s_cbranch_execz .LBB1_9509
; %bb.14917:
	s_getpc_b64 s[14:15]
.Lpost_getpc3362:
	s_add_u32 s14, s14, (.LBB1_2635-.Lpost_getpc3362)&4294967295
	s_addc_u32 s15, s15, (.LBB1_2635-.Lpost_getpc3362)>>32
	s_setpc_b64 s[14:15]
.LBB1_9509:
	s_getpc_b64 s[14:15]
.Lpost_getpc658:
	s_add_u32 s14, s14, (.LBB1_2636-.Lpost_getpc658)&4294967295
	s_addc_u32 s15, s15, (.LBB1_2636-.Lpost_getpc658)>>32
	s_setpc_b64 s[14:15]
.LBB1_6733:
	s_movk_i32 s4, 0x80
	v_cmp_eq_u16_sdwa s[12:13], v14, s4 src0_sel:BYTE_0 src1_sel:DWORD
	s_mov_b64 s[4:5], -1
                                        ; implicit-def: $sgpr10
	s_and_saveexec_b64 s[8:9], s[12:13]
; %bb.6734:
	s_mov_b32 s10, 0x7f800001
	s_xor_b64 s[4:5], exec, -1
; %bb.6735:
	s_or_b64 exec, exec, s[8:9]
	s_and_b64 s[4:5], s[4:5], exec
	s_or_saveexec_b64 s[6:7], s[6:7]
	v_mov_b32_e32 v16, s10
	s_xor_b64 exec, exec, s[6:7]
	s_cbranch_execnz .LBB1_6736
; %bb.14919:
	s_getpc_b64 s[14:15]
.Lpost_getpc3363:
	s_add_u32 s14, s14, (.LBB1_2638-.Lpost_getpc3363)&4294967295
	s_addc_u32 s15, s15, (.LBB1_2638-.Lpost_getpc3363)>>32
	s_setpc_b64 s[14:15]
.LBB1_6736:
	v_mov_b32_e32 v16, 0
	v_cmp_ne_u16_sdwa s[8:9], v14, v16 src0_sel:BYTE_0 src1_sel:DWORD
	s_andn2_b64 s[4:5], s[4:5], exec
	s_and_b64 s[8:9], s[8:9], exec
	s_or_b64 s[4:5], s[4:5], s[8:9]
	s_or_b64 exec, exec, s[6:7]
	s_and_saveexec_b64 s[6:7], s[4:5]
	s_cbranch_execz .LBB1_9511
; %bb.14921:
	s_getpc_b64 s[14:15]
.Lpost_getpc3364:
	s_add_u32 s14, s14, (.LBB1_2639-.Lpost_getpc3364)&4294967295
	s_addc_u32 s15, s15, (.LBB1_2639-.Lpost_getpc3364)>>32
	s_setpc_b64 s[14:15]
.LBB1_9511:
	s_getpc_b64 s[14:15]
.Lpost_getpc659:
	s_add_u32 s14, s14, (.LBB1_2640-.Lpost_getpc659)&4294967295
	s_addc_u32 s15, s15, (.LBB1_2640-.Lpost_getpc659)>>32
	s_setpc_b64 s[14:15]
.LBB1_6737:
	s_movk_i32 s4, 0x80
	v_cmp_eq_u16_e32 vcc, s4, v14
	s_mov_b64 s[4:5], -1
                                        ; implicit-def: $sgpr10
	s_and_saveexec_b64 s[8:9], vcc
; %bb.6738:
	s_mov_b32 s10, 0x7f800001
	s_xor_b64 s[4:5], exec, -1
; %bb.6739:
	s_or_b64 exec, exec, s[8:9]
	s_and_b64 s[4:5], s[4:5], exec
                                        ; implicit-def: $vgpr14
	s_or_saveexec_b64 s[6:7], s[6:7]
	v_mov_b32_e32 v13, s10
	s_xor_b64 exec, exec, s[6:7]
	s_cbranch_execnz .LBB1_6740
; %bb.14923:
	s_getpc_b64 s[14:15]
.Lpost_getpc3365:
	s_add_u32 s14, s14, (.LBB1_2642-.Lpost_getpc3365)&4294967295
	s_addc_u32 s15, s15, (.LBB1_2642-.Lpost_getpc3365)>>32
	s_setpc_b64 s[14:15]
.LBB1_6740:
	v_cmp_ne_u16_e32 vcc, 0, v14
	s_andn2_b64 s[4:5], s[4:5], exec
	s_and_b64 s[8:9], vcc, exec
	v_mov_b32_e32 v13, 0
	s_or_b64 s[4:5], s[4:5], s[8:9]
	s_or_b64 exec, exec, s[6:7]
	s_and_saveexec_b64 s[6:7], s[4:5]
	s_cbranch_execz .LBB1_9513
; %bb.14925:
	s_getpc_b64 s[14:15]
.Lpost_getpc3366:
	s_add_u32 s14, s14, (.LBB1_2643-.Lpost_getpc3366)&4294967295
	s_addc_u32 s15, s15, (.LBB1_2643-.Lpost_getpc3366)>>32
	s_setpc_b64 s[14:15]
.LBB1_9513:
	s_getpc_b64 s[14:15]
.Lpost_getpc660:
	s_add_u32 s14, s14, (.LBB1_2644-.Lpost_getpc660)&4294967295
	s_addc_u32 s15, s15, (.LBB1_2644-.Lpost_getpc660)>>32
	s_setpc_b64 s[14:15]
.LBB1_6741:
	s_movk_i32 s4, 0x80
	v_cmp_eq_u16_e32 vcc, s4, v14
	s_mov_b64 s[4:5], -1
                                        ; implicit-def: $sgpr10
	s_and_saveexec_b64 s[8:9], vcc
; %bb.6742:
	s_mov_b32 s10, 0x7f800001
	s_xor_b64 s[4:5], exec, -1
; %bb.6743:
	s_or_b64 exec, exec, s[8:9]
	s_and_b64 s[4:5], s[4:5], exec
                                        ; implicit-def: $vgpr14
	s_or_saveexec_b64 s[6:7], s[6:7]
	v_mov_b32_e32 v16, s10
	s_xor_b64 exec, exec, s[6:7]
	s_cbranch_execnz .LBB1_6744
; %bb.14927:
	s_getpc_b64 s[14:15]
.Lpost_getpc3367:
	s_add_u32 s14, s14, (.LBB1_2646-.Lpost_getpc3367)&4294967295
	s_addc_u32 s15, s15, (.LBB1_2646-.Lpost_getpc3367)>>32
	s_setpc_b64 s[14:15]
.LBB1_6744:
	v_cmp_ne_u16_e32 vcc, 0, v14
	s_andn2_b64 s[4:5], s[4:5], exec
	s_and_b64 s[8:9], vcc, exec
	v_mov_b32_e32 v16, 0
	s_or_b64 s[4:5], s[4:5], s[8:9]
	s_or_b64 exec, exec, s[6:7]
	s_and_saveexec_b64 s[6:7], s[4:5]
	s_cbranch_execz .LBB1_9515
; %bb.14929:
	s_getpc_b64 s[14:15]
.Lpost_getpc3368:
	s_add_u32 s14, s14, (.LBB1_2647-.Lpost_getpc3368)&4294967295
	s_addc_u32 s15, s15, (.LBB1_2647-.Lpost_getpc3368)>>32
	s_setpc_b64 s[14:15]
.LBB1_9515:
	s_getpc_b64 s[14:15]
.Lpost_getpc661:
	s_add_u32 s14, s14, (.LBB1_2648-.Lpost_getpc661)&4294967295
	s_addc_u32 s15, s15, (.LBB1_2648-.Lpost_getpc661)>>32
	s_setpc_b64 s[14:15]
.LBB1_6745:
	s_movk_i32 s4, 0x80
	v_cmp_eq_u16_sdwa s[12:13], v18, s4 src0_sel:BYTE_3 src1_sel:DWORD
	s_mov_b64 s[4:5], -1
                                        ; implicit-def: $sgpr10
	s_and_saveexec_b64 s[8:9], s[12:13]
; %bb.6746:
	s_mov_b32 s10, 0x7f800001
	s_xor_b64 s[4:5], exec, -1
; %bb.6747:
	s_or_b64 exec, exec, s[8:9]
	s_and_b64 s[4:5], s[4:5], exec
	s_or_saveexec_b64 s[6:7], s[6:7]
	v_mov_b32_e32 v13, s10
	s_xor_b64 exec, exec, s[6:7]
	s_cbranch_execnz .LBB1_6748
; %bb.14931:
	s_getpc_b64 s[14:15]
.Lpost_getpc3369:
	s_add_u32 s14, s14, (.LBB1_2650-.Lpost_getpc3369)&4294967295
	s_addc_u32 s15, s15, (.LBB1_2650-.Lpost_getpc3369)>>32
	s_setpc_b64 s[14:15]
.LBB1_6748:
	v_mov_b32_e32 v13, 0
	v_cmp_ne_u16_sdwa s[8:9], v18, v13 src0_sel:BYTE_3 src1_sel:DWORD
	s_andn2_b64 s[4:5], s[4:5], exec
	s_and_b64 s[8:9], s[8:9], exec
	s_or_b64 s[4:5], s[4:5], s[8:9]
	s_or_b64 exec, exec, s[6:7]
	s_and_saveexec_b64 s[6:7], s[4:5]
	s_cbranch_execz .LBB1_9517
; %bb.14933:
	s_getpc_b64 s[14:15]
.Lpost_getpc3370:
	s_add_u32 s14, s14, (.LBB1_2651-.Lpost_getpc3370)&4294967295
	s_addc_u32 s15, s15, (.LBB1_2651-.Lpost_getpc3370)>>32
	s_setpc_b64 s[14:15]
.LBB1_9517:
	s_getpc_b64 s[14:15]
.Lpost_getpc662:
	s_add_u32 s14, s14, (.LBB1_2652-.Lpost_getpc662)&4294967295
	s_addc_u32 s15, s15, (.LBB1_2652-.Lpost_getpc662)>>32
	s_setpc_b64 s[14:15]
.LBB1_6749:
	s_movk_i32 s4, 0x80
	v_cmp_eq_u16_sdwa s[12:13], v12, s4 src0_sel:BYTE_3 src1_sel:DWORD
	s_mov_b64 s[4:5], -1
                                        ; implicit-def: $sgpr10
	s_and_saveexec_b64 s[8:9], s[12:13]
; %bb.6750:
	s_mov_b32 s10, 0x7f800001
	s_xor_b64 s[4:5], exec, -1
; %bb.6751:
	s_or_b64 exec, exec, s[8:9]
	s_and_b64 s[4:5], s[4:5], exec
	s_or_saveexec_b64 s[6:7], s[6:7]
	v_mov_b32_e32 v14, s10
	s_xor_b64 exec, exec, s[6:7]
	s_cbranch_execnz .LBB1_6752
; %bb.14935:
	s_getpc_b64 s[14:15]
.Lpost_getpc3371:
	s_add_u32 s14, s14, (.LBB1_2654-.Lpost_getpc3371)&4294967295
	s_addc_u32 s15, s15, (.LBB1_2654-.Lpost_getpc3371)>>32
	s_setpc_b64 s[14:15]
.LBB1_6752:
	v_mov_b32_e32 v14, 0
	v_cmp_ne_u16_sdwa s[8:9], v12, v14 src0_sel:BYTE_3 src1_sel:DWORD
	s_andn2_b64 s[4:5], s[4:5], exec
	s_and_b64 s[8:9], s[8:9], exec
	s_or_b64 s[4:5], s[4:5], s[8:9]
	s_or_b64 exec, exec, s[6:7]
	s_and_saveexec_b64 s[6:7], s[4:5]
	s_cbranch_execz .LBB1_9519
; %bb.14937:
	s_getpc_b64 s[14:15]
.Lpost_getpc3372:
	s_add_u32 s14, s14, (.LBB1_2655-.Lpost_getpc3372)&4294967295
	s_addc_u32 s15, s15, (.LBB1_2655-.Lpost_getpc3372)>>32
	s_setpc_b64 s[14:15]
.LBB1_9519:
	s_getpc_b64 s[14:15]
.Lpost_getpc663:
	s_add_u32 s14, s14, (.LBB1_2656-.Lpost_getpc663)&4294967295
	s_addc_u32 s15, s15, (.LBB1_2656-.Lpost_getpc663)>>32
	s_setpc_b64 s[14:15]
.LBB1_6753:
	s_movk_i32 s4, 0x80
	v_cmp_eq_u16_sdwa s[12:13], v19, s4 src0_sel:BYTE_0 src1_sel:DWORD
	s_mov_b64 s[4:5], -1
                                        ; implicit-def: $sgpr10
	s_and_saveexec_b64 s[8:9], s[12:13]
; %bb.6754:
	s_mov_b32 s10, 0x7f800001
	s_xor_b64 s[4:5], exec, -1
; %bb.6755:
	s_or_b64 exec, exec, s[8:9]
	s_and_b64 s[4:5], s[4:5], exec
	s_or_saveexec_b64 s[6:7], s[6:7]
	v_mov_b32_e32 v12, s10
	s_xor_b64 exec, exec, s[6:7]
	s_cbranch_execnz .LBB1_6756
; %bb.14939:
	s_getpc_b64 s[14:15]
.Lpost_getpc3373:
	s_add_u32 s14, s14, (.LBB1_2658-.Lpost_getpc3373)&4294967295
	s_addc_u32 s15, s15, (.LBB1_2658-.Lpost_getpc3373)>>32
	s_setpc_b64 s[14:15]
.LBB1_6756:
	v_mov_b32_e32 v12, 0
	v_cmp_ne_u16_sdwa s[8:9], v19, v12 src0_sel:BYTE_0 src1_sel:DWORD
	s_andn2_b64 s[4:5], s[4:5], exec
	s_and_b64 s[8:9], s[8:9], exec
	s_or_b64 s[4:5], s[4:5], s[8:9]
	s_or_b64 exec, exec, s[6:7]
	s_and_saveexec_b64 s[6:7], s[4:5]
	s_cbranch_execz .LBB1_9521
; %bb.14941:
	s_getpc_b64 s[14:15]
.Lpost_getpc3374:
	s_add_u32 s14, s14, (.LBB1_2659-.Lpost_getpc3374)&4294967295
	s_addc_u32 s15, s15, (.LBB1_2659-.Lpost_getpc3374)>>32
	s_setpc_b64 s[14:15]
.LBB1_9521:
	s_getpc_b64 s[14:15]
.Lpost_getpc664:
	s_add_u32 s14, s14, (.LBB1_2660-.Lpost_getpc664)&4294967295
	s_addc_u32 s15, s15, (.LBB1_2660-.Lpost_getpc664)>>32
	s_setpc_b64 s[14:15]
.LBB1_6757:
	s_movk_i32 s4, 0x80
	v_cmp_eq_u16_sdwa s[12:13], v15, s4 src0_sel:BYTE_0 src1_sel:DWORD
	s_mov_b64 s[4:5], -1
                                        ; implicit-def: $sgpr10
	s_and_saveexec_b64 s[8:9], s[12:13]
; %bb.6758:
	s_mov_b32 s10, 0x7f800001
	s_xor_b64 s[4:5], exec, -1
; %bb.6759:
	s_or_b64 exec, exec, s[8:9]
	s_and_b64 s[4:5], s[4:5], exec
	s_or_saveexec_b64 s[6:7], s[6:7]
	v_mov_b32_e32 v13, s10
	s_xor_b64 exec, exec, s[6:7]
	s_cbranch_execnz .LBB1_6760
; %bb.14943:
	s_getpc_b64 s[14:15]
.Lpost_getpc3375:
	s_add_u32 s14, s14, (.LBB1_2662-.Lpost_getpc3375)&4294967295
	s_addc_u32 s15, s15, (.LBB1_2662-.Lpost_getpc3375)>>32
	s_setpc_b64 s[14:15]
.LBB1_6760:
	v_mov_b32_e32 v13, 0
	v_cmp_ne_u16_sdwa s[8:9], v15, v13 src0_sel:BYTE_0 src1_sel:DWORD
	s_andn2_b64 s[4:5], s[4:5], exec
	s_and_b64 s[8:9], s[8:9], exec
	s_or_b64 s[4:5], s[4:5], s[8:9]
	s_or_b64 exec, exec, s[6:7]
	s_and_saveexec_b64 s[6:7], s[4:5]
	s_cbranch_execz .LBB1_9523
; %bb.14945:
	s_getpc_b64 s[14:15]
.Lpost_getpc3376:
	s_add_u32 s14, s14, (.LBB1_2663-.Lpost_getpc3376)&4294967295
	s_addc_u32 s15, s15, (.LBB1_2663-.Lpost_getpc3376)>>32
	s_setpc_b64 s[14:15]
.LBB1_9523:
	s_getpc_b64 s[14:15]
.Lpost_getpc665:
	s_add_u32 s14, s14, (.LBB1_2664-.Lpost_getpc665)&4294967295
	s_addc_u32 s15, s15, (.LBB1_2664-.Lpost_getpc665)>>32
	s_setpc_b64 s[14:15]
.LBB1_6761:
	s_movk_i32 s4, 0x80
	v_cmp_eq_u16_sdwa s[12:13], v13, s4 src0_sel:BYTE_0 src1_sel:DWORD
	s_mov_b64 s[4:5], -1
                                        ; implicit-def: $sgpr10
	s_and_saveexec_b64 s[8:9], s[12:13]
; %bb.6762:
	s_mov_b32 s10, 0x7f800001
	s_xor_b64 s[4:5], exec, -1
; %bb.6763:
	s_or_b64 exec, exec, s[8:9]
	s_and_b64 s[4:5], s[4:5], exec
	s_or_saveexec_b64 s[6:7], s[6:7]
	v_mov_b32_e32 v12, s10
	s_xor_b64 exec, exec, s[6:7]
	s_cbranch_execnz .LBB1_6764
; %bb.14947:
	s_getpc_b64 s[14:15]
.Lpost_getpc3377:
	s_add_u32 s14, s14, (.LBB1_2666-.Lpost_getpc3377)&4294967295
	s_addc_u32 s15, s15, (.LBB1_2666-.Lpost_getpc3377)>>32
	s_setpc_b64 s[14:15]
.LBB1_6764:
	v_mov_b32_e32 v12, 0
	v_cmp_ne_u16_sdwa s[8:9], v13, v12 src0_sel:BYTE_0 src1_sel:DWORD
	s_andn2_b64 s[4:5], s[4:5], exec
	s_and_b64 s[8:9], s[8:9], exec
	s_or_b64 s[4:5], s[4:5], s[8:9]
	s_or_b64 exec, exec, s[6:7]
	s_and_saveexec_b64 s[6:7], s[4:5]
	s_cbranch_execz .LBB1_9525
; %bb.14949:
	s_getpc_b64 s[14:15]
.Lpost_getpc3378:
	s_add_u32 s14, s14, (.LBB1_2667-.Lpost_getpc3378)&4294967295
	s_addc_u32 s15, s15, (.LBB1_2667-.Lpost_getpc3378)>>32
	s_setpc_b64 s[14:15]
.LBB1_9525:
	s_getpc_b64 s[14:15]
.Lpost_getpc666:
	s_add_u32 s14, s14, (.LBB1_2668-.Lpost_getpc666)&4294967295
	s_addc_u32 s15, s15, (.LBB1_2668-.Lpost_getpc666)>>32
	s_setpc_b64 s[14:15]
.LBB1_6765:
	s_movk_i32 s4, 0x80
	v_cmp_eq_u16_sdwa s[12:13], v13, s4 src0_sel:BYTE_0 src1_sel:DWORD
	s_mov_b64 s[4:5], -1
                                        ; implicit-def: $sgpr10
	s_and_saveexec_b64 s[8:9], s[12:13]
; %bb.6766:
	s_mov_b32 s10, 0x7f800001
	s_xor_b64 s[4:5], exec, -1
; %bb.6767:
	s_or_b64 exec, exec, s[8:9]
	s_and_b64 s[4:5], s[4:5], exec
	s_or_saveexec_b64 s[6:7], s[6:7]
	v_mov_b32_e32 v14, s10
	s_xor_b64 exec, exec, s[6:7]
	s_cbranch_execnz .LBB1_6768
; %bb.14951:
	s_getpc_b64 s[14:15]
.Lpost_getpc3379:
	s_add_u32 s14, s14, (.LBB1_2670-.Lpost_getpc3379)&4294967295
	s_addc_u32 s15, s15, (.LBB1_2670-.Lpost_getpc3379)>>32
	s_setpc_b64 s[14:15]
.LBB1_6768:
	v_mov_b32_e32 v14, 0
	v_cmp_ne_u16_sdwa s[8:9], v13, v14 src0_sel:BYTE_0 src1_sel:DWORD
	s_andn2_b64 s[4:5], s[4:5], exec
	s_and_b64 s[8:9], s[8:9], exec
	s_or_b64 s[4:5], s[4:5], s[8:9]
	s_or_b64 exec, exec, s[6:7]
	s_and_saveexec_b64 s[6:7], s[4:5]
	s_cbranch_execz .LBB1_9527
; %bb.14953:
	s_getpc_b64 s[14:15]
.Lpost_getpc3380:
	s_add_u32 s14, s14, (.LBB1_2671-.Lpost_getpc3380)&4294967295
	s_addc_u32 s15, s15, (.LBB1_2671-.Lpost_getpc3380)>>32
	s_setpc_b64 s[14:15]
.LBB1_9527:
	s_getpc_b64 s[14:15]
.Lpost_getpc667:
	s_add_u32 s14, s14, (.LBB1_2672-.Lpost_getpc667)&4294967295
	s_addc_u32 s15, s15, (.LBB1_2672-.Lpost_getpc667)>>32
	s_setpc_b64 s[14:15]
.LBB1_6769:
	s_movk_i32 s4, 0x80
	v_cmp_eq_u16_e32 vcc, s4, v13
	s_mov_b64 s[4:5], -1
                                        ; implicit-def: $sgpr10
	s_and_saveexec_b64 s[8:9], vcc
; %bb.6770:
	s_mov_b32 s10, 0x7f800001
	s_xor_b64 s[4:5], exec, -1
; %bb.6771:
	s_or_b64 exec, exec, s[8:9]
	s_and_b64 s[4:5], s[4:5], exec
                                        ; implicit-def: $vgpr13
	s_or_saveexec_b64 s[6:7], s[6:7]
	v_mov_b32_e32 v12, s10
	s_xor_b64 exec, exec, s[6:7]
	s_cbranch_execnz .LBB1_6772
; %bb.14955:
	s_getpc_b64 s[14:15]
.Lpost_getpc3381:
	s_add_u32 s14, s14, (.LBB1_2674-.Lpost_getpc3381)&4294967295
	s_addc_u32 s15, s15, (.LBB1_2674-.Lpost_getpc3381)>>32
	s_setpc_b64 s[14:15]
.LBB1_6772:
	v_cmp_ne_u16_e32 vcc, 0, v13
	s_andn2_b64 s[4:5], s[4:5], exec
	s_and_b64 s[8:9], vcc, exec
	v_mov_b32_e32 v12, 0
	s_or_b64 s[4:5], s[4:5], s[8:9]
	s_or_b64 exec, exec, s[6:7]
	s_and_saveexec_b64 s[6:7], s[4:5]
	s_cbranch_execz .LBB1_9529
; %bb.14957:
	s_getpc_b64 s[14:15]
.Lpost_getpc3382:
	s_add_u32 s14, s14, (.LBB1_2675-.Lpost_getpc3382)&4294967295
	s_addc_u32 s15, s15, (.LBB1_2675-.Lpost_getpc3382)>>32
	s_setpc_b64 s[14:15]
.LBB1_9529:
	s_getpc_b64 s[14:15]
.Lpost_getpc668:
	s_add_u32 s14, s14, (.LBB1_2676-.Lpost_getpc668)&4294967295
	s_addc_u32 s15, s15, (.LBB1_2676-.Lpost_getpc668)>>32
	s_setpc_b64 s[14:15]
.LBB1_6773:
	s_movk_i32 s4, 0x80
	v_cmp_eq_u16_e32 vcc, s4, v13
	s_mov_b64 s[4:5], -1
                                        ; implicit-def: $sgpr10
	s_and_saveexec_b64 s[8:9], vcc
; %bb.6774:
	s_mov_b32 s10, 0x7f800001
	s_xor_b64 s[4:5], exec, -1
; %bb.6775:
	s_or_b64 exec, exec, s[8:9]
	s_and_b64 s[4:5], s[4:5], exec
                                        ; implicit-def: $vgpr13
	s_or_saveexec_b64 s[6:7], s[6:7]
	v_mov_b32_e32 v14, s10
	s_xor_b64 exec, exec, s[6:7]
	s_cbranch_execnz .LBB1_6776
; %bb.14959:
	s_getpc_b64 s[14:15]
.Lpost_getpc3383:
	s_add_u32 s14, s14, (.LBB1_2678-.Lpost_getpc3383)&4294967295
	s_addc_u32 s15, s15, (.LBB1_2678-.Lpost_getpc3383)>>32
	s_setpc_b64 s[14:15]
.LBB1_6776:
	v_cmp_ne_u16_e32 vcc, 0, v13
	s_andn2_b64 s[4:5], s[4:5], exec
	s_and_b64 s[8:9], vcc, exec
	v_mov_b32_e32 v14, 0
	s_or_b64 s[4:5], s[4:5], s[8:9]
	s_or_b64 exec, exec, s[6:7]
	s_and_saveexec_b64 s[6:7], s[4:5]
	s_cbranch_execz .LBB1_9531
; %bb.14961:
	s_getpc_b64 s[14:15]
.Lpost_getpc3384:
	s_add_u32 s14, s14, (.LBB1_2679-.Lpost_getpc3384)&4294967295
	s_addc_u32 s15, s15, (.LBB1_2679-.Lpost_getpc3384)>>32
	s_setpc_b64 s[14:15]
.LBB1_9531:
	s_getpc_b64 s[14:15]
.Lpost_getpc669:
	s_add_u32 s14, s14, (.LBB1_2680-.Lpost_getpc669)&4294967295
	s_addc_u32 s15, s15, (.LBB1_2680-.Lpost_getpc669)>>32
	s_setpc_b64 s[14:15]
.LBB1_6777:
	s_movk_i32 s4, 0x80
	v_cmp_eq_u16_sdwa s[12:13], v19, s4 src0_sel:BYTE_3 src1_sel:DWORD
	s_mov_b64 s[4:5], -1
                                        ; implicit-def: $sgpr10
	s_and_saveexec_b64 s[8:9], s[12:13]
; %bb.6778:
	s_mov_b32 s10, 0x7f800001
	s_xor_b64 s[4:5], exec, -1
; %bb.6779:
	s_or_b64 exec, exec, s[8:9]
	s_and_b64 s[4:5], s[4:5], exec
	s_or_saveexec_b64 s[6:7], s[6:7]
	v_mov_b32_e32 v12, s10
	s_xor_b64 exec, exec, s[6:7]
	s_cbranch_execnz .LBB1_6780
; %bb.14963:
	s_getpc_b64 s[14:15]
.Lpost_getpc3385:
	s_add_u32 s14, s14, (.LBB1_2682-.Lpost_getpc3385)&4294967295
	s_addc_u32 s15, s15, (.LBB1_2682-.Lpost_getpc3385)>>32
	s_setpc_b64 s[14:15]
.LBB1_6780:
	v_mov_b32_e32 v12, 0
	v_cmp_ne_u16_sdwa s[8:9], v19, v12 src0_sel:BYTE_3 src1_sel:DWORD
	s_andn2_b64 s[4:5], s[4:5], exec
	s_and_b64 s[8:9], s[8:9], exec
	s_or_b64 s[4:5], s[4:5], s[8:9]
	s_or_b64 exec, exec, s[6:7]
	s_and_saveexec_b64 s[6:7], s[4:5]
	s_cbranch_execz .LBB1_9533
; %bb.14965:
	s_getpc_b64 s[14:15]
.Lpost_getpc3386:
	s_add_u32 s14, s14, (.LBB1_2683-.Lpost_getpc3386)&4294967295
	s_addc_u32 s15, s15, (.LBB1_2683-.Lpost_getpc3386)>>32
	s_setpc_b64 s[14:15]
.LBB1_9533:
	s_getpc_b64 s[14:15]
.Lpost_getpc670:
	s_add_u32 s14, s14, (.LBB1_2684-.Lpost_getpc670)&4294967295
	s_addc_u32 s15, s15, (.LBB1_2684-.Lpost_getpc670)>>32
	s_setpc_b64 s[14:15]
.LBB1_6781:
	s_movk_i32 s4, 0x80
	v_cmp_eq_u16_sdwa s[12:13], v15, s4 src0_sel:BYTE_3 src1_sel:DWORD
	s_mov_b64 s[4:5], -1
                                        ; implicit-def: $sgpr10
	s_and_saveexec_b64 s[8:9], s[12:13]
; %bb.6782:
	s_mov_b32 s10, 0x7f800001
	s_xor_b64 s[4:5], exec, -1
; %bb.6783:
	s_or_b64 exec, exec, s[8:9]
	s_and_b64 s[4:5], s[4:5], exec
	s_or_saveexec_b64 s[6:7], s[6:7]
	v_mov_b32_e32 v13, s10
	s_xor_b64 exec, exec, s[6:7]
	s_cbranch_execnz .LBB1_6784
; %bb.14967:
	s_getpc_b64 s[14:15]
.Lpost_getpc3387:
	s_add_u32 s14, s14, (.LBB1_2686-.Lpost_getpc3387)&4294967295
	s_addc_u32 s15, s15, (.LBB1_2686-.Lpost_getpc3387)>>32
	s_setpc_b64 s[14:15]
.LBB1_6784:
	v_mov_b32_e32 v13, 0
	v_cmp_ne_u16_sdwa s[8:9], v15, v13 src0_sel:BYTE_3 src1_sel:DWORD
	s_andn2_b64 s[4:5], s[4:5], exec
	s_and_b64 s[8:9], s[8:9], exec
	s_or_b64 s[4:5], s[4:5], s[8:9]
	s_or_b64 exec, exec, s[6:7]
	s_and_saveexec_b64 s[6:7], s[4:5]
	s_cbranch_execz .LBB1_9535
; %bb.14969:
	s_getpc_b64 s[14:15]
.Lpost_getpc3388:
	s_add_u32 s14, s14, (.LBB1_2687-.Lpost_getpc3388)&4294967295
	s_addc_u32 s15, s15, (.LBB1_2687-.Lpost_getpc3388)>>32
	s_setpc_b64 s[14:15]
.LBB1_9535:
	s_getpc_b64 s[14:15]
.Lpost_getpc671:
	s_add_u32 s14, s14, (.LBB1_2688-.Lpost_getpc671)&4294967295
	s_addc_u32 s15, s15, (.LBB1_2688-.Lpost_getpc671)>>32
	s_setpc_b64 s[14:15]
.LBB1_6785:
	s_movk_i32 s4, 0x80
	v_cmp_eq_u16_sdwa s[12:13], v16, s4 src0_sel:BYTE_0 src1_sel:DWORD
	s_mov_b64 s[4:5], -1
                                        ; implicit-def: $sgpr10
	s_and_saveexec_b64 s[8:9], s[12:13]
; %bb.6786:
	s_mov_b32 s10, 0x7f800001
	s_xor_b64 s[4:5], exec, -1
; %bb.6787:
	s_or_b64 exec, exec, s[8:9]
	s_and_b64 s[4:5], s[4:5], exec
	s_or_saveexec_b64 s[6:7], s[6:7]
	v_mov_b32_e32 v21, s10
	s_xor_b64 exec, exec, s[6:7]
	s_cbranch_execnz .LBB1_6788
; %bb.14971:
	s_getpc_b64 s[14:15]
.Lpost_getpc3389:
	s_add_u32 s14, s14, (.LBB1_2690-.Lpost_getpc3389)&4294967295
	s_addc_u32 s15, s15, (.LBB1_2690-.Lpost_getpc3389)>>32
	s_setpc_b64 s[14:15]
.LBB1_6788:
	v_mov_b32_e32 v21, 0
	v_cmp_ne_u16_sdwa s[8:9], v16, v21 src0_sel:BYTE_0 src1_sel:DWORD
	s_andn2_b64 s[4:5], s[4:5], exec
	s_and_b64 s[8:9], s[8:9], exec
	s_or_b64 s[4:5], s[4:5], s[8:9]
	s_or_b64 exec, exec, s[6:7]
	s_and_saveexec_b64 s[6:7], s[4:5]
	s_cbranch_execz .LBB1_9537
; %bb.14973:
	s_getpc_b64 s[14:15]
.Lpost_getpc3390:
	s_add_u32 s14, s14, (.LBB1_2691-.Lpost_getpc3390)&4294967295
	s_addc_u32 s15, s15, (.LBB1_2691-.Lpost_getpc3390)>>32
	s_setpc_b64 s[14:15]
.LBB1_9537:
	s_getpc_b64 s[14:15]
.Lpost_getpc672:
	s_add_u32 s14, s14, (.LBB1_2692-.Lpost_getpc672)&4294967295
	s_addc_u32 s15, s15, (.LBB1_2692-.Lpost_getpc672)>>32
	s_setpc_b64 s[14:15]
.LBB1_6789:
	s_movk_i32 s4, 0x80
	v_cmp_eq_u16_sdwa s[12:13], v12, s4 src0_sel:BYTE_0 src1_sel:DWORD
	s_mov_b64 s[4:5], -1
                                        ; implicit-def: $sgpr10
	s_and_saveexec_b64 s[8:9], s[12:13]
; %bb.6790:
	s_mov_b32 s10, 0x7f800001
	s_xor_b64 s[4:5], exec, -1
; %bb.6791:
	s_or_b64 exec, exec, s[8:9]
	s_and_b64 s[4:5], s[4:5], exec
	s_or_saveexec_b64 s[6:7], s[6:7]
	v_mov_b32_e32 v22, s10
	s_xor_b64 exec, exec, s[6:7]
	s_cbranch_execnz .LBB1_6792
; %bb.14975:
	s_getpc_b64 s[14:15]
.Lpost_getpc3391:
	s_add_u32 s14, s14, (.LBB1_2694-.Lpost_getpc3391)&4294967295
	s_addc_u32 s15, s15, (.LBB1_2694-.Lpost_getpc3391)>>32
	s_setpc_b64 s[14:15]
.LBB1_6792:
	v_mov_b32_e32 v22, 0
	v_cmp_ne_u16_sdwa s[8:9], v12, v22 src0_sel:BYTE_0 src1_sel:DWORD
	s_andn2_b64 s[4:5], s[4:5], exec
	s_and_b64 s[8:9], s[8:9], exec
	s_or_b64 s[4:5], s[4:5], s[8:9]
	s_or_b64 exec, exec, s[6:7]
	s_and_saveexec_b64 s[6:7], s[4:5]
	s_cbranch_execz .LBB1_9539
; %bb.14977:
	s_getpc_b64 s[14:15]
.Lpost_getpc3392:
	s_add_u32 s14, s14, (.LBB1_2695-.Lpost_getpc3392)&4294967295
	s_addc_u32 s15, s15, (.LBB1_2695-.Lpost_getpc3392)>>32
	s_setpc_b64 s[14:15]
.LBB1_9539:
	s_getpc_b64 s[14:15]
.Lpost_getpc673:
	s_add_u32 s14, s14, (.LBB1_2696-.Lpost_getpc673)&4294967295
	s_addc_u32 s15, s15, (.LBB1_2696-.Lpost_getpc673)>>32
	s_setpc_b64 s[14:15]
.LBB1_6793:
	s_movk_i32 s4, 0x80
	v_cmp_eq_u16_sdwa s[12:13], v22, s4 src0_sel:BYTE_0 src1_sel:DWORD
	s_mov_b64 s[4:5], -1
                                        ; implicit-def: $sgpr10
	s_and_saveexec_b64 s[8:9], s[12:13]
; %bb.6794:
	s_mov_b32 s10, 0x7f800001
	s_xor_b64 s[4:5], exec, -1
; %bb.6795:
	s_or_b64 exec, exec, s[8:9]
	s_and_b64 s[4:5], s[4:5], exec
	s_or_saveexec_b64 s[6:7], s[6:7]
	v_mov_b32_e32 v21, s10
	s_xor_b64 exec, exec, s[6:7]
	s_cbranch_execnz .LBB1_6796
; %bb.14979:
	s_getpc_b64 s[14:15]
.Lpost_getpc3393:
	s_add_u32 s14, s14, (.LBB1_2698-.Lpost_getpc3393)&4294967295
	s_addc_u32 s15, s15, (.LBB1_2698-.Lpost_getpc3393)>>32
	s_setpc_b64 s[14:15]
.LBB1_6796:
	v_mov_b32_e32 v21, 0
	v_cmp_ne_u16_sdwa s[8:9], v22, v21 src0_sel:BYTE_0 src1_sel:DWORD
	s_andn2_b64 s[4:5], s[4:5], exec
	s_and_b64 s[8:9], s[8:9], exec
	s_or_b64 s[4:5], s[4:5], s[8:9]
	s_or_b64 exec, exec, s[6:7]
	s_and_saveexec_b64 s[6:7], s[4:5]
	s_cbranch_execz .LBB1_9541
; %bb.14981:
	s_getpc_b64 s[14:15]
.Lpost_getpc3394:
	s_add_u32 s14, s14, (.LBB1_2699-.Lpost_getpc3394)&4294967295
	s_addc_u32 s15, s15, (.LBB1_2699-.Lpost_getpc3394)>>32
	s_setpc_b64 s[14:15]
.LBB1_9541:
	s_getpc_b64 s[14:15]
.Lpost_getpc674:
	s_add_u32 s14, s14, (.LBB1_2700-.Lpost_getpc674)&4294967295
	s_addc_u32 s15, s15, (.LBB1_2700-.Lpost_getpc674)>>32
	s_setpc_b64 s[14:15]
.LBB1_6797:
	s_movk_i32 s4, 0x80
	v_cmp_eq_u16_sdwa s[12:13], v22, s4 src0_sel:BYTE_0 src1_sel:DWORD
	s_mov_b64 s[4:5], -1
                                        ; implicit-def: $sgpr10
	s_and_saveexec_b64 s[8:9], s[12:13]
; %bb.6798:
	s_mov_b32 s10, 0x7f800001
	s_xor_b64 s[4:5], exec, -1
; %bb.6799:
	s_or_b64 exec, exec, s[8:9]
	s_and_b64 s[4:5], s[4:5], exec
	s_or_saveexec_b64 s[6:7], s[6:7]
	v_mov_b32_e32 v23, s10
	s_xor_b64 exec, exec, s[6:7]
	s_cbranch_execnz .LBB1_6800
; %bb.14983:
	s_getpc_b64 s[14:15]
.Lpost_getpc3395:
	s_add_u32 s14, s14, (.LBB1_2702-.Lpost_getpc3395)&4294967295
	s_addc_u32 s15, s15, (.LBB1_2702-.Lpost_getpc3395)>>32
	s_setpc_b64 s[14:15]
.LBB1_6800:
	v_mov_b32_e32 v23, 0
	v_cmp_ne_u16_sdwa s[8:9], v22, v23 src0_sel:BYTE_0 src1_sel:DWORD
	s_andn2_b64 s[4:5], s[4:5], exec
	s_and_b64 s[8:9], s[8:9], exec
	s_or_b64 s[4:5], s[4:5], s[8:9]
	s_or_b64 exec, exec, s[6:7]
	s_and_saveexec_b64 s[6:7], s[4:5]
	s_cbranch_execz .LBB1_9543
; %bb.14985:
	s_getpc_b64 s[14:15]
.Lpost_getpc3396:
	s_add_u32 s14, s14, (.LBB1_2703-.Lpost_getpc3396)&4294967295
	s_addc_u32 s15, s15, (.LBB1_2703-.Lpost_getpc3396)>>32
	s_setpc_b64 s[14:15]
.LBB1_9543:
	s_getpc_b64 s[14:15]
.Lpost_getpc675:
	s_add_u32 s14, s14, (.LBB1_2704-.Lpost_getpc675)&4294967295
	s_addc_u32 s15, s15, (.LBB1_2704-.Lpost_getpc675)>>32
	s_setpc_b64 s[14:15]
.LBB1_6801:
	s_movk_i32 s4, 0x80
	v_cmp_eq_u16_e32 vcc, s4, v22
	s_mov_b64 s[4:5], -1
                                        ; implicit-def: $sgpr10
	s_and_saveexec_b64 s[8:9], vcc
; %bb.6802:
	s_mov_b32 s10, 0x7f800001
	s_xor_b64 s[4:5], exec, -1
; %bb.6803:
	s_or_b64 exec, exec, s[8:9]
	s_and_b64 s[4:5], s[4:5], exec
                                        ; implicit-def: $vgpr22
	s_or_saveexec_b64 s[6:7], s[6:7]
	v_mov_b32_e32 v21, s10
	s_xor_b64 exec, exec, s[6:7]
	s_cbranch_execnz .LBB1_6804
; %bb.14987:
	s_getpc_b64 s[14:15]
.Lpost_getpc3397:
	s_add_u32 s14, s14, (.LBB1_2706-.Lpost_getpc3397)&4294967295
	s_addc_u32 s15, s15, (.LBB1_2706-.Lpost_getpc3397)>>32
	s_setpc_b64 s[14:15]
.LBB1_6804:
	v_cmp_ne_u16_e32 vcc, 0, v22
	s_andn2_b64 s[4:5], s[4:5], exec
	s_and_b64 s[8:9], vcc, exec
	v_mov_b32_e32 v21, 0
	s_or_b64 s[4:5], s[4:5], s[8:9]
	s_or_b64 exec, exec, s[6:7]
	s_and_saveexec_b64 s[6:7], s[4:5]
	s_cbranch_execz .LBB1_9545
; %bb.14989:
	s_getpc_b64 s[14:15]
.Lpost_getpc3398:
	s_add_u32 s14, s14, (.LBB1_2707-.Lpost_getpc3398)&4294967295
	s_addc_u32 s15, s15, (.LBB1_2707-.Lpost_getpc3398)>>32
	s_setpc_b64 s[14:15]
.LBB1_9545:
	s_getpc_b64 s[14:15]
.Lpost_getpc676:
	s_add_u32 s14, s14, (.LBB1_2708-.Lpost_getpc676)&4294967295
	s_addc_u32 s15, s15, (.LBB1_2708-.Lpost_getpc676)>>32
	s_setpc_b64 s[14:15]
.LBB1_6805:
	s_movk_i32 s4, 0x80
	v_cmp_eq_u16_e32 vcc, s4, v22
	s_mov_b64 s[4:5], -1
                                        ; implicit-def: $sgpr10
	s_and_saveexec_b64 s[8:9], vcc
; %bb.6806:
	s_mov_b32 s10, 0x7f800001
	s_xor_b64 s[4:5], exec, -1
; %bb.6807:
	s_or_b64 exec, exec, s[8:9]
	s_and_b64 s[4:5], s[4:5], exec
                                        ; implicit-def: $vgpr22
	s_or_saveexec_b64 s[6:7], s[6:7]
	v_mov_b32_e32 v23, s10
	s_xor_b64 exec, exec, s[6:7]
	s_cbranch_execnz .LBB1_6808
; %bb.14991:
	s_getpc_b64 s[14:15]
.Lpost_getpc3399:
	s_add_u32 s14, s14, (.LBB1_2710-.Lpost_getpc3399)&4294967295
	s_addc_u32 s15, s15, (.LBB1_2710-.Lpost_getpc3399)>>32
	s_setpc_b64 s[14:15]
.LBB1_6808:
	v_cmp_ne_u16_e32 vcc, 0, v22
	s_andn2_b64 s[4:5], s[4:5], exec
	s_and_b64 s[8:9], vcc, exec
	v_mov_b32_e32 v23, 0
	s_or_b64 s[4:5], s[4:5], s[8:9]
	s_or_b64 exec, exec, s[6:7]
	s_and_saveexec_b64 s[6:7], s[4:5]
	s_cbranch_execz .LBB1_9547
; %bb.14993:
	s_getpc_b64 s[14:15]
.Lpost_getpc3400:
	s_add_u32 s14, s14, (.LBB1_2711-.Lpost_getpc3400)&4294967295
	s_addc_u32 s15, s15, (.LBB1_2711-.Lpost_getpc3400)>>32
	s_setpc_b64 s[14:15]
.LBB1_9547:
	s_getpc_b64 s[14:15]
.Lpost_getpc677:
	s_add_u32 s14, s14, (.LBB1_2712-.Lpost_getpc677)&4294967295
	s_addc_u32 s15, s15, (.LBB1_2712-.Lpost_getpc677)>>32
	s_setpc_b64 s[14:15]
.LBB1_6809:
	s_movk_i32 s4, 0x80
	v_cmp_eq_u16_sdwa s[12:13], v16, s4 src0_sel:BYTE_3 src1_sel:DWORD
	s_mov_b64 s[4:5], -1
                                        ; implicit-def: $sgpr10
	s_and_saveexec_b64 s[8:9], s[12:13]
; %bb.6810:
	s_mov_b32 s10, 0x7f800001
	s_xor_b64 s[4:5], exec, -1
; %bb.6811:
	s_or_b64 exec, exec, s[8:9]
	s_and_b64 s[4:5], s[4:5], exec
	s_or_saveexec_b64 s[6:7], s[6:7]
	v_mov_b32_e32 v21, s10
	s_xor_b64 exec, exec, s[6:7]
	s_cbranch_execnz .LBB1_6812
; %bb.14995:
	s_getpc_b64 s[14:15]
.Lpost_getpc3401:
	s_add_u32 s14, s14, (.LBB1_2714-.Lpost_getpc3401)&4294967295
	s_addc_u32 s15, s15, (.LBB1_2714-.Lpost_getpc3401)>>32
	s_setpc_b64 s[14:15]
.LBB1_6812:
	v_mov_b32_e32 v21, 0
	v_cmp_ne_u16_sdwa s[8:9], v16, v21 src0_sel:BYTE_3 src1_sel:DWORD
	s_andn2_b64 s[4:5], s[4:5], exec
	s_and_b64 s[8:9], s[8:9], exec
	s_or_b64 s[4:5], s[4:5], s[8:9]
	s_or_b64 exec, exec, s[6:7]
	s_and_saveexec_b64 s[6:7], s[4:5]
	s_cbranch_execz .LBB1_9549
; %bb.14997:
	s_getpc_b64 s[14:15]
.Lpost_getpc3402:
	s_add_u32 s14, s14, (.LBB1_2715-.Lpost_getpc3402)&4294967295
	s_addc_u32 s15, s15, (.LBB1_2715-.Lpost_getpc3402)>>32
	s_setpc_b64 s[14:15]
.LBB1_9549:
	s_getpc_b64 s[14:15]
.Lpost_getpc678:
	s_add_u32 s14, s14, (.LBB1_2716-.Lpost_getpc678)&4294967295
	s_addc_u32 s15, s15, (.LBB1_2716-.Lpost_getpc678)>>32
	s_setpc_b64 s[14:15]
.LBB1_6813:
	s_movk_i32 s4, 0x80
	v_cmp_eq_u16_sdwa s[12:13], v12, s4 src0_sel:BYTE_3 src1_sel:DWORD
	s_mov_b64 s[4:5], -1
                                        ; implicit-def: $sgpr10
	s_and_saveexec_b64 s[8:9], s[12:13]
; %bb.6814:
	s_mov_b32 s10, 0x7f800001
	s_xor_b64 s[4:5], exec, -1
; %bb.6815:
	s_or_b64 exec, exec, s[8:9]
	s_and_b64 s[4:5], s[4:5], exec
	s_or_saveexec_b64 s[6:7], s[6:7]
	v_mov_b32_e32 v16, s10
	s_xor_b64 exec, exec, s[6:7]
	s_cbranch_execnz .LBB1_6816
; %bb.14999:
	s_getpc_b64 s[14:15]
.Lpost_getpc3403:
	s_add_u32 s14, s14, (.LBB1_2718-.Lpost_getpc3403)&4294967295
	s_addc_u32 s15, s15, (.LBB1_2718-.Lpost_getpc3403)>>32
	s_setpc_b64 s[14:15]
.LBB1_6816:
	v_mov_b32_e32 v16, 0
	v_cmp_ne_u16_sdwa s[8:9], v12, v16 src0_sel:BYTE_3 src1_sel:DWORD
	s_andn2_b64 s[4:5], s[4:5], exec
	s_and_b64 s[8:9], s[8:9], exec
	s_or_b64 s[4:5], s[4:5], s[8:9]
	s_or_b64 exec, exec, s[6:7]
	s_and_saveexec_b64 s[6:7], s[4:5]
	s_cbranch_execz .LBB1_9551
; %bb.15001:
	s_getpc_b64 s[14:15]
.Lpost_getpc3404:
	s_add_u32 s14, s14, (.LBB1_2719-.Lpost_getpc3404)&4294967295
	s_addc_u32 s15, s15, (.LBB1_2719-.Lpost_getpc3404)>>32
	s_setpc_b64 s[14:15]
.LBB1_9551:
	s_getpc_b64 s[14:15]
.Lpost_getpc679:
	s_add_u32 s14, s14, (.LBB1_2720-.Lpost_getpc679)&4294967295
	s_addc_u32 s15, s15, (.LBB1_2720-.Lpost_getpc679)>>32
	s_setpc_b64 s[14:15]
.LBB1_6817:
	s_movk_i32 s4, 0x80
	v_cmp_eq_u16_sdwa s[12:13], v17, s4 src0_sel:BYTE_0 src1_sel:DWORD
	s_mov_b64 s[4:5], -1
                                        ; implicit-def: $sgpr10
	s_and_saveexec_b64 s[8:9], s[12:13]
; %bb.6818:
	s_mov_b32 s10, 0x7f800001
	s_xor_b64 s[4:5], exec, -1
; %bb.6819:
	s_or_b64 exec, exec, s[8:9]
	s_and_b64 s[4:5], s[4:5], exec
	s_or_saveexec_b64 s[6:7], s[6:7]
	v_mov_b32_e32 v12, s10
	s_xor_b64 exec, exec, s[6:7]
	s_cbranch_execnz .LBB1_6820
; %bb.15003:
	s_getpc_b64 s[14:15]
.Lpost_getpc3405:
	s_add_u32 s14, s14, (.LBB1_2722-.Lpost_getpc3405)&4294967295
	s_addc_u32 s15, s15, (.LBB1_2722-.Lpost_getpc3405)>>32
	s_setpc_b64 s[14:15]
.LBB1_6820:
	v_mov_b32_e32 v12, 0
	v_cmp_ne_u16_sdwa s[8:9], v17, v12 src0_sel:BYTE_0 src1_sel:DWORD
	s_andn2_b64 s[4:5], s[4:5], exec
	s_and_b64 s[8:9], s[8:9], exec
	s_or_b64 s[4:5], s[4:5], s[8:9]
	s_or_b64 exec, exec, s[6:7]
	s_and_saveexec_b64 s[6:7], s[4:5]
	s_cbranch_execz .LBB1_9553
; %bb.15005:
	s_getpc_b64 s[14:15]
.Lpost_getpc3406:
	s_add_u32 s14, s14, (.LBB1_2723-.Lpost_getpc3406)&4294967295
	s_addc_u32 s15, s15, (.LBB1_2723-.Lpost_getpc3406)>>32
	s_setpc_b64 s[14:15]
.LBB1_9553:
	s_getpc_b64 s[14:15]
.Lpost_getpc680:
	s_add_u32 s14, s14, (.LBB1_2724-.Lpost_getpc680)&4294967295
	s_addc_u32 s15, s15, (.LBB1_2724-.Lpost_getpc680)>>32
	s_setpc_b64 s[14:15]
.LBB1_6821:
	s_movk_i32 s4, 0x80
	v_cmp_eq_u16_sdwa s[12:13], v13, s4 src0_sel:BYTE_0 src1_sel:DWORD
	s_mov_b64 s[4:5], -1
                                        ; implicit-def: $sgpr10
	s_and_saveexec_b64 s[8:9], s[12:13]
; %bb.6822:
	s_mov_b32 s10, 0x7f800001
	s_xor_b64 s[4:5], exec, -1
; %bb.6823:
	s_or_b64 exec, exec, s[8:9]
	s_and_b64 s[4:5], s[4:5], exec
	s_or_saveexec_b64 s[6:7], s[6:7]
	v_mov_b32_e32 v16, s10
	s_xor_b64 exec, exec, s[6:7]
	s_cbranch_execnz .LBB1_6824
; %bb.15007:
	s_getpc_b64 s[14:15]
.Lpost_getpc3407:
	s_add_u32 s14, s14, (.LBB1_2726-.Lpost_getpc3407)&4294967295
	s_addc_u32 s15, s15, (.LBB1_2726-.Lpost_getpc3407)>>32
	s_setpc_b64 s[14:15]
.LBB1_6824:
	v_mov_b32_e32 v16, 0
	v_cmp_ne_u16_sdwa s[8:9], v13, v16 src0_sel:BYTE_0 src1_sel:DWORD
	s_andn2_b64 s[4:5], s[4:5], exec
	s_and_b64 s[8:9], s[8:9], exec
	s_or_b64 s[4:5], s[4:5], s[8:9]
	s_or_b64 exec, exec, s[6:7]
	s_and_saveexec_b64 s[6:7], s[4:5]
	s_cbranch_execz .LBB1_9555
; %bb.15009:
	s_getpc_b64 s[14:15]
.Lpost_getpc3408:
	s_add_u32 s14, s14, (.LBB1_2727-.Lpost_getpc3408)&4294967295
	s_addc_u32 s15, s15, (.LBB1_2727-.Lpost_getpc3408)>>32
	s_setpc_b64 s[14:15]
.LBB1_9555:
	s_getpc_b64 s[14:15]
.Lpost_getpc681:
	s_add_u32 s14, s14, (.LBB1_2728-.Lpost_getpc681)&4294967295
	s_addc_u32 s15, s15, (.LBB1_2728-.Lpost_getpc681)>>32
	s_setpc_b64 s[14:15]
.LBB1_6825:
	s_movk_i32 s4, 0x80
	v_cmp_eq_u16_sdwa s[12:13], v16, s4 src0_sel:BYTE_0 src1_sel:DWORD
	s_mov_b64 s[4:5], -1
                                        ; implicit-def: $sgpr10
	s_and_saveexec_b64 s[8:9], s[12:13]
; %bb.6826:
	s_mov_b32 s10, 0x7f800001
	s_xor_b64 s[4:5], exec, -1
; %bb.6827:
	s_or_b64 exec, exec, s[8:9]
	s_and_b64 s[4:5], s[4:5], exec
	s_or_saveexec_b64 s[6:7], s[6:7]
	v_mov_b32_e32 v12, s10
	s_xor_b64 exec, exec, s[6:7]
	s_cbranch_execnz .LBB1_6828
; %bb.15011:
	s_getpc_b64 s[14:15]
.Lpost_getpc3409:
	s_add_u32 s14, s14, (.LBB1_2730-.Lpost_getpc3409)&4294967295
	s_addc_u32 s15, s15, (.LBB1_2730-.Lpost_getpc3409)>>32
	s_setpc_b64 s[14:15]
.LBB1_6828:
	v_mov_b32_e32 v12, 0
	v_cmp_ne_u16_sdwa s[8:9], v16, v12 src0_sel:BYTE_0 src1_sel:DWORD
	s_andn2_b64 s[4:5], s[4:5], exec
	s_and_b64 s[8:9], s[8:9], exec
	s_or_b64 s[4:5], s[4:5], s[8:9]
	s_or_b64 exec, exec, s[6:7]
	s_and_saveexec_b64 s[6:7], s[4:5]
	s_cbranch_execz .LBB1_9557
; %bb.15013:
	s_getpc_b64 s[14:15]
.Lpost_getpc3410:
	s_add_u32 s14, s14, (.LBB1_2731-.Lpost_getpc3410)&4294967295
	s_addc_u32 s15, s15, (.LBB1_2731-.Lpost_getpc3410)>>32
	s_setpc_b64 s[14:15]
.LBB1_9557:
	s_getpc_b64 s[14:15]
.Lpost_getpc682:
	s_add_u32 s14, s14, (.LBB1_2732-.Lpost_getpc682)&4294967295
	s_addc_u32 s15, s15, (.LBB1_2732-.Lpost_getpc682)>>32
	s_setpc_b64 s[14:15]
.LBB1_6829:
	s_movk_i32 s4, 0x80
	v_cmp_eq_u16_sdwa s[12:13], v16, s4 src0_sel:BYTE_0 src1_sel:DWORD
	s_mov_b64 s[4:5], -1
                                        ; implicit-def: $sgpr10
	s_and_saveexec_b64 s[8:9], s[12:13]
; %bb.6830:
	s_mov_b32 s10, 0x7f800001
	s_xor_b64 s[4:5], exec, -1
; %bb.6831:
	s_or_b64 exec, exec, s[8:9]
	s_and_b64 s[4:5], s[4:5], exec
	s_or_saveexec_b64 s[6:7], s[6:7]
	v_mov_b32_e32 v21, s10
	s_xor_b64 exec, exec, s[6:7]
	s_cbranch_execnz .LBB1_6832
; %bb.15015:
	s_getpc_b64 s[14:15]
.Lpost_getpc3411:
	s_add_u32 s14, s14, (.LBB1_2734-.Lpost_getpc3411)&4294967295
	s_addc_u32 s15, s15, (.LBB1_2734-.Lpost_getpc3411)>>32
	s_setpc_b64 s[14:15]
.LBB1_6832:
	v_mov_b32_e32 v21, 0
	v_cmp_ne_u16_sdwa s[8:9], v16, v21 src0_sel:BYTE_0 src1_sel:DWORD
	s_andn2_b64 s[4:5], s[4:5], exec
	s_and_b64 s[8:9], s[8:9], exec
	s_or_b64 s[4:5], s[4:5], s[8:9]
	s_or_b64 exec, exec, s[6:7]
	s_and_saveexec_b64 s[6:7], s[4:5]
	s_cbranch_execz .LBB1_9559
; %bb.15017:
	s_getpc_b64 s[14:15]
.Lpost_getpc3412:
	s_add_u32 s14, s14, (.LBB1_2735-.Lpost_getpc3412)&4294967295
	s_addc_u32 s15, s15, (.LBB1_2735-.Lpost_getpc3412)>>32
	s_setpc_b64 s[14:15]
.LBB1_9559:
	s_getpc_b64 s[14:15]
.Lpost_getpc683:
	s_add_u32 s14, s14, (.LBB1_2736-.Lpost_getpc683)&4294967295
	s_addc_u32 s15, s15, (.LBB1_2736-.Lpost_getpc683)>>32
	s_setpc_b64 s[14:15]
.LBB1_6833:
	s_movk_i32 s4, 0x80
	v_cmp_eq_u16_e32 vcc, s4, v16
	s_mov_b64 s[4:5], -1
                                        ; implicit-def: $sgpr10
	s_and_saveexec_b64 s[8:9], vcc
; %bb.6834:
	s_mov_b32 s10, 0x7f800001
	s_xor_b64 s[4:5], exec, -1
; %bb.6835:
	s_or_b64 exec, exec, s[8:9]
	s_and_b64 s[4:5], s[4:5], exec
                                        ; implicit-def: $vgpr16
	s_or_saveexec_b64 s[6:7], s[6:7]
	v_mov_b32_e32 v12, s10
	s_xor_b64 exec, exec, s[6:7]
	s_cbranch_execnz .LBB1_6836
; %bb.15019:
	s_getpc_b64 s[14:15]
.Lpost_getpc3413:
	s_add_u32 s14, s14, (.LBB1_2738-.Lpost_getpc3413)&4294967295
	s_addc_u32 s15, s15, (.LBB1_2738-.Lpost_getpc3413)>>32
	s_setpc_b64 s[14:15]
.LBB1_6836:
	v_cmp_ne_u16_e32 vcc, 0, v16
	s_andn2_b64 s[4:5], s[4:5], exec
	s_and_b64 s[8:9], vcc, exec
	v_mov_b32_e32 v12, 0
	s_or_b64 s[4:5], s[4:5], s[8:9]
	s_or_b64 exec, exec, s[6:7]
	s_and_saveexec_b64 s[6:7], s[4:5]
	s_cbranch_execz .LBB1_9561
; %bb.15021:
	s_getpc_b64 s[14:15]
.Lpost_getpc3414:
	s_add_u32 s14, s14, (.LBB1_2739-.Lpost_getpc3414)&4294967295
	s_addc_u32 s15, s15, (.LBB1_2739-.Lpost_getpc3414)>>32
	s_setpc_b64 s[14:15]
.LBB1_9561:
	s_getpc_b64 s[14:15]
.Lpost_getpc684:
	s_add_u32 s14, s14, (.LBB1_2740-.Lpost_getpc684)&4294967295
	s_addc_u32 s15, s15, (.LBB1_2740-.Lpost_getpc684)>>32
	s_setpc_b64 s[14:15]
.LBB1_6837:
	s_movk_i32 s4, 0x80
	v_cmp_eq_u16_e32 vcc, s4, v16
	s_mov_b64 s[4:5], -1
                                        ; implicit-def: $sgpr10
	s_and_saveexec_b64 s[8:9], vcc
; %bb.6838:
	s_mov_b32 s10, 0x7f800001
	s_xor_b64 s[4:5], exec, -1
; %bb.6839:
	s_or_b64 exec, exec, s[8:9]
	s_and_b64 s[4:5], s[4:5], exec
                                        ; implicit-def: $vgpr16
	s_or_saveexec_b64 s[6:7], s[6:7]
	v_mov_b32_e32 v21, s10
	s_xor_b64 exec, exec, s[6:7]
	s_cbranch_execnz .LBB1_6840
; %bb.15023:
	s_getpc_b64 s[14:15]
.Lpost_getpc3415:
	s_add_u32 s14, s14, (.LBB1_2742-.Lpost_getpc3415)&4294967295
	s_addc_u32 s15, s15, (.LBB1_2742-.Lpost_getpc3415)>>32
	s_setpc_b64 s[14:15]
.LBB1_6840:
	v_cmp_ne_u16_e32 vcc, 0, v16
	s_andn2_b64 s[4:5], s[4:5], exec
	s_and_b64 s[8:9], vcc, exec
	v_mov_b32_e32 v21, 0
	s_or_b64 s[4:5], s[4:5], s[8:9]
	s_or_b64 exec, exec, s[6:7]
	s_and_saveexec_b64 s[6:7], s[4:5]
	s_cbranch_execz .LBB1_9563
; %bb.15025:
	s_getpc_b64 s[14:15]
.Lpost_getpc3416:
	s_add_u32 s14, s14, (.LBB1_2743-.Lpost_getpc3416)&4294967295
	s_addc_u32 s15, s15, (.LBB1_2743-.Lpost_getpc3416)>>32
	s_setpc_b64 s[14:15]
.LBB1_9563:
	s_getpc_b64 s[14:15]
.Lpost_getpc685:
	s_add_u32 s14, s14, (.LBB1_2744-.Lpost_getpc685)&4294967295
	s_addc_u32 s15, s15, (.LBB1_2744-.Lpost_getpc685)>>32
	s_setpc_b64 s[14:15]
.LBB1_6841:
	s_movk_i32 s4, 0x80
	v_cmp_eq_u16_sdwa s[12:13], v17, s4 src0_sel:BYTE_3 src1_sel:DWORD
	s_mov_b64 s[4:5], -1
                                        ; implicit-def: $sgpr10
	s_and_saveexec_b64 s[8:9], s[12:13]
; %bb.6842:
	s_mov_b32 s10, 0x7f800001
	s_xor_b64 s[4:5], exec, -1
; %bb.6843:
	s_or_b64 exec, exec, s[8:9]
	s_and_b64 s[4:5], s[4:5], exec
	s_or_saveexec_b64 s[6:7], s[6:7]
	v_mov_b32_e32 v12, s10
	s_xor_b64 exec, exec, s[6:7]
	s_cbranch_execnz .LBB1_6844
; %bb.15027:
	s_getpc_b64 s[14:15]
.Lpost_getpc3417:
	s_add_u32 s14, s14, (.LBB1_2746-.Lpost_getpc3417)&4294967295
	s_addc_u32 s15, s15, (.LBB1_2746-.Lpost_getpc3417)>>32
	s_setpc_b64 s[14:15]
.LBB1_6844:
	v_mov_b32_e32 v12, 0
	v_cmp_ne_u16_sdwa s[8:9], v17, v12 src0_sel:BYTE_3 src1_sel:DWORD
	s_andn2_b64 s[4:5], s[4:5], exec
	s_and_b64 s[8:9], s[8:9], exec
	s_or_b64 s[4:5], s[4:5], s[8:9]
	s_or_b64 exec, exec, s[6:7]
	s_and_saveexec_b64 s[6:7], s[4:5]
	s_cbranch_execz .LBB1_9565
; %bb.15029:
	s_getpc_b64 s[14:15]
.Lpost_getpc3418:
	s_add_u32 s14, s14, (.LBB1_2747-.Lpost_getpc3418)&4294967295
	s_addc_u32 s15, s15, (.LBB1_2747-.Lpost_getpc3418)>>32
	s_setpc_b64 s[14:15]
.LBB1_9565:
	s_getpc_b64 s[14:15]
.Lpost_getpc686:
	s_add_u32 s14, s14, (.LBB1_2748-.Lpost_getpc686)&4294967295
	s_addc_u32 s15, s15, (.LBB1_2748-.Lpost_getpc686)>>32
	s_setpc_b64 s[14:15]
.LBB1_6845:
	s_movk_i32 s4, 0x80
	v_cmp_eq_u16_sdwa s[12:13], v13, s4 src0_sel:BYTE_3 src1_sel:DWORD
	s_mov_b64 s[4:5], -1
                                        ; implicit-def: $sgpr10
	s_and_saveexec_b64 s[8:9], s[12:13]
; %bb.6846:
	s_mov_b32 s10, 0x7f800001
	s_xor_b64 s[4:5], exec, -1
; %bb.6847:
	s_or_b64 exec, exec, s[8:9]
	s_and_b64 s[4:5], s[4:5], exec
	s_or_saveexec_b64 s[6:7], s[6:7]
	v_mov_b32_e32 v16, s10
	s_xor_b64 exec, exec, s[6:7]
	s_cbranch_execnz .LBB1_6848
; %bb.15031:
	s_getpc_b64 s[14:15]
.Lpost_getpc3419:
	s_add_u32 s14, s14, (.LBB1_2750-.Lpost_getpc3419)&4294967295
	s_addc_u32 s15, s15, (.LBB1_2750-.Lpost_getpc3419)>>32
	s_setpc_b64 s[14:15]
.LBB1_6848:
	v_mov_b32_e32 v16, 0
	v_cmp_ne_u16_sdwa s[8:9], v13, v16 src0_sel:BYTE_3 src1_sel:DWORD
	s_andn2_b64 s[4:5], s[4:5], exec
	s_and_b64 s[8:9], s[8:9], exec
	s_or_b64 s[4:5], s[4:5], s[8:9]
	s_or_b64 exec, exec, s[6:7]
	s_and_saveexec_b64 s[6:7], s[4:5]
	s_cbranch_execz .LBB1_9567
; %bb.15033:
	s_getpc_b64 s[14:15]
.Lpost_getpc3420:
	s_add_u32 s14, s14, (.LBB1_2751-.Lpost_getpc3420)&4294967295
	s_addc_u32 s15, s15, (.LBB1_2751-.Lpost_getpc3420)>>32
	s_setpc_b64 s[14:15]
.LBB1_9567:
	s_getpc_b64 s[14:15]
.Lpost_getpc687:
	s_add_u32 s14, s14, (.LBB1_2752-.Lpost_getpc687)&4294967295
	s_addc_u32 s15, s15, (.LBB1_2752-.Lpost_getpc687)>>32
	s_setpc_b64 s[14:15]
.LBB1_6849:
	s_movk_i32 s4, 0x80
	v_cmp_eq_u16_sdwa s[12:13], v18, s4 src0_sel:BYTE_0 src1_sel:DWORD
	s_mov_b64 s[4:5], -1
                                        ; implicit-def: $sgpr10
	s_and_saveexec_b64 s[8:9], s[12:13]
; %bb.6850:
	s_mov_b32 s10, 0x7f800001
	s_xor_b64 s[4:5], exec, -1
; %bb.6851:
	s_or_b64 exec, exec, s[8:9]
	s_and_b64 s[4:5], s[4:5], exec
	s_or_saveexec_b64 s[6:7], s[6:7]
	v_mov_b32_e32 v13, s10
	s_xor_b64 exec, exec, s[6:7]
	s_cbranch_execnz .LBB1_6852
; %bb.15035:
	s_getpc_b64 s[14:15]
.Lpost_getpc3421:
	s_add_u32 s14, s14, (.LBB1_2754-.Lpost_getpc3421)&4294967295
	s_addc_u32 s15, s15, (.LBB1_2754-.Lpost_getpc3421)>>32
	s_setpc_b64 s[14:15]
.LBB1_6852:
	v_mov_b32_e32 v13, 0
	v_cmp_ne_u16_sdwa s[8:9], v18, v13 src0_sel:BYTE_0 src1_sel:DWORD
	s_andn2_b64 s[4:5], s[4:5], exec
	s_and_b64 s[8:9], s[8:9], exec
	s_or_b64 s[4:5], s[4:5], s[8:9]
	s_or_b64 exec, exec, s[6:7]
	s_and_saveexec_b64 s[6:7], s[4:5]
	s_cbranch_execz .LBB1_9569
; %bb.15037:
	s_getpc_b64 s[14:15]
.Lpost_getpc3422:
	s_add_u32 s14, s14, (.LBB1_2755-.Lpost_getpc3422)&4294967295
	s_addc_u32 s15, s15, (.LBB1_2755-.Lpost_getpc3422)>>32
	s_setpc_b64 s[14:15]
.LBB1_9569:
	s_getpc_b64 s[14:15]
.Lpost_getpc688:
	s_add_u32 s14, s14, (.LBB1_2756-.Lpost_getpc688)&4294967295
	s_addc_u32 s15, s15, (.LBB1_2756-.Lpost_getpc688)>>32
	s_setpc_b64 s[14:15]
.LBB1_6853:
	s_movk_i32 s4, 0x80
	v_cmp_eq_u16_sdwa s[12:13], v16, s4 src0_sel:BYTE_0 src1_sel:DWORD
	s_mov_b64 s[4:5], -1
                                        ; implicit-def: $sgpr10
	s_and_saveexec_b64 s[8:9], s[12:13]
; %bb.6854:
	s_mov_b32 s10, 0x7f800001
	s_xor_b64 s[4:5], exec, -1
; %bb.6855:
	s_or_b64 exec, exec, s[8:9]
	s_and_b64 s[4:5], s[4:5], exec
	s_or_saveexec_b64 s[6:7], s[6:7]
	v_mov_b32_e32 v14, s10
	s_xor_b64 exec, exec, s[6:7]
	s_cbranch_execnz .LBB1_6856
; %bb.15039:
	s_getpc_b64 s[14:15]
.Lpost_getpc3423:
	s_add_u32 s14, s14, (.LBB1_2758-.Lpost_getpc3423)&4294967295
	s_addc_u32 s15, s15, (.LBB1_2758-.Lpost_getpc3423)>>32
	s_setpc_b64 s[14:15]
.LBB1_6856:
	v_mov_b32_e32 v14, 0
	v_cmp_ne_u16_sdwa s[8:9], v16, v14 src0_sel:BYTE_0 src1_sel:DWORD
	s_andn2_b64 s[4:5], s[4:5], exec
	s_and_b64 s[8:9], s[8:9], exec
	s_or_b64 s[4:5], s[4:5], s[8:9]
	s_or_b64 exec, exec, s[6:7]
	v_or_b32_sdwa v12, v16, v12 dst_sel:DWORD dst_unused:UNUSED_PAD src0_sel:WORD_0 src1_sel:DWORD
	s_and_saveexec_b64 s[6:7], s[4:5]
	s_cbranch_execz .LBB1_9571
; %bb.15041:
	s_getpc_b64 s[14:15]
.Lpost_getpc3424:
	s_add_u32 s14, s14, (.LBB1_2759-.Lpost_getpc3424)&4294967295
	s_addc_u32 s15, s15, (.LBB1_2759-.Lpost_getpc3424)>>32
	s_setpc_b64 s[14:15]
.LBB1_9571:
	s_getpc_b64 s[14:15]
.Lpost_getpc689:
	s_add_u32 s14, s14, (.LBB1_2760-.Lpost_getpc689)&4294967295
	s_addc_u32 s15, s15, (.LBB1_2760-.Lpost_getpc689)>>32
	s_setpc_b64 s[14:15]
.LBB1_6857:
	s_movk_i32 s4, 0x80
	v_cmp_eq_u16_sdwa s[12:13], v14, s4 src0_sel:BYTE_0 src1_sel:DWORD
	s_mov_b64 s[4:5], -1
                                        ; implicit-def: $sgpr10
	s_and_saveexec_b64 s[8:9], s[12:13]
; %bb.6858:
	s_mov_b32 s10, 0x7f800001
	s_xor_b64 s[4:5], exec, -1
; %bb.6859:
	s_or_b64 exec, exec, s[8:9]
	s_and_b64 s[4:5], s[4:5], exec
	s_or_saveexec_b64 s[6:7], s[6:7]
	v_mov_b32_e32 v13, s10
	s_xor_b64 exec, exec, s[6:7]
	s_cbranch_execnz .LBB1_6860
; %bb.15043:
	s_getpc_b64 s[14:15]
.Lpost_getpc3425:
	s_add_u32 s14, s14, (.LBB1_2762-.Lpost_getpc3425)&4294967295
	s_addc_u32 s15, s15, (.LBB1_2762-.Lpost_getpc3425)>>32
	s_setpc_b64 s[14:15]
.LBB1_6860:
	v_mov_b32_e32 v13, 0
	v_cmp_ne_u16_sdwa s[8:9], v14, v13 src0_sel:BYTE_0 src1_sel:DWORD
	s_andn2_b64 s[4:5], s[4:5], exec
	s_and_b64 s[8:9], s[8:9], exec
	s_or_b64 s[4:5], s[4:5], s[8:9]
	s_or_b64 exec, exec, s[6:7]
	s_and_saveexec_b64 s[6:7], s[4:5]
	s_cbranch_execz .LBB1_9573
; %bb.15045:
	s_getpc_b64 s[14:15]
.Lpost_getpc3426:
	s_add_u32 s14, s14, (.LBB1_2763-.Lpost_getpc3426)&4294967295
	s_addc_u32 s15, s15, (.LBB1_2763-.Lpost_getpc3426)>>32
	s_setpc_b64 s[14:15]
.LBB1_9573:
	s_getpc_b64 s[14:15]
.Lpost_getpc690:
	s_add_u32 s14, s14, (.LBB1_2764-.Lpost_getpc690)&4294967295
	s_addc_u32 s15, s15, (.LBB1_2764-.Lpost_getpc690)>>32
	s_setpc_b64 s[14:15]
.LBB1_6861:
	s_movk_i32 s4, 0x80
	v_cmp_eq_u16_sdwa s[12:13], v14, s4 src0_sel:BYTE_0 src1_sel:DWORD
	s_mov_b64 s[4:5], -1
                                        ; implicit-def: $sgpr10
	s_and_saveexec_b64 s[8:9], s[12:13]
; %bb.6862:
	s_mov_b32 s10, 0x7f800001
	s_xor_b64 s[4:5], exec, -1
; %bb.6863:
	s_or_b64 exec, exec, s[8:9]
	s_and_b64 s[4:5], s[4:5], exec
	s_or_saveexec_b64 s[6:7], s[6:7]
	v_mov_b32_e32 v16, s10
	s_xor_b64 exec, exec, s[6:7]
	s_cbranch_execnz .LBB1_6864
; %bb.15047:
	s_getpc_b64 s[14:15]
.Lpost_getpc3427:
	s_add_u32 s14, s14, (.LBB1_2766-.Lpost_getpc3427)&4294967295
	s_addc_u32 s15, s15, (.LBB1_2766-.Lpost_getpc3427)>>32
	s_setpc_b64 s[14:15]
.LBB1_6864:
	v_mov_b32_e32 v16, 0
	v_cmp_ne_u16_sdwa s[8:9], v14, v16 src0_sel:BYTE_0 src1_sel:DWORD
	s_andn2_b64 s[4:5], s[4:5], exec
	s_and_b64 s[8:9], s[8:9], exec
	s_or_b64 s[4:5], s[4:5], s[8:9]
	s_or_b64 exec, exec, s[6:7]
	s_and_saveexec_b64 s[6:7], s[4:5]
	s_cbranch_execz .LBB1_9575
; %bb.15049:
	s_getpc_b64 s[14:15]
.Lpost_getpc3428:
	s_add_u32 s14, s14, (.LBB1_2767-.Lpost_getpc3428)&4294967295
	s_addc_u32 s15, s15, (.LBB1_2767-.Lpost_getpc3428)>>32
	s_setpc_b64 s[14:15]
.LBB1_9575:
	s_getpc_b64 s[14:15]
.Lpost_getpc691:
	s_add_u32 s14, s14, (.LBB1_2768-.Lpost_getpc691)&4294967295
	s_addc_u32 s15, s15, (.LBB1_2768-.Lpost_getpc691)>>32
	s_setpc_b64 s[14:15]
.LBB1_6865:
	s_movk_i32 s4, 0x80
	v_cmp_eq_u16_e32 vcc, s4, v14
	s_mov_b64 s[4:5], -1
                                        ; implicit-def: $sgpr10
	s_and_saveexec_b64 s[8:9], vcc
; %bb.6866:
	s_mov_b32 s10, 0x7f800001
	s_xor_b64 s[4:5], exec, -1
; %bb.6867:
	s_or_b64 exec, exec, s[8:9]
	s_and_b64 s[4:5], s[4:5], exec
                                        ; implicit-def: $vgpr14
	s_or_saveexec_b64 s[6:7], s[6:7]
	v_mov_b32_e32 v13, s10
	s_xor_b64 exec, exec, s[6:7]
	s_cbranch_execnz .LBB1_6868
; %bb.15051:
	s_getpc_b64 s[14:15]
.Lpost_getpc3429:
	s_add_u32 s14, s14, (.LBB1_2770-.Lpost_getpc3429)&4294967295
	s_addc_u32 s15, s15, (.LBB1_2770-.Lpost_getpc3429)>>32
	s_setpc_b64 s[14:15]
.LBB1_6868:
	v_cmp_ne_u16_e32 vcc, 0, v14
	s_andn2_b64 s[4:5], s[4:5], exec
	s_and_b64 s[8:9], vcc, exec
	v_mov_b32_e32 v13, 0
	s_or_b64 s[4:5], s[4:5], s[8:9]
	s_or_b64 exec, exec, s[6:7]
	s_and_saveexec_b64 s[6:7], s[4:5]
	s_cbranch_execz .LBB1_9577
; %bb.15053:
	s_getpc_b64 s[14:15]
.Lpost_getpc3430:
	s_add_u32 s14, s14, (.LBB1_2771-.Lpost_getpc3430)&4294967295
	s_addc_u32 s15, s15, (.LBB1_2771-.Lpost_getpc3430)>>32
	s_setpc_b64 s[14:15]
.LBB1_9577:
	s_getpc_b64 s[14:15]
.Lpost_getpc692:
	s_add_u32 s14, s14, (.LBB1_2772-.Lpost_getpc692)&4294967295
	s_addc_u32 s15, s15, (.LBB1_2772-.Lpost_getpc692)>>32
	s_setpc_b64 s[14:15]
.LBB1_6869:
	s_movk_i32 s4, 0x80
	v_cmp_eq_u16_e32 vcc, s4, v14
	s_mov_b64 s[4:5], -1
                                        ; implicit-def: $sgpr10
	s_and_saveexec_b64 s[8:9], vcc
; %bb.6870:
	s_mov_b32 s10, 0x7f800001
	s_xor_b64 s[4:5], exec, -1
; %bb.6871:
	s_or_b64 exec, exec, s[8:9]
	s_and_b64 s[4:5], s[4:5], exec
                                        ; implicit-def: $vgpr14
	s_or_saveexec_b64 s[6:7], s[6:7]
	v_mov_b32_e32 v16, s10
	s_xor_b64 exec, exec, s[6:7]
	s_cbranch_execnz .LBB1_6872
; %bb.15055:
	s_getpc_b64 s[14:15]
.Lpost_getpc3431:
	s_add_u32 s14, s14, (.LBB1_2774-.Lpost_getpc3431)&4294967295
	s_addc_u32 s15, s15, (.LBB1_2774-.Lpost_getpc3431)>>32
	s_setpc_b64 s[14:15]
.LBB1_6872:
	v_cmp_ne_u16_e32 vcc, 0, v14
	s_andn2_b64 s[4:5], s[4:5], exec
	s_and_b64 s[8:9], vcc, exec
	v_mov_b32_e32 v16, 0
	s_or_b64 s[4:5], s[4:5], s[8:9]
	s_or_b64 exec, exec, s[6:7]
	s_and_saveexec_b64 s[6:7], s[4:5]
	s_cbranch_execz .LBB1_9579
; %bb.15057:
	s_getpc_b64 s[14:15]
.Lpost_getpc3432:
	s_add_u32 s14, s14, (.LBB1_2775-.Lpost_getpc3432)&4294967295
	s_addc_u32 s15, s15, (.LBB1_2775-.Lpost_getpc3432)>>32
	s_setpc_b64 s[14:15]
.LBB1_9579:
	s_getpc_b64 s[14:15]
.Lpost_getpc693:
	s_add_u32 s14, s14, (.LBB1_2776-.Lpost_getpc693)&4294967295
	s_addc_u32 s15, s15, (.LBB1_2776-.Lpost_getpc693)>>32
	s_setpc_b64 s[14:15]
.LBB1_6873:
	s_movk_i32 s4, 0x80
	v_cmp_eq_u16_sdwa s[12:13], v18, s4 src0_sel:BYTE_3 src1_sel:DWORD
	s_mov_b64 s[4:5], -1
                                        ; implicit-def: $sgpr10
	s_and_saveexec_b64 s[8:9], s[12:13]
; %bb.6874:
	s_mov_b32 s10, 0x7f800001
	s_xor_b64 s[4:5], exec, -1
; %bb.6875:
	s_or_b64 exec, exec, s[8:9]
	s_and_b64 s[4:5], s[4:5], exec
	s_or_saveexec_b64 s[6:7], s[6:7]
	v_mov_b32_e32 v13, s10
	s_xor_b64 exec, exec, s[6:7]
	s_cbranch_execnz .LBB1_6876
; %bb.15059:
	s_getpc_b64 s[14:15]
.Lpost_getpc3433:
	s_add_u32 s14, s14, (.LBB1_2778-.Lpost_getpc3433)&4294967295
	s_addc_u32 s15, s15, (.LBB1_2778-.Lpost_getpc3433)>>32
	s_setpc_b64 s[14:15]
.LBB1_6876:
	v_mov_b32_e32 v13, 0
	v_cmp_ne_u16_sdwa s[8:9], v18, v13 src0_sel:BYTE_3 src1_sel:DWORD
	s_andn2_b64 s[4:5], s[4:5], exec
	s_and_b64 s[8:9], s[8:9], exec
	s_or_b64 s[4:5], s[4:5], s[8:9]
	s_or_b64 exec, exec, s[6:7]
	s_and_saveexec_b64 s[6:7], s[4:5]
	s_cbranch_execz .LBB1_9581
; %bb.15061:
	s_getpc_b64 s[14:15]
.Lpost_getpc3434:
	s_add_u32 s14, s14, (.LBB1_2779-.Lpost_getpc3434)&4294967295
	s_addc_u32 s15, s15, (.LBB1_2779-.Lpost_getpc3434)>>32
	s_setpc_b64 s[14:15]
.LBB1_9581:
	s_getpc_b64 s[14:15]
.Lpost_getpc694:
	s_add_u32 s14, s14, (.LBB1_2780-.Lpost_getpc694)&4294967295
	s_addc_u32 s15, s15, (.LBB1_2780-.Lpost_getpc694)>>32
	s_setpc_b64 s[14:15]
.LBB1_6877:
	s_movk_i32 s4, 0x80
	v_cmp_eq_u16_sdwa s[12:13], v12, s4 src0_sel:BYTE_3 src1_sel:DWORD
	s_mov_b64 s[4:5], -1
                                        ; implicit-def: $sgpr10
	s_and_saveexec_b64 s[8:9], s[12:13]
; %bb.6878:
	s_mov_b32 s10, 0x7f800001
	s_xor_b64 s[4:5], exec, -1
; %bb.6879:
	s_or_b64 exec, exec, s[8:9]
	s_and_b64 s[4:5], s[4:5], exec
	s_or_saveexec_b64 s[6:7], s[6:7]
	v_mov_b32_e32 v14, s10
	s_xor_b64 exec, exec, s[6:7]
	s_cbranch_execnz .LBB1_6880
; %bb.15063:
	s_getpc_b64 s[14:15]
.Lpost_getpc3435:
	s_add_u32 s14, s14, (.LBB1_2782-.Lpost_getpc3435)&4294967295
	s_addc_u32 s15, s15, (.LBB1_2782-.Lpost_getpc3435)>>32
	s_setpc_b64 s[14:15]
.LBB1_6880:
	v_mov_b32_e32 v14, 0
	v_cmp_ne_u16_sdwa s[8:9], v12, v14 src0_sel:BYTE_3 src1_sel:DWORD
	s_andn2_b64 s[4:5], s[4:5], exec
	s_and_b64 s[8:9], s[8:9], exec
	s_or_b64 s[4:5], s[4:5], s[8:9]
	s_or_b64 exec, exec, s[6:7]
	s_and_saveexec_b64 s[6:7], s[4:5]
	s_cbranch_execz .LBB1_9583
; %bb.15065:
	s_getpc_b64 s[14:15]
.Lpost_getpc3436:
	s_add_u32 s14, s14, (.LBB1_2783-.Lpost_getpc3436)&4294967295
	s_addc_u32 s15, s15, (.LBB1_2783-.Lpost_getpc3436)>>32
	s_setpc_b64 s[14:15]
.LBB1_9583:
	s_getpc_b64 s[14:15]
.Lpost_getpc695:
	s_add_u32 s14, s14, (.LBB1_2784-.Lpost_getpc695)&4294967295
	s_addc_u32 s15, s15, (.LBB1_2784-.Lpost_getpc695)>>32
	s_setpc_b64 s[14:15]
.LBB1_6881:
	s_movk_i32 s4, 0x80
	v_cmp_eq_u16_sdwa s[12:13], v19, s4 src0_sel:BYTE_0 src1_sel:DWORD
	s_mov_b64 s[4:5], -1
                                        ; implicit-def: $sgpr10
	s_and_saveexec_b64 s[8:9], s[12:13]
; %bb.6882:
	s_mov_b32 s10, 0x7f800001
	s_xor_b64 s[4:5], exec, -1
; %bb.6883:
	s_or_b64 exec, exec, s[8:9]
	s_and_b64 s[4:5], s[4:5], exec
	s_or_saveexec_b64 s[6:7], s[6:7]
	v_mov_b32_e32 v12, s10
	s_xor_b64 exec, exec, s[6:7]
	s_cbranch_execnz .LBB1_6884
; %bb.15067:
	s_getpc_b64 s[14:15]
.Lpost_getpc3437:
	s_add_u32 s14, s14, (.LBB1_2786-.Lpost_getpc3437)&4294967295
	s_addc_u32 s15, s15, (.LBB1_2786-.Lpost_getpc3437)>>32
	s_setpc_b64 s[14:15]
.LBB1_6884:
	v_mov_b32_e32 v12, 0
	v_cmp_ne_u16_sdwa s[8:9], v19, v12 src0_sel:BYTE_0 src1_sel:DWORD
	s_andn2_b64 s[4:5], s[4:5], exec
	s_and_b64 s[8:9], s[8:9], exec
	s_or_b64 s[4:5], s[4:5], s[8:9]
	s_or_b64 exec, exec, s[6:7]
	s_and_saveexec_b64 s[6:7], s[4:5]
	s_cbranch_execz .LBB1_9585
; %bb.15069:
	s_getpc_b64 s[14:15]
.Lpost_getpc3438:
	s_add_u32 s14, s14, (.LBB1_2787-.Lpost_getpc3438)&4294967295
	s_addc_u32 s15, s15, (.LBB1_2787-.Lpost_getpc3438)>>32
	s_setpc_b64 s[14:15]
.LBB1_9585:
	s_getpc_b64 s[14:15]
.Lpost_getpc696:
	s_add_u32 s14, s14, (.LBB1_2788-.Lpost_getpc696)&4294967295
	s_addc_u32 s15, s15, (.LBB1_2788-.Lpost_getpc696)>>32
	s_setpc_b64 s[14:15]
.LBB1_6885:
	s_movk_i32 s4, 0x80
	v_cmp_eq_u16_sdwa s[12:13], v15, s4 src0_sel:BYTE_0 src1_sel:DWORD
	s_mov_b64 s[4:5], -1
                                        ; implicit-def: $sgpr10
	s_and_saveexec_b64 s[8:9], s[12:13]
; %bb.6886:
	s_mov_b32 s10, 0x7f800001
	s_xor_b64 s[4:5], exec, -1
; %bb.6887:
	s_or_b64 exec, exec, s[8:9]
	s_and_b64 s[4:5], s[4:5], exec
	s_or_saveexec_b64 s[6:7], s[6:7]
	v_mov_b32_e32 v13, s10
	s_xor_b64 exec, exec, s[6:7]
	s_cbranch_execnz .LBB1_6888
; %bb.15071:
	s_getpc_b64 s[14:15]
.Lpost_getpc3439:
	s_add_u32 s14, s14, (.LBB1_2790-.Lpost_getpc3439)&4294967295
	s_addc_u32 s15, s15, (.LBB1_2790-.Lpost_getpc3439)>>32
	s_setpc_b64 s[14:15]
.LBB1_6888:
	v_mov_b32_e32 v13, 0
	v_cmp_ne_u16_sdwa s[8:9], v15, v13 src0_sel:BYTE_0 src1_sel:DWORD
	s_andn2_b64 s[4:5], s[4:5], exec
	s_and_b64 s[8:9], s[8:9], exec
	s_or_b64 s[4:5], s[4:5], s[8:9]
	s_or_b64 exec, exec, s[6:7]
	s_and_saveexec_b64 s[6:7], s[4:5]
	s_cbranch_execz .LBB1_9587
; %bb.15073:
	s_getpc_b64 s[14:15]
.Lpost_getpc3440:
	s_add_u32 s14, s14, (.LBB1_2791-.Lpost_getpc3440)&4294967295
	s_addc_u32 s15, s15, (.LBB1_2791-.Lpost_getpc3440)>>32
	s_setpc_b64 s[14:15]
.LBB1_9587:
	s_getpc_b64 s[14:15]
.Lpost_getpc697:
	s_add_u32 s14, s14, (.LBB1_2792-.Lpost_getpc697)&4294967295
	s_addc_u32 s15, s15, (.LBB1_2792-.Lpost_getpc697)>>32
	s_setpc_b64 s[14:15]
.LBB1_6889:
	s_movk_i32 s4, 0x80
	v_cmp_eq_u16_sdwa s[12:13], v13, s4 src0_sel:BYTE_0 src1_sel:DWORD
	s_mov_b64 s[4:5], -1
                                        ; implicit-def: $sgpr10
	s_and_saveexec_b64 s[8:9], s[12:13]
; %bb.6890:
	s_mov_b32 s10, 0x7f800001
	s_xor_b64 s[4:5], exec, -1
; %bb.6891:
	s_or_b64 exec, exec, s[8:9]
	s_and_b64 s[4:5], s[4:5], exec
	s_or_saveexec_b64 s[6:7], s[6:7]
	v_mov_b32_e32 v12, s10
	s_xor_b64 exec, exec, s[6:7]
	s_cbranch_execnz .LBB1_6892
; %bb.15075:
	s_getpc_b64 s[14:15]
.Lpost_getpc3441:
	s_add_u32 s14, s14, (.LBB1_2794-.Lpost_getpc3441)&4294967295
	s_addc_u32 s15, s15, (.LBB1_2794-.Lpost_getpc3441)>>32
	s_setpc_b64 s[14:15]
.LBB1_6892:
	v_mov_b32_e32 v12, 0
	v_cmp_ne_u16_sdwa s[8:9], v13, v12 src0_sel:BYTE_0 src1_sel:DWORD
	s_andn2_b64 s[4:5], s[4:5], exec
	s_and_b64 s[8:9], s[8:9], exec
	s_or_b64 s[4:5], s[4:5], s[8:9]
	s_or_b64 exec, exec, s[6:7]
	s_and_saveexec_b64 s[6:7], s[4:5]
	s_cbranch_execz .LBB1_9589
; %bb.15077:
	s_getpc_b64 s[14:15]
.Lpost_getpc3442:
	s_add_u32 s14, s14, (.LBB1_2795-.Lpost_getpc3442)&4294967295
	s_addc_u32 s15, s15, (.LBB1_2795-.Lpost_getpc3442)>>32
	s_setpc_b64 s[14:15]
.LBB1_9589:
	s_getpc_b64 s[14:15]
.Lpost_getpc698:
	s_add_u32 s14, s14, (.LBB1_2796-.Lpost_getpc698)&4294967295
	s_addc_u32 s15, s15, (.LBB1_2796-.Lpost_getpc698)>>32
	s_setpc_b64 s[14:15]
.LBB1_6893:
	s_movk_i32 s4, 0x80
	v_cmp_eq_u16_sdwa s[12:13], v13, s4 src0_sel:BYTE_0 src1_sel:DWORD
	s_mov_b64 s[4:5], -1
                                        ; implicit-def: $sgpr10
	s_and_saveexec_b64 s[8:9], s[12:13]
; %bb.6894:
	s_mov_b32 s10, 0x7f800001
	s_xor_b64 s[4:5], exec, -1
; %bb.6895:
	s_or_b64 exec, exec, s[8:9]
	s_and_b64 s[4:5], s[4:5], exec
	s_or_saveexec_b64 s[6:7], s[6:7]
	v_mov_b32_e32 v14, s10
	s_xor_b64 exec, exec, s[6:7]
	s_cbranch_execnz .LBB1_6896
; %bb.15079:
	s_getpc_b64 s[14:15]
.Lpost_getpc3443:
	s_add_u32 s14, s14, (.LBB1_2798-.Lpost_getpc3443)&4294967295
	s_addc_u32 s15, s15, (.LBB1_2798-.Lpost_getpc3443)>>32
	s_setpc_b64 s[14:15]
.LBB1_6896:
	v_mov_b32_e32 v14, 0
	v_cmp_ne_u16_sdwa s[8:9], v13, v14 src0_sel:BYTE_0 src1_sel:DWORD
	s_andn2_b64 s[4:5], s[4:5], exec
	s_and_b64 s[8:9], s[8:9], exec
	s_or_b64 s[4:5], s[4:5], s[8:9]
	s_or_b64 exec, exec, s[6:7]
	s_and_saveexec_b64 s[6:7], s[4:5]
	s_cbranch_execz .LBB1_9591
; %bb.15081:
	s_getpc_b64 s[14:15]
.Lpost_getpc3444:
	s_add_u32 s14, s14, (.LBB1_2799-.Lpost_getpc3444)&4294967295
	s_addc_u32 s15, s15, (.LBB1_2799-.Lpost_getpc3444)>>32
	s_setpc_b64 s[14:15]
.LBB1_9591:
	s_getpc_b64 s[14:15]
.Lpost_getpc699:
	s_add_u32 s14, s14, (.LBB1_2800-.Lpost_getpc699)&4294967295
	s_addc_u32 s15, s15, (.LBB1_2800-.Lpost_getpc699)>>32
	s_setpc_b64 s[14:15]
.LBB1_6897:
	s_movk_i32 s4, 0x80
	v_cmp_eq_u16_e32 vcc, s4, v13
	s_mov_b64 s[4:5], -1
                                        ; implicit-def: $sgpr10
	s_and_saveexec_b64 s[8:9], vcc
; %bb.6898:
	s_mov_b32 s10, 0x7f800001
	s_xor_b64 s[4:5], exec, -1
; %bb.6899:
	s_or_b64 exec, exec, s[8:9]
	s_and_b64 s[4:5], s[4:5], exec
                                        ; implicit-def: $vgpr13
	s_or_saveexec_b64 s[6:7], s[6:7]
	v_mov_b32_e32 v12, s10
	s_xor_b64 exec, exec, s[6:7]
	s_cbranch_execnz .LBB1_6900
; %bb.15083:
	s_getpc_b64 s[14:15]
.Lpost_getpc3445:
	s_add_u32 s14, s14, (.LBB1_2802-.Lpost_getpc3445)&4294967295
	s_addc_u32 s15, s15, (.LBB1_2802-.Lpost_getpc3445)>>32
	s_setpc_b64 s[14:15]
.LBB1_6900:
	v_cmp_ne_u16_e32 vcc, 0, v13
	s_andn2_b64 s[4:5], s[4:5], exec
	s_and_b64 s[8:9], vcc, exec
	v_mov_b32_e32 v12, 0
	s_or_b64 s[4:5], s[4:5], s[8:9]
	s_or_b64 exec, exec, s[6:7]
	s_and_saveexec_b64 s[6:7], s[4:5]
	s_cbranch_execz .LBB1_9593
; %bb.15085:
	s_getpc_b64 s[14:15]
.Lpost_getpc3446:
	s_add_u32 s14, s14, (.LBB1_2803-.Lpost_getpc3446)&4294967295
	s_addc_u32 s15, s15, (.LBB1_2803-.Lpost_getpc3446)>>32
	s_setpc_b64 s[14:15]
.LBB1_9593:
	s_getpc_b64 s[14:15]
.Lpost_getpc700:
	s_add_u32 s14, s14, (.LBB1_2804-.Lpost_getpc700)&4294967295
	s_addc_u32 s15, s15, (.LBB1_2804-.Lpost_getpc700)>>32
	s_setpc_b64 s[14:15]
.LBB1_6901:
	s_movk_i32 s4, 0x80
	v_cmp_eq_u16_e32 vcc, s4, v13
	s_mov_b64 s[4:5], -1
                                        ; implicit-def: $sgpr10
	s_and_saveexec_b64 s[8:9], vcc
; %bb.6902:
	s_mov_b32 s10, 0x7f800001
	s_xor_b64 s[4:5], exec, -1
; %bb.6903:
	s_or_b64 exec, exec, s[8:9]
	s_and_b64 s[4:5], s[4:5], exec
                                        ; implicit-def: $vgpr13
	s_or_saveexec_b64 s[6:7], s[6:7]
	v_mov_b32_e32 v14, s10
	s_xor_b64 exec, exec, s[6:7]
	s_cbranch_execnz .LBB1_6904
; %bb.15087:
	s_getpc_b64 s[14:15]
.Lpost_getpc3447:
	s_add_u32 s14, s14, (.LBB1_2806-.Lpost_getpc3447)&4294967295
	s_addc_u32 s15, s15, (.LBB1_2806-.Lpost_getpc3447)>>32
	s_setpc_b64 s[14:15]
.LBB1_6904:
	v_cmp_ne_u16_e32 vcc, 0, v13
	s_andn2_b64 s[4:5], s[4:5], exec
	s_and_b64 s[8:9], vcc, exec
	v_mov_b32_e32 v14, 0
	s_or_b64 s[4:5], s[4:5], s[8:9]
	s_or_b64 exec, exec, s[6:7]
	s_and_saveexec_b64 s[6:7], s[4:5]
	s_cbranch_execz .LBB1_9595
; %bb.15089:
	s_getpc_b64 s[14:15]
.Lpost_getpc3448:
	s_add_u32 s14, s14, (.LBB1_2807-.Lpost_getpc3448)&4294967295
	s_addc_u32 s15, s15, (.LBB1_2807-.Lpost_getpc3448)>>32
	s_setpc_b64 s[14:15]
.LBB1_9595:
	s_getpc_b64 s[14:15]
.Lpost_getpc701:
	s_add_u32 s14, s14, (.LBB1_2808-.Lpost_getpc701)&4294967295
	s_addc_u32 s15, s15, (.LBB1_2808-.Lpost_getpc701)>>32
	s_setpc_b64 s[14:15]
.LBB1_6905:
	s_movk_i32 s4, 0x80
	v_cmp_eq_u16_sdwa s[12:13], v19, s4 src0_sel:BYTE_3 src1_sel:DWORD
	s_mov_b64 s[4:5], -1
                                        ; implicit-def: $sgpr10
	s_and_saveexec_b64 s[8:9], s[12:13]
; %bb.6906:
	s_mov_b32 s10, 0x7f800001
	s_xor_b64 s[4:5], exec, -1
; %bb.6907:
	s_or_b64 exec, exec, s[8:9]
	s_and_b64 s[4:5], s[4:5], exec
	s_or_saveexec_b64 s[6:7], s[6:7]
	v_mov_b32_e32 v12, s10
	s_xor_b64 exec, exec, s[6:7]
	s_cbranch_execnz .LBB1_6908
; %bb.15091:
	s_getpc_b64 s[14:15]
.Lpost_getpc3449:
	s_add_u32 s14, s14, (.LBB1_2810-.Lpost_getpc3449)&4294967295
	s_addc_u32 s15, s15, (.LBB1_2810-.Lpost_getpc3449)>>32
	s_setpc_b64 s[14:15]
.LBB1_6908:
	v_mov_b32_e32 v12, 0
	v_cmp_ne_u16_sdwa s[8:9], v19, v12 src0_sel:BYTE_3 src1_sel:DWORD
	s_andn2_b64 s[4:5], s[4:5], exec
	s_and_b64 s[8:9], s[8:9], exec
	s_or_b64 s[4:5], s[4:5], s[8:9]
	s_or_b64 exec, exec, s[6:7]
	s_and_saveexec_b64 s[6:7], s[4:5]
	s_cbranch_execz .LBB1_9597
; %bb.15093:
	s_getpc_b64 s[14:15]
.Lpost_getpc3450:
	s_add_u32 s14, s14, (.LBB1_2811-.Lpost_getpc3450)&4294967295
	s_addc_u32 s15, s15, (.LBB1_2811-.Lpost_getpc3450)>>32
	s_setpc_b64 s[14:15]
.LBB1_9597:
	s_getpc_b64 s[14:15]
.Lpost_getpc702:
	s_add_u32 s14, s14, (.LBB1_2812-.Lpost_getpc702)&4294967295
	s_addc_u32 s15, s15, (.LBB1_2812-.Lpost_getpc702)>>32
	s_setpc_b64 s[14:15]
.LBB1_6909:
	s_movk_i32 s4, 0x80
	v_cmp_eq_u16_sdwa s[12:13], v15, s4 src0_sel:BYTE_3 src1_sel:DWORD
	s_mov_b64 s[4:5], -1
                                        ; implicit-def: $sgpr10
	s_and_saveexec_b64 s[8:9], s[12:13]
; %bb.6910:
	s_mov_b32 s10, 0x7f800001
	s_xor_b64 s[4:5], exec, -1
; %bb.6911:
	s_or_b64 exec, exec, s[8:9]
	s_and_b64 s[4:5], s[4:5], exec
	s_or_saveexec_b64 s[6:7], s[6:7]
	v_mov_b32_e32 v13, s10
	s_xor_b64 exec, exec, s[6:7]
	s_cbranch_execnz .LBB1_6912
; %bb.15095:
	s_getpc_b64 s[14:15]
.Lpost_getpc3451:
	s_add_u32 s14, s14, (.LBB1_2814-.Lpost_getpc3451)&4294967295
	s_addc_u32 s15, s15, (.LBB1_2814-.Lpost_getpc3451)>>32
	s_setpc_b64 s[14:15]
.LBB1_6912:
	v_mov_b32_e32 v13, 0
	v_cmp_ne_u16_sdwa s[8:9], v15, v13 src0_sel:BYTE_3 src1_sel:DWORD
	s_andn2_b64 s[4:5], s[4:5], exec
	s_and_b64 s[8:9], s[8:9], exec
	s_or_b64 s[4:5], s[4:5], s[8:9]
	s_or_b64 exec, exec, s[6:7]
	s_and_saveexec_b64 s[6:7], s[4:5]
	s_cbranch_execz .LBB1_9599
; %bb.15097:
	s_getpc_b64 s[14:15]
.Lpost_getpc3452:
	s_add_u32 s14, s14, (.LBB1_2815-.Lpost_getpc3452)&4294967295
	s_addc_u32 s15, s15, (.LBB1_2815-.Lpost_getpc3452)>>32
	s_setpc_b64 s[14:15]
.LBB1_9599:
	s_getpc_b64 s[14:15]
.Lpost_getpc703:
	s_add_u32 s14, s14, (.LBB1_2816-.Lpost_getpc703)&4294967295
	s_addc_u32 s15, s15, (.LBB1_2816-.Lpost_getpc703)>>32
	s_setpc_b64 s[14:15]
.LBB1_6913:
	s_movk_i32 s4, 0x80
	v_cmp_eq_u16_sdwa s[12:13], v16, s4 src0_sel:BYTE_0 src1_sel:DWORD
	s_mov_b64 s[4:5], -1
                                        ; implicit-def: $sgpr10
	s_and_saveexec_b64 s[8:9], s[12:13]
; %bb.6914:
	s_mov_b32 s10, 0x7f800001
	s_xor_b64 s[4:5], exec, -1
; %bb.6915:
	s_or_b64 exec, exec, s[8:9]
	s_and_b64 s[4:5], s[4:5], exec
	s_or_saveexec_b64 s[6:7], s[6:7]
	v_mov_b32_e32 v21, s10
	s_xor_b64 exec, exec, s[6:7]
	s_cbranch_execnz .LBB1_6916
; %bb.15099:
	s_getpc_b64 s[14:15]
.Lpost_getpc3453:
	s_add_u32 s14, s14, (.LBB1_2818-.Lpost_getpc3453)&4294967295
	s_addc_u32 s15, s15, (.LBB1_2818-.Lpost_getpc3453)>>32
	s_setpc_b64 s[14:15]
.LBB1_6916:
	v_mov_b32_e32 v21, 0
	v_cmp_ne_u16_sdwa s[8:9], v16, v21 src0_sel:BYTE_0 src1_sel:DWORD
	s_andn2_b64 s[4:5], s[4:5], exec
	s_and_b64 s[8:9], s[8:9], exec
	s_or_b64 s[4:5], s[4:5], s[8:9]
	s_or_b64 exec, exec, s[6:7]
	s_and_saveexec_b64 s[6:7], s[4:5]
	s_cbranch_execz .LBB1_9601
; %bb.15101:
	s_getpc_b64 s[14:15]
.Lpost_getpc3454:
	s_add_u32 s14, s14, (.LBB1_2819-.Lpost_getpc3454)&4294967295
	s_addc_u32 s15, s15, (.LBB1_2819-.Lpost_getpc3454)>>32
	s_setpc_b64 s[14:15]
.LBB1_9601:
	s_getpc_b64 s[14:15]
.Lpost_getpc704:
	s_add_u32 s14, s14, (.LBB1_2820-.Lpost_getpc704)&4294967295
	s_addc_u32 s15, s15, (.LBB1_2820-.Lpost_getpc704)>>32
	s_setpc_b64 s[14:15]
.LBB1_6917:
	s_movk_i32 s4, 0x80
	v_cmp_eq_u16_sdwa s[12:13], v12, s4 src0_sel:BYTE_0 src1_sel:DWORD
	s_mov_b64 s[4:5], -1
                                        ; implicit-def: $sgpr10
	s_and_saveexec_b64 s[8:9], s[12:13]
; %bb.6918:
	s_mov_b32 s10, 0x7f800001
	s_xor_b64 s[4:5], exec, -1
; %bb.6919:
	s_or_b64 exec, exec, s[8:9]
	s_and_b64 s[4:5], s[4:5], exec
	s_or_saveexec_b64 s[6:7], s[6:7]
	v_mov_b32_e32 v22, s10
	s_xor_b64 exec, exec, s[6:7]
	s_cbranch_execnz .LBB1_6920
; %bb.15103:
	s_getpc_b64 s[14:15]
.Lpost_getpc3455:
	s_add_u32 s14, s14, (.LBB1_2822-.Lpost_getpc3455)&4294967295
	s_addc_u32 s15, s15, (.LBB1_2822-.Lpost_getpc3455)>>32
	s_setpc_b64 s[14:15]
.LBB1_6920:
	v_mov_b32_e32 v22, 0
	v_cmp_ne_u16_sdwa s[8:9], v12, v22 src0_sel:BYTE_0 src1_sel:DWORD
	s_andn2_b64 s[4:5], s[4:5], exec
	s_and_b64 s[8:9], s[8:9], exec
	s_or_b64 s[4:5], s[4:5], s[8:9]
	s_or_b64 exec, exec, s[6:7]
	s_and_saveexec_b64 s[6:7], s[4:5]
	s_cbranch_execz .LBB1_9603
; %bb.15105:
	s_getpc_b64 s[14:15]
.Lpost_getpc3456:
	s_add_u32 s14, s14, (.LBB1_2823-.Lpost_getpc3456)&4294967295
	s_addc_u32 s15, s15, (.LBB1_2823-.Lpost_getpc3456)>>32
	s_setpc_b64 s[14:15]
.LBB1_9603:
	s_getpc_b64 s[14:15]
.Lpost_getpc705:
	s_add_u32 s14, s14, (.LBB1_2824-.Lpost_getpc705)&4294967295
	s_addc_u32 s15, s15, (.LBB1_2824-.Lpost_getpc705)>>32
	s_setpc_b64 s[14:15]
.LBB1_6921:
	s_movk_i32 s4, 0x80
	v_cmp_eq_u16_sdwa s[12:13], v22, s4 src0_sel:BYTE_0 src1_sel:DWORD
	s_mov_b64 s[4:5], -1
                                        ; implicit-def: $sgpr10
	s_and_saveexec_b64 s[8:9], s[12:13]
; %bb.6922:
	s_mov_b32 s10, 0x7f800001
	s_xor_b64 s[4:5], exec, -1
; %bb.6923:
	s_or_b64 exec, exec, s[8:9]
	s_and_b64 s[4:5], s[4:5], exec
	s_or_saveexec_b64 s[6:7], s[6:7]
	v_mov_b32_e32 v21, s10
	s_xor_b64 exec, exec, s[6:7]
	s_cbranch_execnz .LBB1_6924
; %bb.15107:
	s_getpc_b64 s[14:15]
.Lpost_getpc3457:
	s_add_u32 s14, s14, (.LBB1_2826-.Lpost_getpc3457)&4294967295
	s_addc_u32 s15, s15, (.LBB1_2826-.Lpost_getpc3457)>>32
	s_setpc_b64 s[14:15]
.LBB1_6924:
	v_mov_b32_e32 v21, 0
	v_cmp_ne_u16_sdwa s[8:9], v22, v21 src0_sel:BYTE_0 src1_sel:DWORD
	s_andn2_b64 s[4:5], s[4:5], exec
	s_and_b64 s[8:9], s[8:9], exec
	s_or_b64 s[4:5], s[4:5], s[8:9]
	s_or_b64 exec, exec, s[6:7]
	s_and_saveexec_b64 s[6:7], s[4:5]
	s_cbranch_execz .LBB1_9605
; %bb.15109:
	s_getpc_b64 s[14:15]
.Lpost_getpc3458:
	s_add_u32 s14, s14, (.LBB1_2827-.Lpost_getpc3458)&4294967295
	s_addc_u32 s15, s15, (.LBB1_2827-.Lpost_getpc3458)>>32
	s_setpc_b64 s[14:15]
.LBB1_9605:
	s_getpc_b64 s[14:15]
.Lpost_getpc706:
	s_add_u32 s14, s14, (.LBB1_2828-.Lpost_getpc706)&4294967295
	s_addc_u32 s15, s15, (.LBB1_2828-.Lpost_getpc706)>>32
	s_setpc_b64 s[14:15]
.LBB1_6925:
	s_movk_i32 s4, 0x80
	v_cmp_eq_u16_sdwa s[12:13], v22, s4 src0_sel:BYTE_0 src1_sel:DWORD
	s_mov_b64 s[4:5], -1
                                        ; implicit-def: $sgpr10
	s_and_saveexec_b64 s[8:9], s[12:13]
; %bb.6926:
	s_mov_b32 s10, 0x7f800001
	s_xor_b64 s[4:5], exec, -1
; %bb.6927:
	s_or_b64 exec, exec, s[8:9]
	s_and_b64 s[4:5], s[4:5], exec
	s_or_saveexec_b64 s[6:7], s[6:7]
	v_mov_b32_e32 v23, s10
	s_xor_b64 exec, exec, s[6:7]
	s_cbranch_execnz .LBB1_6928
; %bb.15111:
	s_getpc_b64 s[14:15]
.Lpost_getpc3459:
	s_add_u32 s14, s14, (.LBB1_2830-.Lpost_getpc3459)&4294967295
	s_addc_u32 s15, s15, (.LBB1_2830-.Lpost_getpc3459)>>32
	s_setpc_b64 s[14:15]
.LBB1_6928:
	v_mov_b32_e32 v23, 0
	v_cmp_ne_u16_sdwa s[8:9], v22, v23 src0_sel:BYTE_0 src1_sel:DWORD
	s_andn2_b64 s[4:5], s[4:5], exec
	s_and_b64 s[8:9], s[8:9], exec
	s_or_b64 s[4:5], s[4:5], s[8:9]
	s_or_b64 exec, exec, s[6:7]
	s_and_saveexec_b64 s[6:7], s[4:5]
	s_cbranch_execz .LBB1_9607
; %bb.15113:
	s_getpc_b64 s[14:15]
.Lpost_getpc3460:
	s_add_u32 s14, s14, (.LBB1_2831-.Lpost_getpc3460)&4294967295
	s_addc_u32 s15, s15, (.LBB1_2831-.Lpost_getpc3460)>>32
	s_setpc_b64 s[14:15]
.LBB1_9607:
	s_getpc_b64 s[14:15]
.Lpost_getpc707:
	s_add_u32 s14, s14, (.LBB1_2832-.Lpost_getpc707)&4294967295
	s_addc_u32 s15, s15, (.LBB1_2832-.Lpost_getpc707)>>32
	s_setpc_b64 s[14:15]
.LBB1_6929:
	s_movk_i32 s4, 0x80
	v_cmp_eq_u16_e32 vcc, s4, v22
	s_mov_b64 s[4:5], -1
                                        ; implicit-def: $sgpr10
	s_and_saveexec_b64 s[8:9], vcc
; %bb.6930:
	s_mov_b32 s10, 0x7f800001
	s_xor_b64 s[4:5], exec, -1
; %bb.6931:
	s_or_b64 exec, exec, s[8:9]
	s_and_b64 s[4:5], s[4:5], exec
                                        ; implicit-def: $vgpr22
	s_or_saveexec_b64 s[6:7], s[6:7]
	v_mov_b32_e32 v21, s10
	s_xor_b64 exec, exec, s[6:7]
	s_cbranch_execnz .LBB1_6932
; %bb.15115:
	s_getpc_b64 s[14:15]
.Lpost_getpc3461:
	s_add_u32 s14, s14, (.LBB1_2834-.Lpost_getpc3461)&4294967295
	s_addc_u32 s15, s15, (.LBB1_2834-.Lpost_getpc3461)>>32
	s_setpc_b64 s[14:15]
.LBB1_6932:
	v_cmp_ne_u16_e32 vcc, 0, v22
	s_andn2_b64 s[4:5], s[4:5], exec
	s_and_b64 s[8:9], vcc, exec
	v_mov_b32_e32 v21, 0
	s_or_b64 s[4:5], s[4:5], s[8:9]
	s_or_b64 exec, exec, s[6:7]
	s_and_saveexec_b64 s[6:7], s[4:5]
	s_cbranch_execz .LBB1_9609
; %bb.15117:
	s_getpc_b64 s[14:15]
.Lpost_getpc3462:
	s_add_u32 s14, s14, (.LBB1_2835-.Lpost_getpc3462)&4294967295
	s_addc_u32 s15, s15, (.LBB1_2835-.Lpost_getpc3462)>>32
	s_setpc_b64 s[14:15]
.LBB1_9609:
	s_getpc_b64 s[14:15]
.Lpost_getpc708:
	s_add_u32 s14, s14, (.LBB1_2836-.Lpost_getpc708)&4294967295
	s_addc_u32 s15, s15, (.LBB1_2836-.Lpost_getpc708)>>32
	s_setpc_b64 s[14:15]
.LBB1_6933:
	s_movk_i32 s4, 0x80
	v_cmp_eq_u16_e32 vcc, s4, v22
	s_mov_b64 s[4:5], -1
                                        ; implicit-def: $sgpr10
	s_and_saveexec_b64 s[8:9], vcc
; %bb.6934:
	s_mov_b32 s10, 0x7f800001
	s_xor_b64 s[4:5], exec, -1
; %bb.6935:
	s_or_b64 exec, exec, s[8:9]
	s_and_b64 s[4:5], s[4:5], exec
                                        ; implicit-def: $vgpr22
	s_or_saveexec_b64 s[6:7], s[6:7]
	v_mov_b32_e32 v23, s10
	s_xor_b64 exec, exec, s[6:7]
	s_cbranch_execnz .LBB1_6936
; %bb.15119:
	s_getpc_b64 s[14:15]
.Lpost_getpc3463:
	s_add_u32 s14, s14, (.LBB1_2838-.Lpost_getpc3463)&4294967295
	s_addc_u32 s15, s15, (.LBB1_2838-.Lpost_getpc3463)>>32
	s_setpc_b64 s[14:15]
.LBB1_6936:
	v_cmp_ne_u16_e32 vcc, 0, v22
	s_andn2_b64 s[4:5], s[4:5], exec
	s_and_b64 s[8:9], vcc, exec
	v_mov_b32_e32 v23, 0
	s_or_b64 s[4:5], s[4:5], s[8:9]
	s_or_b64 exec, exec, s[6:7]
	s_and_saveexec_b64 s[6:7], s[4:5]
	s_cbranch_execz .LBB1_9611
; %bb.15121:
	s_getpc_b64 s[14:15]
.Lpost_getpc3464:
	s_add_u32 s14, s14, (.LBB1_2839-.Lpost_getpc3464)&4294967295
	s_addc_u32 s15, s15, (.LBB1_2839-.Lpost_getpc3464)>>32
	s_setpc_b64 s[14:15]
.LBB1_9611:
	s_getpc_b64 s[14:15]
.Lpost_getpc709:
	s_add_u32 s14, s14, (.LBB1_2840-.Lpost_getpc709)&4294967295
	s_addc_u32 s15, s15, (.LBB1_2840-.Lpost_getpc709)>>32
	s_setpc_b64 s[14:15]
.LBB1_6937:
	s_movk_i32 s4, 0x80
	v_cmp_eq_u16_sdwa s[12:13], v16, s4 src0_sel:BYTE_3 src1_sel:DWORD
	s_mov_b64 s[4:5], -1
                                        ; implicit-def: $sgpr10
	s_and_saveexec_b64 s[8:9], s[12:13]
; %bb.6938:
	s_mov_b32 s10, 0x7f800001
	s_xor_b64 s[4:5], exec, -1
; %bb.6939:
	s_or_b64 exec, exec, s[8:9]
	s_and_b64 s[4:5], s[4:5], exec
	s_or_saveexec_b64 s[6:7], s[6:7]
	v_mov_b32_e32 v21, s10
	s_xor_b64 exec, exec, s[6:7]
	s_cbranch_execnz .LBB1_6940
; %bb.15123:
	s_getpc_b64 s[14:15]
.Lpost_getpc3465:
	s_add_u32 s14, s14, (.LBB1_2842-.Lpost_getpc3465)&4294967295
	s_addc_u32 s15, s15, (.LBB1_2842-.Lpost_getpc3465)>>32
	s_setpc_b64 s[14:15]
.LBB1_6940:
	v_mov_b32_e32 v21, 0
	v_cmp_ne_u16_sdwa s[8:9], v16, v21 src0_sel:BYTE_3 src1_sel:DWORD
	s_andn2_b64 s[4:5], s[4:5], exec
	s_and_b64 s[8:9], s[8:9], exec
	s_or_b64 s[4:5], s[4:5], s[8:9]
	s_or_b64 exec, exec, s[6:7]
	s_and_saveexec_b64 s[6:7], s[4:5]
	s_cbranch_execz .LBB1_9613
; %bb.15125:
	s_getpc_b64 s[14:15]
.Lpost_getpc3466:
	s_add_u32 s14, s14, (.LBB1_2843-.Lpost_getpc3466)&4294967295
	s_addc_u32 s15, s15, (.LBB1_2843-.Lpost_getpc3466)>>32
	s_setpc_b64 s[14:15]
.LBB1_9613:
	s_getpc_b64 s[14:15]
.Lpost_getpc710:
	s_add_u32 s14, s14, (.LBB1_2844-.Lpost_getpc710)&4294967295
	s_addc_u32 s15, s15, (.LBB1_2844-.Lpost_getpc710)>>32
	s_setpc_b64 s[14:15]
.LBB1_6941:
	s_movk_i32 s4, 0x80
	v_cmp_eq_u16_sdwa s[12:13], v12, s4 src0_sel:BYTE_3 src1_sel:DWORD
	s_mov_b64 s[4:5], -1
                                        ; implicit-def: $sgpr10
	s_and_saveexec_b64 s[8:9], s[12:13]
; %bb.6942:
	s_mov_b32 s10, 0x7f800001
	s_xor_b64 s[4:5], exec, -1
; %bb.6943:
	s_or_b64 exec, exec, s[8:9]
	s_and_b64 s[4:5], s[4:5], exec
	s_or_saveexec_b64 s[6:7], s[6:7]
	v_mov_b32_e32 v16, s10
	s_xor_b64 exec, exec, s[6:7]
	s_cbranch_execnz .LBB1_6944
; %bb.15127:
	s_getpc_b64 s[14:15]
.Lpost_getpc3467:
	s_add_u32 s14, s14, (.LBB1_2846-.Lpost_getpc3467)&4294967295
	s_addc_u32 s15, s15, (.LBB1_2846-.Lpost_getpc3467)>>32
	s_setpc_b64 s[14:15]
.LBB1_6944:
	v_mov_b32_e32 v16, 0
	v_cmp_ne_u16_sdwa s[8:9], v12, v16 src0_sel:BYTE_3 src1_sel:DWORD
	s_andn2_b64 s[4:5], s[4:5], exec
	s_and_b64 s[8:9], s[8:9], exec
	s_or_b64 s[4:5], s[4:5], s[8:9]
	s_or_b64 exec, exec, s[6:7]
	s_and_saveexec_b64 s[6:7], s[4:5]
	s_cbranch_execz .LBB1_9615
; %bb.15129:
	s_getpc_b64 s[14:15]
.Lpost_getpc3468:
	s_add_u32 s14, s14, (.LBB1_2847-.Lpost_getpc3468)&4294967295
	s_addc_u32 s15, s15, (.LBB1_2847-.Lpost_getpc3468)>>32
	s_setpc_b64 s[14:15]
.LBB1_9615:
	s_getpc_b64 s[14:15]
.Lpost_getpc711:
	s_add_u32 s14, s14, (.LBB1_2848-.Lpost_getpc711)&4294967295
	s_addc_u32 s15, s15, (.LBB1_2848-.Lpost_getpc711)>>32
	s_setpc_b64 s[14:15]
.LBB1_6945:
	s_movk_i32 s4, 0x80
	v_cmp_eq_u16_sdwa s[12:13], v17, s4 src0_sel:BYTE_0 src1_sel:DWORD
	s_mov_b64 s[4:5], -1
                                        ; implicit-def: $sgpr10
	s_and_saveexec_b64 s[8:9], s[12:13]
; %bb.6946:
	s_mov_b32 s10, 0x7f800001
	s_xor_b64 s[4:5], exec, -1
; %bb.6947:
	s_or_b64 exec, exec, s[8:9]
	s_and_b64 s[4:5], s[4:5], exec
	s_or_saveexec_b64 s[6:7], s[6:7]
	v_mov_b32_e32 v12, s10
	s_xor_b64 exec, exec, s[6:7]
	s_cbranch_execnz .LBB1_6948
; %bb.15131:
	s_getpc_b64 s[14:15]
.Lpost_getpc3469:
	s_add_u32 s14, s14, (.LBB1_2850-.Lpost_getpc3469)&4294967295
	s_addc_u32 s15, s15, (.LBB1_2850-.Lpost_getpc3469)>>32
	s_setpc_b64 s[14:15]
.LBB1_6948:
	v_mov_b32_e32 v12, 0
	v_cmp_ne_u16_sdwa s[8:9], v17, v12 src0_sel:BYTE_0 src1_sel:DWORD
	s_andn2_b64 s[4:5], s[4:5], exec
	s_and_b64 s[8:9], s[8:9], exec
	s_or_b64 s[4:5], s[4:5], s[8:9]
	s_or_b64 exec, exec, s[6:7]
	s_and_saveexec_b64 s[6:7], s[4:5]
	s_cbranch_execz .LBB1_9617
; %bb.15133:
	s_getpc_b64 s[14:15]
.Lpost_getpc3470:
	s_add_u32 s14, s14, (.LBB1_2851-.Lpost_getpc3470)&4294967295
	s_addc_u32 s15, s15, (.LBB1_2851-.Lpost_getpc3470)>>32
	s_setpc_b64 s[14:15]
.LBB1_9617:
	s_getpc_b64 s[14:15]
.Lpost_getpc712:
	s_add_u32 s14, s14, (.LBB1_2852-.Lpost_getpc712)&4294967295
	s_addc_u32 s15, s15, (.LBB1_2852-.Lpost_getpc712)>>32
	s_setpc_b64 s[14:15]
.LBB1_6949:
	s_movk_i32 s4, 0x80
	v_cmp_eq_u16_sdwa s[12:13], v13, s4 src0_sel:BYTE_0 src1_sel:DWORD
	s_mov_b64 s[4:5], -1
                                        ; implicit-def: $sgpr10
	s_and_saveexec_b64 s[8:9], s[12:13]
; %bb.6950:
	s_mov_b32 s10, 0x7f800001
	s_xor_b64 s[4:5], exec, -1
; %bb.6951:
	s_or_b64 exec, exec, s[8:9]
	s_and_b64 s[4:5], s[4:5], exec
	s_or_saveexec_b64 s[6:7], s[6:7]
	v_mov_b32_e32 v16, s10
	s_xor_b64 exec, exec, s[6:7]
	s_cbranch_execnz .LBB1_6952
; %bb.15135:
	s_getpc_b64 s[14:15]
.Lpost_getpc3471:
	s_add_u32 s14, s14, (.LBB1_2854-.Lpost_getpc3471)&4294967295
	s_addc_u32 s15, s15, (.LBB1_2854-.Lpost_getpc3471)>>32
	s_setpc_b64 s[14:15]
.LBB1_6952:
	v_mov_b32_e32 v16, 0
	v_cmp_ne_u16_sdwa s[8:9], v13, v16 src0_sel:BYTE_0 src1_sel:DWORD
	s_andn2_b64 s[4:5], s[4:5], exec
	s_and_b64 s[8:9], s[8:9], exec
	s_or_b64 s[4:5], s[4:5], s[8:9]
	s_or_b64 exec, exec, s[6:7]
	s_and_saveexec_b64 s[6:7], s[4:5]
	s_cbranch_execz .LBB1_9619
; %bb.15137:
	s_getpc_b64 s[14:15]
.Lpost_getpc3472:
	s_add_u32 s14, s14, (.LBB1_2855-.Lpost_getpc3472)&4294967295
	s_addc_u32 s15, s15, (.LBB1_2855-.Lpost_getpc3472)>>32
	s_setpc_b64 s[14:15]
.LBB1_9619:
	s_getpc_b64 s[14:15]
.Lpost_getpc713:
	s_add_u32 s14, s14, (.LBB1_2856-.Lpost_getpc713)&4294967295
	s_addc_u32 s15, s15, (.LBB1_2856-.Lpost_getpc713)>>32
	s_setpc_b64 s[14:15]
.LBB1_6953:
	s_movk_i32 s4, 0x80
	v_cmp_eq_u16_sdwa s[12:13], v16, s4 src0_sel:BYTE_0 src1_sel:DWORD
	s_mov_b64 s[4:5], -1
                                        ; implicit-def: $sgpr10
	s_and_saveexec_b64 s[8:9], s[12:13]
; %bb.6954:
	s_mov_b32 s10, 0x7f800001
	s_xor_b64 s[4:5], exec, -1
; %bb.6955:
	s_or_b64 exec, exec, s[8:9]
	s_and_b64 s[4:5], s[4:5], exec
	s_or_saveexec_b64 s[6:7], s[6:7]
	v_mov_b32_e32 v12, s10
	s_xor_b64 exec, exec, s[6:7]
	s_cbranch_execnz .LBB1_6956
; %bb.15139:
	s_getpc_b64 s[14:15]
.Lpost_getpc3473:
	s_add_u32 s14, s14, (.LBB1_2858-.Lpost_getpc3473)&4294967295
	s_addc_u32 s15, s15, (.LBB1_2858-.Lpost_getpc3473)>>32
	s_setpc_b64 s[14:15]
.LBB1_6956:
	v_mov_b32_e32 v12, 0
	v_cmp_ne_u16_sdwa s[8:9], v16, v12 src0_sel:BYTE_0 src1_sel:DWORD
	s_andn2_b64 s[4:5], s[4:5], exec
	s_and_b64 s[8:9], s[8:9], exec
	s_or_b64 s[4:5], s[4:5], s[8:9]
	s_or_b64 exec, exec, s[6:7]
	s_and_saveexec_b64 s[6:7], s[4:5]
	s_cbranch_execz .LBB1_9621
; %bb.15141:
	s_getpc_b64 s[14:15]
.Lpost_getpc3474:
	s_add_u32 s14, s14, (.LBB1_2859-.Lpost_getpc3474)&4294967295
	s_addc_u32 s15, s15, (.LBB1_2859-.Lpost_getpc3474)>>32
	s_setpc_b64 s[14:15]
.LBB1_9621:
	s_getpc_b64 s[14:15]
.Lpost_getpc714:
	s_add_u32 s14, s14, (.LBB1_2860-.Lpost_getpc714)&4294967295
	s_addc_u32 s15, s15, (.LBB1_2860-.Lpost_getpc714)>>32
	s_setpc_b64 s[14:15]
.LBB1_6957:
	s_movk_i32 s4, 0x80
	v_cmp_eq_u16_sdwa s[12:13], v16, s4 src0_sel:BYTE_0 src1_sel:DWORD
	s_mov_b64 s[4:5], -1
                                        ; implicit-def: $sgpr10
	s_and_saveexec_b64 s[8:9], s[12:13]
; %bb.6958:
	s_mov_b32 s10, 0x7f800001
	s_xor_b64 s[4:5], exec, -1
; %bb.6959:
	s_or_b64 exec, exec, s[8:9]
	s_and_b64 s[4:5], s[4:5], exec
	s_or_saveexec_b64 s[6:7], s[6:7]
	v_mov_b32_e32 v21, s10
	s_xor_b64 exec, exec, s[6:7]
	s_cbranch_execnz .LBB1_6960
; %bb.15143:
	s_getpc_b64 s[14:15]
.Lpost_getpc3475:
	s_add_u32 s14, s14, (.LBB1_2862-.Lpost_getpc3475)&4294967295
	s_addc_u32 s15, s15, (.LBB1_2862-.Lpost_getpc3475)>>32
	s_setpc_b64 s[14:15]
.LBB1_6960:
	v_mov_b32_e32 v21, 0
	v_cmp_ne_u16_sdwa s[8:9], v16, v21 src0_sel:BYTE_0 src1_sel:DWORD
	s_andn2_b64 s[4:5], s[4:5], exec
	s_and_b64 s[8:9], s[8:9], exec
	s_or_b64 s[4:5], s[4:5], s[8:9]
	s_or_b64 exec, exec, s[6:7]
	s_and_saveexec_b64 s[6:7], s[4:5]
	s_cbranch_execz .LBB1_9623
; %bb.15145:
	s_getpc_b64 s[14:15]
.Lpost_getpc3476:
	s_add_u32 s14, s14, (.LBB1_2863-.Lpost_getpc3476)&4294967295
	s_addc_u32 s15, s15, (.LBB1_2863-.Lpost_getpc3476)>>32
	s_setpc_b64 s[14:15]
.LBB1_9623:
	s_getpc_b64 s[14:15]
.Lpost_getpc715:
	s_add_u32 s14, s14, (.LBB1_2864-.Lpost_getpc715)&4294967295
	s_addc_u32 s15, s15, (.LBB1_2864-.Lpost_getpc715)>>32
	s_setpc_b64 s[14:15]
.LBB1_6961:
	s_movk_i32 s4, 0x80
	v_cmp_eq_u16_e32 vcc, s4, v16
	s_mov_b64 s[4:5], -1
                                        ; implicit-def: $sgpr10
	s_and_saveexec_b64 s[8:9], vcc
; %bb.6962:
	s_mov_b32 s10, 0x7f800001
	s_xor_b64 s[4:5], exec, -1
; %bb.6963:
	s_or_b64 exec, exec, s[8:9]
	s_and_b64 s[4:5], s[4:5], exec
                                        ; implicit-def: $vgpr16
	s_or_saveexec_b64 s[6:7], s[6:7]
	v_mov_b32_e32 v12, s10
	s_xor_b64 exec, exec, s[6:7]
	s_cbranch_execnz .LBB1_6964
; %bb.15147:
	s_getpc_b64 s[14:15]
.Lpost_getpc3477:
	s_add_u32 s14, s14, (.LBB1_2866-.Lpost_getpc3477)&4294967295
	s_addc_u32 s15, s15, (.LBB1_2866-.Lpost_getpc3477)>>32
	s_setpc_b64 s[14:15]
.LBB1_6964:
	v_cmp_ne_u16_e32 vcc, 0, v16
	s_andn2_b64 s[4:5], s[4:5], exec
	s_and_b64 s[8:9], vcc, exec
	v_mov_b32_e32 v12, 0
	s_or_b64 s[4:5], s[4:5], s[8:9]
	s_or_b64 exec, exec, s[6:7]
	s_and_saveexec_b64 s[6:7], s[4:5]
	s_cbranch_execz .LBB1_9625
; %bb.15149:
	s_getpc_b64 s[14:15]
.Lpost_getpc3478:
	s_add_u32 s14, s14, (.LBB1_2867-.Lpost_getpc3478)&4294967295
	s_addc_u32 s15, s15, (.LBB1_2867-.Lpost_getpc3478)>>32
	s_setpc_b64 s[14:15]
.LBB1_9625:
	s_getpc_b64 s[14:15]
.Lpost_getpc716:
	s_add_u32 s14, s14, (.LBB1_2868-.Lpost_getpc716)&4294967295
	s_addc_u32 s15, s15, (.LBB1_2868-.Lpost_getpc716)>>32
	s_setpc_b64 s[14:15]
.LBB1_6965:
	s_movk_i32 s4, 0x80
	v_cmp_eq_u16_e32 vcc, s4, v16
	s_mov_b64 s[4:5], -1
                                        ; implicit-def: $sgpr10
	s_and_saveexec_b64 s[8:9], vcc
; %bb.6966:
	s_mov_b32 s10, 0x7f800001
	s_xor_b64 s[4:5], exec, -1
; %bb.6967:
	s_or_b64 exec, exec, s[8:9]
	s_and_b64 s[4:5], s[4:5], exec
                                        ; implicit-def: $vgpr16
	s_or_saveexec_b64 s[6:7], s[6:7]
	v_mov_b32_e32 v21, s10
	s_xor_b64 exec, exec, s[6:7]
	s_cbranch_execnz .LBB1_6968
; %bb.15151:
	s_getpc_b64 s[14:15]
.Lpost_getpc3479:
	s_add_u32 s14, s14, (.LBB1_2870-.Lpost_getpc3479)&4294967295
	s_addc_u32 s15, s15, (.LBB1_2870-.Lpost_getpc3479)>>32
	s_setpc_b64 s[14:15]
.LBB1_6968:
	v_cmp_ne_u16_e32 vcc, 0, v16
	s_andn2_b64 s[4:5], s[4:5], exec
	s_and_b64 s[8:9], vcc, exec
	v_mov_b32_e32 v21, 0
	s_or_b64 s[4:5], s[4:5], s[8:9]
	s_or_b64 exec, exec, s[6:7]
	s_and_saveexec_b64 s[6:7], s[4:5]
	s_cbranch_execz .LBB1_9627
; %bb.15153:
	s_getpc_b64 s[14:15]
.Lpost_getpc3480:
	s_add_u32 s14, s14, (.LBB1_2871-.Lpost_getpc3480)&4294967295
	s_addc_u32 s15, s15, (.LBB1_2871-.Lpost_getpc3480)>>32
	s_setpc_b64 s[14:15]
.LBB1_9627:
	s_getpc_b64 s[14:15]
.Lpost_getpc717:
	s_add_u32 s14, s14, (.LBB1_2872-.Lpost_getpc717)&4294967295
	s_addc_u32 s15, s15, (.LBB1_2872-.Lpost_getpc717)>>32
	s_setpc_b64 s[14:15]
.LBB1_6969:
	s_movk_i32 s4, 0x80
	v_cmp_eq_u16_sdwa s[12:13], v17, s4 src0_sel:BYTE_3 src1_sel:DWORD
	s_mov_b64 s[4:5], -1
                                        ; implicit-def: $sgpr10
	s_and_saveexec_b64 s[8:9], s[12:13]
; %bb.6970:
	s_mov_b32 s10, 0x7f800001
	s_xor_b64 s[4:5], exec, -1
; %bb.6971:
	s_or_b64 exec, exec, s[8:9]
	s_and_b64 s[4:5], s[4:5], exec
	s_or_saveexec_b64 s[6:7], s[6:7]
	v_mov_b32_e32 v12, s10
	s_xor_b64 exec, exec, s[6:7]
	s_cbranch_execnz .LBB1_6972
; %bb.15155:
	s_getpc_b64 s[14:15]
.Lpost_getpc3481:
	s_add_u32 s14, s14, (.LBB1_2874-.Lpost_getpc3481)&4294967295
	s_addc_u32 s15, s15, (.LBB1_2874-.Lpost_getpc3481)>>32
	s_setpc_b64 s[14:15]
.LBB1_6972:
	v_mov_b32_e32 v12, 0
	v_cmp_ne_u16_sdwa s[8:9], v17, v12 src0_sel:BYTE_3 src1_sel:DWORD
	s_andn2_b64 s[4:5], s[4:5], exec
	s_and_b64 s[8:9], s[8:9], exec
	s_or_b64 s[4:5], s[4:5], s[8:9]
	s_or_b64 exec, exec, s[6:7]
	s_and_saveexec_b64 s[6:7], s[4:5]
	s_cbranch_execz .LBB1_9629
; %bb.15157:
	s_getpc_b64 s[14:15]
.Lpost_getpc3482:
	s_add_u32 s14, s14, (.LBB1_2875-.Lpost_getpc3482)&4294967295
	s_addc_u32 s15, s15, (.LBB1_2875-.Lpost_getpc3482)>>32
	s_setpc_b64 s[14:15]
.LBB1_9629:
	s_getpc_b64 s[14:15]
.Lpost_getpc718:
	s_add_u32 s14, s14, (.LBB1_2876-.Lpost_getpc718)&4294967295
	s_addc_u32 s15, s15, (.LBB1_2876-.Lpost_getpc718)>>32
	s_setpc_b64 s[14:15]
.LBB1_6973:
	s_movk_i32 s4, 0x80
	v_cmp_eq_u16_sdwa s[12:13], v13, s4 src0_sel:BYTE_3 src1_sel:DWORD
	s_mov_b64 s[4:5], -1
                                        ; implicit-def: $sgpr10
	s_and_saveexec_b64 s[8:9], s[12:13]
; %bb.6974:
	s_mov_b32 s10, 0x7f800001
	s_xor_b64 s[4:5], exec, -1
; %bb.6975:
	s_or_b64 exec, exec, s[8:9]
	s_and_b64 s[4:5], s[4:5], exec
	s_or_saveexec_b64 s[6:7], s[6:7]
	v_mov_b32_e32 v16, s10
	s_xor_b64 exec, exec, s[6:7]
	s_cbranch_execnz .LBB1_6976
; %bb.15159:
	s_getpc_b64 s[14:15]
.Lpost_getpc3483:
	s_add_u32 s14, s14, (.LBB1_2878-.Lpost_getpc3483)&4294967295
	s_addc_u32 s15, s15, (.LBB1_2878-.Lpost_getpc3483)>>32
	s_setpc_b64 s[14:15]
.LBB1_6976:
	v_mov_b32_e32 v16, 0
	v_cmp_ne_u16_sdwa s[8:9], v13, v16 src0_sel:BYTE_3 src1_sel:DWORD
	s_andn2_b64 s[4:5], s[4:5], exec
	s_and_b64 s[8:9], s[8:9], exec
	s_or_b64 s[4:5], s[4:5], s[8:9]
	s_or_b64 exec, exec, s[6:7]
	s_and_saveexec_b64 s[6:7], s[4:5]
	s_cbranch_execz .LBB1_9631
; %bb.15161:
	s_getpc_b64 s[14:15]
.Lpost_getpc3484:
	s_add_u32 s14, s14, (.LBB1_2879-.Lpost_getpc3484)&4294967295
	s_addc_u32 s15, s15, (.LBB1_2879-.Lpost_getpc3484)>>32
	s_setpc_b64 s[14:15]
.LBB1_9631:
	s_getpc_b64 s[14:15]
.Lpost_getpc719:
	s_add_u32 s14, s14, (.LBB1_2880-.Lpost_getpc719)&4294967295
	s_addc_u32 s15, s15, (.LBB1_2880-.Lpost_getpc719)>>32
	s_setpc_b64 s[14:15]
.LBB1_6977:
	s_movk_i32 s4, 0x80
	v_cmp_eq_u16_sdwa s[12:13], v18, s4 src0_sel:BYTE_0 src1_sel:DWORD
	s_mov_b64 s[4:5], -1
                                        ; implicit-def: $sgpr10
	s_and_saveexec_b64 s[8:9], s[12:13]
; %bb.6978:
	s_mov_b32 s10, 0x7f800001
	s_xor_b64 s[4:5], exec, -1
; %bb.6979:
	s_or_b64 exec, exec, s[8:9]
	s_and_b64 s[4:5], s[4:5], exec
	s_or_saveexec_b64 s[6:7], s[6:7]
	v_mov_b32_e32 v13, s10
	s_xor_b64 exec, exec, s[6:7]
	s_cbranch_execnz .LBB1_6980
; %bb.15163:
	s_getpc_b64 s[14:15]
.Lpost_getpc3485:
	s_add_u32 s14, s14, (.LBB1_2882-.Lpost_getpc3485)&4294967295
	s_addc_u32 s15, s15, (.LBB1_2882-.Lpost_getpc3485)>>32
	s_setpc_b64 s[14:15]
.LBB1_6980:
	v_mov_b32_e32 v13, 0
	v_cmp_ne_u16_sdwa s[8:9], v18, v13 src0_sel:BYTE_0 src1_sel:DWORD
	s_andn2_b64 s[4:5], s[4:5], exec
	s_and_b64 s[8:9], s[8:9], exec
	s_or_b64 s[4:5], s[4:5], s[8:9]
	s_or_b64 exec, exec, s[6:7]
	s_and_saveexec_b64 s[6:7], s[4:5]
	s_cbranch_execz .LBB1_9633
; %bb.15165:
	s_getpc_b64 s[14:15]
.Lpost_getpc3486:
	s_add_u32 s14, s14, (.LBB1_2883-.Lpost_getpc3486)&4294967295
	s_addc_u32 s15, s15, (.LBB1_2883-.Lpost_getpc3486)>>32
	s_setpc_b64 s[14:15]
.LBB1_9633:
	s_getpc_b64 s[14:15]
.Lpost_getpc720:
	s_add_u32 s14, s14, (.LBB1_2884-.Lpost_getpc720)&4294967295
	s_addc_u32 s15, s15, (.LBB1_2884-.Lpost_getpc720)>>32
	s_setpc_b64 s[14:15]
.LBB1_6981:
	s_movk_i32 s4, 0x80
	v_cmp_eq_u16_sdwa s[12:13], v16, s4 src0_sel:BYTE_0 src1_sel:DWORD
	s_mov_b64 s[4:5], -1
                                        ; implicit-def: $sgpr10
	s_and_saveexec_b64 s[8:9], s[12:13]
; %bb.6982:
	s_mov_b32 s10, 0x7f800001
	s_xor_b64 s[4:5], exec, -1
; %bb.6983:
	s_or_b64 exec, exec, s[8:9]
	s_and_b64 s[4:5], s[4:5], exec
	s_or_saveexec_b64 s[6:7], s[6:7]
	v_mov_b32_e32 v14, s10
	s_xor_b64 exec, exec, s[6:7]
	s_cbranch_execnz .LBB1_6984
; %bb.15167:
	s_getpc_b64 s[14:15]
.Lpost_getpc3487:
	s_add_u32 s14, s14, (.LBB1_2886-.Lpost_getpc3487)&4294967295
	s_addc_u32 s15, s15, (.LBB1_2886-.Lpost_getpc3487)>>32
	s_setpc_b64 s[14:15]
.LBB1_6984:
	v_mov_b32_e32 v14, 0
	v_cmp_ne_u16_sdwa s[8:9], v16, v14 src0_sel:BYTE_0 src1_sel:DWORD
	s_andn2_b64 s[4:5], s[4:5], exec
	s_and_b64 s[8:9], s[8:9], exec
	s_or_b64 s[4:5], s[4:5], s[8:9]
	s_or_b64 exec, exec, s[6:7]
	v_or_b32_sdwa v12, v16, v12 dst_sel:DWORD dst_unused:UNUSED_PAD src0_sel:WORD_0 src1_sel:DWORD
	s_and_saveexec_b64 s[6:7], s[4:5]
	s_cbranch_execz .LBB1_9635
; %bb.15169:
	s_getpc_b64 s[14:15]
.Lpost_getpc3488:
	s_add_u32 s14, s14, (.LBB1_2887-.Lpost_getpc3488)&4294967295
	s_addc_u32 s15, s15, (.LBB1_2887-.Lpost_getpc3488)>>32
	s_setpc_b64 s[14:15]
.LBB1_9635:
	s_getpc_b64 s[14:15]
.Lpost_getpc721:
	s_add_u32 s14, s14, (.LBB1_2888-.Lpost_getpc721)&4294967295
	s_addc_u32 s15, s15, (.LBB1_2888-.Lpost_getpc721)>>32
	s_setpc_b64 s[14:15]
.LBB1_6985:
	s_movk_i32 s4, 0x80
	v_cmp_eq_u16_sdwa s[12:13], v14, s4 src0_sel:BYTE_0 src1_sel:DWORD
	s_mov_b64 s[4:5], -1
                                        ; implicit-def: $sgpr10
	s_and_saveexec_b64 s[8:9], s[12:13]
; %bb.6986:
	s_mov_b32 s10, 0x7f800001
	s_xor_b64 s[4:5], exec, -1
; %bb.6987:
	s_or_b64 exec, exec, s[8:9]
	s_and_b64 s[4:5], s[4:5], exec
	s_or_saveexec_b64 s[6:7], s[6:7]
	v_mov_b32_e32 v13, s10
	s_xor_b64 exec, exec, s[6:7]
	s_cbranch_execnz .LBB1_6988
; %bb.15171:
	s_getpc_b64 s[14:15]
.Lpost_getpc3489:
	s_add_u32 s14, s14, (.LBB1_2890-.Lpost_getpc3489)&4294967295
	s_addc_u32 s15, s15, (.LBB1_2890-.Lpost_getpc3489)>>32
	s_setpc_b64 s[14:15]
.LBB1_6988:
	v_mov_b32_e32 v13, 0
	v_cmp_ne_u16_sdwa s[8:9], v14, v13 src0_sel:BYTE_0 src1_sel:DWORD
	s_andn2_b64 s[4:5], s[4:5], exec
	s_and_b64 s[8:9], s[8:9], exec
	s_or_b64 s[4:5], s[4:5], s[8:9]
	s_or_b64 exec, exec, s[6:7]
	s_and_saveexec_b64 s[6:7], s[4:5]
	s_cbranch_execz .LBB1_9637
; %bb.15173:
	s_getpc_b64 s[14:15]
.Lpost_getpc3490:
	s_add_u32 s14, s14, (.LBB1_2891-.Lpost_getpc3490)&4294967295
	s_addc_u32 s15, s15, (.LBB1_2891-.Lpost_getpc3490)>>32
	s_setpc_b64 s[14:15]
.LBB1_9637:
	s_getpc_b64 s[14:15]
.Lpost_getpc722:
	s_add_u32 s14, s14, (.LBB1_2892-.Lpost_getpc722)&4294967295
	s_addc_u32 s15, s15, (.LBB1_2892-.Lpost_getpc722)>>32
	s_setpc_b64 s[14:15]
.LBB1_6989:
	s_movk_i32 s4, 0x80
	v_cmp_eq_u16_sdwa s[12:13], v14, s4 src0_sel:BYTE_0 src1_sel:DWORD
	s_mov_b64 s[4:5], -1
                                        ; implicit-def: $sgpr10
	s_and_saveexec_b64 s[8:9], s[12:13]
; %bb.6990:
	s_mov_b32 s10, 0x7f800001
	s_xor_b64 s[4:5], exec, -1
; %bb.6991:
	s_or_b64 exec, exec, s[8:9]
	s_and_b64 s[4:5], s[4:5], exec
	s_or_saveexec_b64 s[6:7], s[6:7]
	v_mov_b32_e32 v16, s10
	s_xor_b64 exec, exec, s[6:7]
	s_cbranch_execnz .LBB1_6992
; %bb.15175:
	s_getpc_b64 s[14:15]
.Lpost_getpc3491:
	s_add_u32 s14, s14, (.LBB1_2894-.Lpost_getpc3491)&4294967295
	s_addc_u32 s15, s15, (.LBB1_2894-.Lpost_getpc3491)>>32
	s_setpc_b64 s[14:15]
.LBB1_6992:
	v_mov_b32_e32 v16, 0
	v_cmp_ne_u16_sdwa s[8:9], v14, v16 src0_sel:BYTE_0 src1_sel:DWORD
	s_andn2_b64 s[4:5], s[4:5], exec
	s_and_b64 s[8:9], s[8:9], exec
	s_or_b64 s[4:5], s[4:5], s[8:9]
	s_or_b64 exec, exec, s[6:7]
	s_and_saveexec_b64 s[6:7], s[4:5]
	s_cbranch_execz .LBB1_9639
; %bb.15177:
	s_getpc_b64 s[14:15]
.Lpost_getpc3492:
	s_add_u32 s14, s14, (.LBB1_2895-.Lpost_getpc3492)&4294967295
	s_addc_u32 s15, s15, (.LBB1_2895-.Lpost_getpc3492)>>32
	s_setpc_b64 s[14:15]
.LBB1_9639:
	s_getpc_b64 s[14:15]
.Lpost_getpc723:
	s_add_u32 s14, s14, (.LBB1_2896-.Lpost_getpc723)&4294967295
	s_addc_u32 s15, s15, (.LBB1_2896-.Lpost_getpc723)>>32
	s_setpc_b64 s[14:15]
.LBB1_6993:
	s_movk_i32 s4, 0x80
	v_cmp_eq_u16_e32 vcc, s4, v14
	s_mov_b64 s[4:5], -1
                                        ; implicit-def: $sgpr10
	s_and_saveexec_b64 s[8:9], vcc
; %bb.6994:
	s_mov_b32 s10, 0x7f800001
	s_xor_b64 s[4:5], exec, -1
; %bb.6995:
	s_or_b64 exec, exec, s[8:9]
	s_and_b64 s[4:5], s[4:5], exec
                                        ; implicit-def: $vgpr14
	s_or_saveexec_b64 s[6:7], s[6:7]
	v_mov_b32_e32 v13, s10
	s_xor_b64 exec, exec, s[6:7]
	s_cbranch_execnz .LBB1_6996
; %bb.15179:
	s_getpc_b64 s[14:15]
.Lpost_getpc3493:
	s_add_u32 s14, s14, (.LBB1_2898-.Lpost_getpc3493)&4294967295
	s_addc_u32 s15, s15, (.LBB1_2898-.Lpost_getpc3493)>>32
	s_setpc_b64 s[14:15]
.LBB1_6996:
	v_cmp_ne_u16_e32 vcc, 0, v14
	s_andn2_b64 s[4:5], s[4:5], exec
	s_and_b64 s[8:9], vcc, exec
	v_mov_b32_e32 v13, 0
	s_or_b64 s[4:5], s[4:5], s[8:9]
	s_or_b64 exec, exec, s[6:7]
	s_and_saveexec_b64 s[6:7], s[4:5]
	s_cbranch_execz .LBB1_9641
; %bb.15181:
	s_getpc_b64 s[14:15]
.Lpost_getpc3494:
	s_add_u32 s14, s14, (.LBB1_2899-.Lpost_getpc3494)&4294967295
	s_addc_u32 s15, s15, (.LBB1_2899-.Lpost_getpc3494)>>32
	s_setpc_b64 s[14:15]
.LBB1_9641:
	s_getpc_b64 s[14:15]
.Lpost_getpc724:
	s_add_u32 s14, s14, (.LBB1_2900-.Lpost_getpc724)&4294967295
	s_addc_u32 s15, s15, (.LBB1_2900-.Lpost_getpc724)>>32
	s_setpc_b64 s[14:15]
.LBB1_6997:
	s_movk_i32 s4, 0x80
	v_cmp_eq_u16_e32 vcc, s4, v14
	s_mov_b64 s[4:5], -1
                                        ; implicit-def: $sgpr10
	s_and_saveexec_b64 s[8:9], vcc
; %bb.6998:
	s_mov_b32 s10, 0x7f800001
	s_xor_b64 s[4:5], exec, -1
; %bb.6999:
	s_or_b64 exec, exec, s[8:9]
	s_and_b64 s[4:5], s[4:5], exec
                                        ; implicit-def: $vgpr14
	s_or_saveexec_b64 s[6:7], s[6:7]
	v_mov_b32_e32 v16, s10
	s_xor_b64 exec, exec, s[6:7]
	s_cbranch_execnz .LBB1_7000
; %bb.15183:
	s_getpc_b64 s[14:15]
.Lpost_getpc3495:
	s_add_u32 s14, s14, (.LBB1_2902-.Lpost_getpc3495)&4294967295
	s_addc_u32 s15, s15, (.LBB1_2902-.Lpost_getpc3495)>>32
	s_setpc_b64 s[14:15]
.LBB1_7000:
	v_cmp_ne_u16_e32 vcc, 0, v14
	s_andn2_b64 s[4:5], s[4:5], exec
	s_and_b64 s[8:9], vcc, exec
	v_mov_b32_e32 v16, 0
	s_or_b64 s[4:5], s[4:5], s[8:9]
	s_or_b64 exec, exec, s[6:7]
	s_and_saveexec_b64 s[6:7], s[4:5]
	s_cbranch_execz .LBB1_9643
; %bb.15185:
	s_getpc_b64 s[14:15]
.Lpost_getpc3496:
	s_add_u32 s14, s14, (.LBB1_2903-.Lpost_getpc3496)&4294967295
	s_addc_u32 s15, s15, (.LBB1_2903-.Lpost_getpc3496)>>32
	s_setpc_b64 s[14:15]
.LBB1_9643:
	s_getpc_b64 s[14:15]
.Lpost_getpc725:
	s_add_u32 s14, s14, (.LBB1_2904-.Lpost_getpc725)&4294967295
	s_addc_u32 s15, s15, (.LBB1_2904-.Lpost_getpc725)>>32
	s_setpc_b64 s[14:15]
.LBB1_7001:
	s_movk_i32 s4, 0x80
	v_cmp_eq_u16_sdwa s[12:13], v18, s4 src0_sel:BYTE_3 src1_sel:DWORD
	s_mov_b64 s[4:5], -1
                                        ; implicit-def: $sgpr10
	s_and_saveexec_b64 s[8:9], s[12:13]
; %bb.7002:
	s_mov_b32 s10, 0x7f800001
	s_xor_b64 s[4:5], exec, -1
; %bb.7003:
	s_or_b64 exec, exec, s[8:9]
	s_and_b64 s[4:5], s[4:5], exec
	s_or_saveexec_b64 s[6:7], s[6:7]
	v_mov_b32_e32 v13, s10
	s_xor_b64 exec, exec, s[6:7]
	s_cbranch_execnz .LBB1_7004
; %bb.15187:
	s_getpc_b64 s[14:15]
.Lpost_getpc3497:
	s_add_u32 s14, s14, (.LBB1_2906-.Lpost_getpc3497)&4294967295
	s_addc_u32 s15, s15, (.LBB1_2906-.Lpost_getpc3497)>>32
	s_setpc_b64 s[14:15]
.LBB1_7004:
	v_mov_b32_e32 v13, 0
	v_cmp_ne_u16_sdwa s[8:9], v18, v13 src0_sel:BYTE_3 src1_sel:DWORD
	s_andn2_b64 s[4:5], s[4:5], exec
	s_and_b64 s[8:9], s[8:9], exec
	s_or_b64 s[4:5], s[4:5], s[8:9]
	s_or_b64 exec, exec, s[6:7]
	s_and_saveexec_b64 s[6:7], s[4:5]
	s_cbranch_execz .LBB1_9645
; %bb.15189:
	s_getpc_b64 s[14:15]
.Lpost_getpc3498:
	s_add_u32 s14, s14, (.LBB1_2907-.Lpost_getpc3498)&4294967295
	s_addc_u32 s15, s15, (.LBB1_2907-.Lpost_getpc3498)>>32
	s_setpc_b64 s[14:15]
.LBB1_9645:
	s_getpc_b64 s[14:15]
.Lpost_getpc726:
	s_add_u32 s14, s14, (.LBB1_2908-.Lpost_getpc726)&4294967295
	s_addc_u32 s15, s15, (.LBB1_2908-.Lpost_getpc726)>>32
	s_setpc_b64 s[14:15]
.LBB1_7005:
	s_movk_i32 s4, 0x80
	v_cmp_eq_u16_sdwa s[12:13], v12, s4 src0_sel:BYTE_3 src1_sel:DWORD
	s_mov_b64 s[4:5], -1
                                        ; implicit-def: $sgpr10
	s_and_saveexec_b64 s[8:9], s[12:13]
; %bb.7006:
	s_mov_b32 s10, 0x7f800001
	s_xor_b64 s[4:5], exec, -1
; %bb.7007:
	s_or_b64 exec, exec, s[8:9]
	s_and_b64 s[4:5], s[4:5], exec
	s_or_saveexec_b64 s[6:7], s[6:7]
	v_mov_b32_e32 v14, s10
	s_xor_b64 exec, exec, s[6:7]
	s_cbranch_execnz .LBB1_7008
; %bb.15191:
	s_getpc_b64 s[14:15]
.Lpost_getpc3499:
	s_add_u32 s14, s14, (.LBB1_2910-.Lpost_getpc3499)&4294967295
	s_addc_u32 s15, s15, (.LBB1_2910-.Lpost_getpc3499)>>32
	s_setpc_b64 s[14:15]
.LBB1_7008:
	v_mov_b32_e32 v14, 0
	v_cmp_ne_u16_sdwa s[8:9], v12, v14 src0_sel:BYTE_3 src1_sel:DWORD
	s_andn2_b64 s[4:5], s[4:5], exec
	s_and_b64 s[8:9], s[8:9], exec
	s_or_b64 s[4:5], s[4:5], s[8:9]
	s_or_b64 exec, exec, s[6:7]
	s_and_saveexec_b64 s[6:7], s[4:5]
	s_cbranch_execz .LBB1_9647
; %bb.15193:
	s_getpc_b64 s[14:15]
.Lpost_getpc3500:
	s_add_u32 s14, s14, (.LBB1_2911-.Lpost_getpc3500)&4294967295
	s_addc_u32 s15, s15, (.LBB1_2911-.Lpost_getpc3500)>>32
	s_setpc_b64 s[14:15]
.LBB1_9647:
	s_getpc_b64 s[14:15]
.Lpost_getpc727:
	s_add_u32 s14, s14, (.LBB1_2912-.Lpost_getpc727)&4294967295
	s_addc_u32 s15, s15, (.LBB1_2912-.Lpost_getpc727)>>32
	s_setpc_b64 s[14:15]
.LBB1_7009:
	s_movk_i32 s4, 0x80
	v_cmp_eq_u16_sdwa s[12:13], v19, s4 src0_sel:BYTE_0 src1_sel:DWORD
	s_mov_b64 s[4:5], -1
                                        ; implicit-def: $sgpr10
	s_and_saveexec_b64 s[8:9], s[12:13]
; %bb.7010:
	s_mov_b32 s10, 0x7f800001
	s_xor_b64 s[4:5], exec, -1
; %bb.7011:
	s_or_b64 exec, exec, s[8:9]
	s_and_b64 s[4:5], s[4:5], exec
	s_or_saveexec_b64 s[6:7], s[6:7]
	v_mov_b32_e32 v12, s10
	s_xor_b64 exec, exec, s[6:7]
	s_cbranch_execnz .LBB1_7012
; %bb.15195:
	s_getpc_b64 s[14:15]
.Lpost_getpc3501:
	s_add_u32 s14, s14, (.LBB1_2914-.Lpost_getpc3501)&4294967295
	s_addc_u32 s15, s15, (.LBB1_2914-.Lpost_getpc3501)>>32
	s_setpc_b64 s[14:15]
.LBB1_7012:
	v_mov_b32_e32 v12, 0
	v_cmp_ne_u16_sdwa s[8:9], v19, v12 src0_sel:BYTE_0 src1_sel:DWORD
	s_andn2_b64 s[4:5], s[4:5], exec
	s_and_b64 s[8:9], s[8:9], exec
	s_or_b64 s[4:5], s[4:5], s[8:9]
	s_or_b64 exec, exec, s[6:7]
	s_and_saveexec_b64 s[6:7], s[4:5]
	s_cbranch_execz .LBB1_9649
; %bb.15197:
	s_getpc_b64 s[14:15]
.Lpost_getpc3502:
	s_add_u32 s14, s14, (.LBB1_2915-.Lpost_getpc3502)&4294967295
	s_addc_u32 s15, s15, (.LBB1_2915-.Lpost_getpc3502)>>32
	s_setpc_b64 s[14:15]
.LBB1_9649:
	s_getpc_b64 s[14:15]
.Lpost_getpc728:
	s_add_u32 s14, s14, (.LBB1_2916-.Lpost_getpc728)&4294967295
	s_addc_u32 s15, s15, (.LBB1_2916-.Lpost_getpc728)>>32
	s_setpc_b64 s[14:15]
.LBB1_7013:
	s_movk_i32 s4, 0x80
	v_cmp_eq_u16_sdwa s[12:13], v15, s4 src0_sel:BYTE_0 src1_sel:DWORD
	s_mov_b64 s[4:5], -1
                                        ; implicit-def: $sgpr10
	s_and_saveexec_b64 s[8:9], s[12:13]
; %bb.7014:
	s_mov_b32 s10, 0x7f800001
	s_xor_b64 s[4:5], exec, -1
; %bb.7015:
	s_or_b64 exec, exec, s[8:9]
	s_and_b64 s[4:5], s[4:5], exec
	s_or_saveexec_b64 s[6:7], s[6:7]
	v_mov_b32_e32 v13, s10
	s_xor_b64 exec, exec, s[6:7]
	s_cbranch_execnz .LBB1_7016
; %bb.15199:
	s_getpc_b64 s[14:15]
.Lpost_getpc3503:
	s_add_u32 s14, s14, (.LBB1_2918-.Lpost_getpc3503)&4294967295
	s_addc_u32 s15, s15, (.LBB1_2918-.Lpost_getpc3503)>>32
	s_setpc_b64 s[14:15]
.LBB1_7016:
	v_mov_b32_e32 v13, 0
	v_cmp_ne_u16_sdwa s[8:9], v15, v13 src0_sel:BYTE_0 src1_sel:DWORD
	s_andn2_b64 s[4:5], s[4:5], exec
	s_and_b64 s[8:9], s[8:9], exec
	s_or_b64 s[4:5], s[4:5], s[8:9]
	s_or_b64 exec, exec, s[6:7]
	s_and_saveexec_b64 s[6:7], s[4:5]
	s_cbranch_execz .LBB1_9651
; %bb.15201:
	s_getpc_b64 s[14:15]
.Lpost_getpc3504:
	s_add_u32 s14, s14, (.LBB1_2919-.Lpost_getpc3504)&4294967295
	s_addc_u32 s15, s15, (.LBB1_2919-.Lpost_getpc3504)>>32
	s_setpc_b64 s[14:15]
.LBB1_9651:
	s_getpc_b64 s[14:15]
.Lpost_getpc729:
	s_add_u32 s14, s14, (.LBB1_2920-.Lpost_getpc729)&4294967295
	s_addc_u32 s15, s15, (.LBB1_2920-.Lpost_getpc729)>>32
	s_setpc_b64 s[14:15]
.LBB1_7017:
	s_movk_i32 s4, 0x80
	v_cmp_eq_u16_sdwa s[12:13], v13, s4 src0_sel:BYTE_0 src1_sel:DWORD
	s_mov_b64 s[4:5], -1
                                        ; implicit-def: $sgpr10
	s_and_saveexec_b64 s[8:9], s[12:13]
; %bb.7018:
	s_mov_b32 s10, 0x7f800001
	s_xor_b64 s[4:5], exec, -1
; %bb.7019:
	s_or_b64 exec, exec, s[8:9]
	s_and_b64 s[4:5], s[4:5], exec
	s_or_saveexec_b64 s[6:7], s[6:7]
	v_mov_b32_e32 v12, s10
	s_xor_b64 exec, exec, s[6:7]
	s_cbranch_execnz .LBB1_7020
; %bb.15203:
	s_getpc_b64 s[14:15]
.Lpost_getpc3505:
	s_add_u32 s14, s14, (.LBB1_2922-.Lpost_getpc3505)&4294967295
	s_addc_u32 s15, s15, (.LBB1_2922-.Lpost_getpc3505)>>32
	s_setpc_b64 s[14:15]
.LBB1_7020:
	v_mov_b32_e32 v12, 0
	v_cmp_ne_u16_sdwa s[8:9], v13, v12 src0_sel:BYTE_0 src1_sel:DWORD
	s_andn2_b64 s[4:5], s[4:5], exec
	s_and_b64 s[8:9], s[8:9], exec
	s_or_b64 s[4:5], s[4:5], s[8:9]
	s_or_b64 exec, exec, s[6:7]
	s_and_saveexec_b64 s[6:7], s[4:5]
	s_cbranch_execz .LBB1_9653
; %bb.15205:
	s_getpc_b64 s[14:15]
.Lpost_getpc3506:
	s_add_u32 s14, s14, (.LBB1_2923-.Lpost_getpc3506)&4294967295
	s_addc_u32 s15, s15, (.LBB1_2923-.Lpost_getpc3506)>>32
	s_setpc_b64 s[14:15]
.LBB1_9653:
	s_getpc_b64 s[14:15]
.Lpost_getpc730:
	s_add_u32 s14, s14, (.LBB1_2924-.Lpost_getpc730)&4294967295
	s_addc_u32 s15, s15, (.LBB1_2924-.Lpost_getpc730)>>32
	s_setpc_b64 s[14:15]
.LBB1_7021:
	s_movk_i32 s4, 0x80
	v_cmp_eq_u16_sdwa s[12:13], v13, s4 src0_sel:BYTE_0 src1_sel:DWORD
	s_mov_b64 s[4:5], -1
                                        ; implicit-def: $sgpr10
	s_and_saveexec_b64 s[8:9], s[12:13]
; %bb.7022:
	s_mov_b32 s10, 0x7f800001
	s_xor_b64 s[4:5], exec, -1
; %bb.7023:
	s_or_b64 exec, exec, s[8:9]
	s_and_b64 s[4:5], s[4:5], exec
	s_or_saveexec_b64 s[6:7], s[6:7]
	v_mov_b32_e32 v14, s10
	s_xor_b64 exec, exec, s[6:7]
	s_cbranch_execnz .LBB1_7024
; %bb.15207:
	s_getpc_b64 s[14:15]
.Lpost_getpc3507:
	s_add_u32 s14, s14, (.LBB1_2926-.Lpost_getpc3507)&4294967295
	s_addc_u32 s15, s15, (.LBB1_2926-.Lpost_getpc3507)>>32
	s_setpc_b64 s[14:15]
.LBB1_7024:
	v_mov_b32_e32 v14, 0
	v_cmp_ne_u16_sdwa s[8:9], v13, v14 src0_sel:BYTE_0 src1_sel:DWORD
	s_andn2_b64 s[4:5], s[4:5], exec
	s_and_b64 s[8:9], s[8:9], exec
	s_or_b64 s[4:5], s[4:5], s[8:9]
	s_or_b64 exec, exec, s[6:7]
	s_and_saveexec_b64 s[6:7], s[4:5]
	s_cbranch_execz .LBB1_9655
; %bb.15209:
	s_getpc_b64 s[14:15]
.Lpost_getpc3508:
	s_add_u32 s14, s14, (.LBB1_2927-.Lpost_getpc3508)&4294967295
	s_addc_u32 s15, s15, (.LBB1_2927-.Lpost_getpc3508)>>32
	s_setpc_b64 s[14:15]
.LBB1_9655:
	s_getpc_b64 s[14:15]
.Lpost_getpc731:
	s_add_u32 s14, s14, (.LBB1_2928-.Lpost_getpc731)&4294967295
	s_addc_u32 s15, s15, (.LBB1_2928-.Lpost_getpc731)>>32
	s_setpc_b64 s[14:15]
.LBB1_7025:
	s_movk_i32 s4, 0x80
	v_cmp_eq_u16_e32 vcc, s4, v13
	s_mov_b64 s[4:5], -1
                                        ; implicit-def: $sgpr10
	s_and_saveexec_b64 s[8:9], vcc
; %bb.7026:
	s_mov_b32 s10, 0x7f800001
	s_xor_b64 s[4:5], exec, -1
; %bb.7027:
	s_or_b64 exec, exec, s[8:9]
	s_and_b64 s[4:5], s[4:5], exec
                                        ; implicit-def: $vgpr13
	s_or_saveexec_b64 s[6:7], s[6:7]
	v_mov_b32_e32 v12, s10
	s_xor_b64 exec, exec, s[6:7]
	s_cbranch_execnz .LBB1_7028
; %bb.15211:
	s_getpc_b64 s[14:15]
.Lpost_getpc3509:
	s_add_u32 s14, s14, (.LBB1_2930-.Lpost_getpc3509)&4294967295
	s_addc_u32 s15, s15, (.LBB1_2930-.Lpost_getpc3509)>>32
	s_setpc_b64 s[14:15]
.LBB1_7028:
	v_cmp_ne_u16_e32 vcc, 0, v13
	s_andn2_b64 s[4:5], s[4:5], exec
	s_and_b64 s[8:9], vcc, exec
	v_mov_b32_e32 v12, 0
	s_or_b64 s[4:5], s[4:5], s[8:9]
	s_or_b64 exec, exec, s[6:7]
	s_and_saveexec_b64 s[6:7], s[4:5]
	s_cbranch_execz .LBB1_9657
; %bb.15213:
	s_getpc_b64 s[14:15]
.Lpost_getpc3510:
	s_add_u32 s14, s14, (.LBB1_2931-.Lpost_getpc3510)&4294967295
	s_addc_u32 s15, s15, (.LBB1_2931-.Lpost_getpc3510)>>32
	s_setpc_b64 s[14:15]
.LBB1_9657:
	s_getpc_b64 s[14:15]
.Lpost_getpc732:
	s_add_u32 s14, s14, (.LBB1_2932-.Lpost_getpc732)&4294967295
	s_addc_u32 s15, s15, (.LBB1_2932-.Lpost_getpc732)>>32
	s_setpc_b64 s[14:15]
.LBB1_7029:
	s_movk_i32 s4, 0x80
	v_cmp_eq_u16_e32 vcc, s4, v13
	s_mov_b64 s[4:5], -1
                                        ; implicit-def: $sgpr10
	s_and_saveexec_b64 s[8:9], vcc
; %bb.7030:
	s_mov_b32 s10, 0x7f800001
	s_xor_b64 s[4:5], exec, -1
; %bb.7031:
	s_or_b64 exec, exec, s[8:9]
	s_and_b64 s[4:5], s[4:5], exec
                                        ; implicit-def: $vgpr13
	s_or_saveexec_b64 s[6:7], s[6:7]
	v_mov_b32_e32 v14, s10
	s_xor_b64 exec, exec, s[6:7]
	s_cbranch_execnz .LBB1_7032
; %bb.15215:
	s_getpc_b64 s[14:15]
.Lpost_getpc3511:
	s_add_u32 s14, s14, (.LBB1_2934-.Lpost_getpc3511)&4294967295
	s_addc_u32 s15, s15, (.LBB1_2934-.Lpost_getpc3511)>>32
	s_setpc_b64 s[14:15]
.LBB1_7032:
	v_cmp_ne_u16_e32 vcc, 0, v13
	s_andn2_b64 s[4:5], s[4:5], exec
	s_and_b64 s[8:9], vcc, exec
	v_mov_b32_e32 v14, 0
	s_or_b64 s[4:5], s[4:5], s[8:9]
	s_or_b64 exec, exec, s[6:7]
	s_and_saveexec_b64 s[6:7], s[4:5]
	s_cbranch_execz .LBB1_9659
; %bb.15217:
	s_getpc_b64 s[14:15]
.Lpost_getpc3512:
	s_add_u32 s14, s14, (.LBB1_2935-.Lpost_getpc3512)&4294967295
	s_addc_u32 s15, s15, (.LBB1_2935-.Lpost_getpc3512)>>32
	s_setpc_b64 s[14:15]
.LBB1_9659:
	s_getpc_b64 s[14:15]
.Lpost_getpc733:
	s_add_u32 s14, s14, (.LBB1_2936-.Lpost_getpc733)&4294967295
	s_addc_u32 s15, s15, (.LBB1_2936-.Lpost_getpc733)>>32
	s_setpc_b64 s[14:15]
.LBB1_7033:
	s_movk_i32 s4, 0x80
	v_cmp_eq_u16_sdwa s[12:13], v19, s4 src0_sel:BYTE_3 src1_sel:DWORD
	s_mov_b64 s[4:5], -1
                                        ; implicit-def: $sgpr10
	s_and_saveexec_b64 s[8:9], s[12:13]
; %bb.7034:
	s_mov_b32 s10, 0x7f800001
	s_xor_b64 s[4:5], exec, -1
; %bb.7035:
	s_or_b64 exec, exec, s[8:9]
	s_and_b64 s[4:5], s[4:5], exec
	s_or_saveexec_b64 s[6:7], s[6:7]
	v_mov_b32_e32 v12, s10
	s_xor_b64 exec, exec, s[6:7]
	s_cbranch_execnz .LBB1_7036
; %bb.15219:
	s_getpc_b64 s[14:15]
.Lpost_getpc3513:
	s_add_u32 s14, s14, (.LBB1_2938-.Lpost_getpc3513)&4294967295
	s_addc_u32 s15, s15, (.LBB1_2938-.Lpost_getpc3513)>>32
	s_setpc_b64 s[14:15]
.LBB1_7036:
	v_mov_b32_e32 v12, 0
	v_cmp_ne_u16_sdwa s[8:9], v19, v12 src0_sel:BYTE_3 src1_sel:DWORD
	s_andn2_b64 s[4:5], s[4:5], exec
	s_and_b64 s[8:9], s[8:9], exec
	s_or_b64 s[4:5], s[4:5], s[8:9]
	s_or_b64 exec, exec, s[6:7]
	s_and_saveexec_b64 s[6:7], s[4:5]
	s_cbranch_execz .LBB1_9661
; %bb.15221:
	s_getpc_b64 s[14:15]
.Lpost_getpc3514:
	s_add_u32 s14, s14, (.LBB1_2939-.Lpost_getpc3514)&4294967295
	s_addc_u32 s15, s15, (.LBB1_2939-.Lpost_getpc3514)>>32
	s_setpc_b64 s[14:15]
.LBB1_9661:
	s_getpc_b64 s[14:15]
.Lpost_getpc734:
	s_add_u32 s14, s14, (.LBB1_2940-.Lpost_getpc734)&4294967295
	s_addc_u32 s15, s15, (.LBB1_2940-.Lpost_getpc734)>>32
	s_setpc_b64 s[14:15]
.LBB1_7037:
	s_movk_i32 s4, 0x80
	v_cmp_eq_u16_sdwa s[12:13], v15, s4 src0_sel:BYTE_3 src1_sel:DWORD
	s_mov_b64 s[4:5], -1
                                        ; implicit-def: $sgpr10
	s_and_saveexec_b64 s[8:9], s[12:13]
; %bb.7038:
	s_mov_b32 s10, 0x7f800001
	s_xor_b64 s[4:5], exec, -1
; %bb.7039:
	s_or_b64 exec, exec, s[8:9]
	s_and_b64 s[4:5], s[4:5], exec
	s_or_saveexec_b64 s[6:7], s[6:7]
	v_mov_b32_e32 v13, s10
	s_xor_b64 exec, exec, s[6:7]
	s_cbranch_execnz .LBB1_7040
; %bb.15223:
	s_getpc_b64 s[14:15]
.Lpost_getpc3515:
	s_add_u32 s14, s14, (.LBB1_2942-.Lpost_getpc3515)&4294967295
	s_addc_u32 s15, s15, (.LBB1_2942-.Lpost_getpc3515)>>32
	s_setpc_b64 s[14:15]
.LBB1_7040:
	v_mov_b32_e32 v13, 0
	v_cmp_ne_u16_sdwa s[8:9], v15, v13 src0_sel:BYTE_3 src1_sel:DWORD
	s_andn2_b64 s[4:5], s[4:5], exec
	s_and_b64 s[8:9], s[8:9], exec
	s_or_b64 s[4:5], s[4:5], s[8:9]
	s_or_b64 exec, exec, s[6:7]
	s_and_saveexec_b64 s[6:7], s[4:5]
	s_cbranch_execz .LBB1_9663
; %bb.15225:
	s_getpc_b64 s[14:15]
.Lpost_getpc3516:
	s_add_u32 s14, s14, (.LBB1_2943-.Lpost_getpc3516)&4294967295
	s_addc_u32 s15, s15, (.LBB1_2943-.Lpost_getpc3516)>>32
	s_setpc_b64 s[14:15]
.LBB1_9663:
	s_getpc_b64 s[14:15]
.Lpost_getpc735:
	s_add_u32 s14, s14, (.LBB1_2944-.Lpost_getpc735)&4294967295
	s_addc_u32 s15, s15, (.LBB1_2944-.Lpost_getpc735)>>32
	s_setpc_b64 s[14:15]
.LBB1_7041:
	s_movk_i32 s4, 0x80
	v_cmp_eq_u16_sdwa s[12:13], v16, s4 src0_sel:BYTE_0 src1_sel:DWORD
	s_mov_b64 s[4:5], -1
                                        ; implicit-def: $sgpr10
	s_and_saveexec_b64 s[8:9], s[12:13]
; %bb.7042:
	s_mov_b32 s10, 0x7f800001
	s_xor_b64 s[4:5], exec, -1
; %bb.7043:
	s_or_b64 exec, exec, s[8:9]
	s_and_b64 s[4:5], s[4:5], exec
	s_or_saveexec_b64 s[6:7], s[6:7]
	v_mov_b32_e32 v21, s10
	s_xor_b64 exec, exec, s[6:7]
	s_cbranch_execnz .LBB1_7044
; %bb.15227:
	s_getpc_b64 s[14:15]
.Lpost_getpc3517:
	s_add_u32 s14, s14, (.LBB1_2946-.Lpost_getpc3517)&4294967295
	s_addc_u32 s15, s15, (.LBB1_2946-.Lpost_getpc3517)>>32
	s_setpc_b64 s[14:15]
.LBB1_7044:
	v_mov_b32_e32 v21, 0
	v_cmp_ne_u16_sdwa s[8:9], v16, v21 src0_sel:BYTE_0 src1_sel:DWORD
	s_andn2_b64 s[4:5], s[4:5], exec
	s_and_b64 s[8:9], s[8:9], exec
	s_or_b64 s[4:5], s[4:5], s[8:9]
	s_or_b64 exec, exec, s[6:7]
	s_and_saveexec_b64 s[6:7], s[4:5]
	s_cbranch_execz .LBB1_9665
; %bb.15229:
	s_getpc_b64 s[14:15]
.Lpost_getpc3518:
	s_add_u32 s14, s14, (.LBB1_2947-.Lpost_getpc3518)&4294967295
	s_addc_u32 s15, s15, (.LBB1_2947-.Lpost_getpc3518)>>32
	s_setpc_b64 s[14:15]
.LBB1_9665:
	s_getpc_b64 s[14:15]
.Lpost_getpc736:
	s_add_u32 s14, s14, (.LBB1_2948-.Lpost_getpc736)&4294967295
	s_addc_u32 s15, s15, (.LBB1_2948-.Lpost_getpc736)>>32
	s_setpc_b64 s[14:15]
.LBB1_7045:
	s_movk_i32 s4, 0x80
	v_cmp_eq_u16_sdwa s[12:13], v12, s4 src0_sel:BYTE_0 src1_sel:DWORD
	s_mov_b64 s[4:5], -1
                                        ; implicit-def: $sgpr10
	s_and_saveexec_b64 s[8:9], s[12:13]
; %bb.7046:
	s_mov_b32 s10, 0x7f800001
	s_xor_b64 s[4:5], exec, -1
; %bb.7047:
	s_or_b64 exec, exec, s[8:9]
	s_and_b64 s[4:5], s[4:5], exec
	s_or_saveexec_b64 s[6:7], s[6:7]
	v_mov_b32_e32 v22, s10
	s_xor_b64 exec, exec, s[6:7]
	s_cbranch_execnz .LBB1_7048
; %bb.15231:
	s_getpc_b64 s[14:15]
.Lpost_getpc3519:
	s_add_u32 s14, s14, (.LBB1_2950-.Lpost_getpc3519)&4294967295
	s_addc_u32 s15, s15, (.LBB1_2950-.Lpost_getpc3519)>>32
	s_setpc_b64 s[14:15]
.LBB1_7048:
	v_mov_b32_e32 v22, 0
	v_cmp_ne_u16_sdwa s[8:9], v12, v22 src0_sel:BYTE_0 src1_sel:DWORD
	s_andn2_b64 s[4:5], s[4:5], exec
	s_and_b64 s[8:9], s[8:9], exec
	s_or_b64 s[4:5], s[4:5], s[8:9]
	s_or_b64 exec, exec, s[6:7]
	s_and_saveexec_b64 s[6:7], s[4:5]
	s_cbranch_execz .LBB1_9667
; %bb.15233:
	s_getpc_b64 s[14:15]
.Lpost_getpc3520:
	s_add_u32 s14, s14, (.LBB1_2951-.Lpost_getpc3520)&4294967295
	s_addc_u32 s15, s15, (.LBB1_2951-.Lpost_getpc3520)>>32
	s_setpc_b64 s[14:15]
.LBB1_9667:
	s_getpc_b64 s[14:15]
.Lpost_getpc737:
	s_add_u32 s14, s14, (.LBB1_2952-.Lpost_getpc737)&4294967295
	s_addc_u32 s15, s15, (.LBB1_2952-.Lpost_getpc737)>>32
	s_setpc_b64 s[14:15]
.LBB1_7049:
	s_movk_i32 s4, 0x80
	v_cmp_eq_u16_sdwa s[12:13], v22, s4 src0_sel:BYTE_0 src1_sel:DWORD
	s_mov_b64 s[4:5], -1
                                        ; implicit-def: $sgpr10
	s_and_saveexec_b64 s[8:9], s[12:13]
; %bb.7050:
	s_mov_b32 s10, 0x7f800001
	s_xor_b64 s[4:5], exec, -1
; %bb.7051:
	s_or_b64 exec, exec, s[8:9]
	s_and_b64 s[4:5], s[4:5], exec
	s_or_saveexec_b64 s[6:7], s[6:7]
	v_mov_b32_e32 v21, s10
	s_xor_b64 exec, exec, s[6:7]
	s_cbranch_execnz .LBB1_7052
; %bb.15235:
	s_getpc_b64 s[14:15]
.Lpost_getpc3521:
	s_add_u32 s14, s14, (.LBB1_2954-.Lpost_getpc3521)&4294967295
	s_addc_u32 s15, s15, (.LBB1_2954-.Lpost_getpc3521)>>32
	s_setpc_b64 s[14:15]
.LBB1_7052:
	v_mov_b32_e32 v21, 0
	v_cmp_ne_u16_sdwa s[8:9], v22, v21 src0_sel:BYTE_0 src1_sel:DWORD
	s_andn2_b64 s[4:5], s[4:5], exec
	s_and_b64 s[8:9], s[8:9], exec
	s_or_b64 s[4:5], s[4:5], s[8:9]
	s_or_b64 exec, exec, s[6:7]
	s_and_saveexec_b64 s[6:7], s[4:5]
	s_cbranch_execz .LBB1_9669
; %bb.15237:
	s_getpc_b64 s[14:15]
.Lpost_getpc3522:
	s_add_u32 s14, s14, (.LBB1_2955-.Lpost_getpc3522)&4294967295
	s_addc_u32 s15, s15, (.LBB1_2955-.Lpost_getpc3522)>>32
	s_setpc_b64 s[14:15]
.LBB1_9669:
	s_getpc_b64 s[14:15]
.Lpost_getpc738:
	s_add_u32 s14, s14, (.LBB1_2956-.Lpost_getpc738)&4294967295
	s_addc_u32 s15, s15, (.LBB1_2956-.Lpost_getpc738)>>32
	s_setpc_b64 s[14:15]
.LBB1_7053:
	s_movk_i32 s4, 0x80
	v_cmp_eq_u16_sdwa s[12:13], v22, s4 src0_sel:BYTE_0 src1_sel:DWORD
	s_mov_b64 s[4:5], -1
                                        ; implicit-def: $sgpr10
	s_and_saveexec_b64 s[8:9], s[12:13]
; %bb.7054:
	s_mov_b32 s10, 0x7f800001
	s_xor_b64 s[4:5], exec, -1
; %bb.7055:
	s_or_b64 exec, exec, s[8:9]
	s_and_b64 s[4:5], s[4:5], exec
	s_or_saveexec_b64 s[6:7], s[6:7]
	v_mov_b32_e32 v23, s10
	s_xor_b64 exec, exec, s[6:7]
	s_cbranch_execnz .LBB1_7056
; %bb.15239:
	s_getpc_b64 s[14:15]
.Lpost_getpc3523:
	s_add_u32 s14, s14, (.LBB1_2958-.Lpost_getpc3523)&4294967295
	s_addc_u32 s15, s15, (.LBB1_2958-.Lpost_getpc3523)>>32
	s_setpc_b64 s[14:15]
.LBB1_7056:
	v_mov_b32_e32 v23, 0
	v_cmp_ne_u16_sdwa s[8:9], v22, v23 src0_sel:BYTE_0 src1_sel:DWORD
	s_andn2_b64 s[4:5], s[4:5], exec
	s_and_b64 s[8:9], s[8:9], exec
	s_or_b64 s[4:5], s[4:5], s[8:9]
	s_or_b64 exec, exec, s[6:7]
	s_and_saveexec_b64 s[6:7], s[4:5]
	s_cbranch_execz .LBB1_9671
; %bb.15241:
	s_getpc_b64 s[14:15]
.Lpost_getpc3524:
	s_add_u32 s14, s14, (.LBB1_2959-.Lpost_getpc3524)&4294967295
	s_addc_u32 s15, s15, (.LBB1_2959-.Lpost_getpc3524)>>32
	s_setpc_b64 s[14:15]
.LBB1_9671:
	s_getpc_b64 s[14:15]
.Lpost_getpc739:
	s_add_u32 s14, s14, (.LBB1_2960-.Lpost_getpc739)&4294967295
	s_addc_u32 s15, s15, (.LBB1_2960-.Lpost_getpc739)>>32
	s_setpc_b64 s[14:15]
.LBB1_7057:
	s_movk_i32 s4, 0x80
	v_cmp_eq_u16_e32 vcc, s4, v22
	s_mov_b64 s[4:5], -1
                                        ; implicit-def: $sgpr10
	s_and_saveexec_b64 s[8:9], vcc
; %bb.7058:
	s_mov_b32 s10, 0x7f800001
	s_xor_b64 s[4:5], exec, -1
; %bb.7059:
	s_or_b64 exec, exec, s[8:9]
	s_and_b64 s[4:5], s[4:5], exec
                                        ; implicit-def: $vgpr22
	s_or_saveexec_b64 s[6:7], s[6:7]
	v_mov_b32_e32 v21, s10
	s_xor_b64 exec, exec, s[6:7]
	s_cbranch_execnz .LBB1_7060
; %bb.15243:
	s_getpc_b64 s[14:15]
.Lpost_getpc3525:
	s_add_u32 s14, s14, (.LBB1_2962-.Lpost_getpc3525)&4294967295
	s_addc_u32 s15, s15, (.LBB1_2962-.Lpost_getpc3525)>>32
	s_setpc_b64 s[14:15]
.LBB1_7060:
	v_cmp_ne_u16_e32 vcc, 0, v22
	s_andn2_b64 s[4:5], s[4:5], exec
	s_and_b64 s[8:9], vcc, exec
	v_mov_b32_e32 v21, 0
	s_or_b64 s[4:5], s[4:5], s[8:9]
	s_or_b64 exec, exec, s[6:7]
	s_and_saveexec_b64 s[6:7], s[4:5]
	s_cbranch_execz .LBB1_9673
; %bb.15245:
	s_getpc_b64 s[14:15]
.Lpost_getpc3526:
	s_add_u32 s14, s14, (.LBB1_2963-.Lpost_getpc3526)&4294967295
	s_addc_u32 s15, s15, (.LBB1_2963-.Lpost_getpc3526)>>32
	s_setpc_b64 s[14:15]
.LBB1_9673:
	s_getpc_b64 s[14:15]
.Lpost_getpc740:
	s_add_u32 s14, s14, (.LBB1_2964-.Lpost_getpc740)&4294967295
	s_addc_u32 s15, s15, (.LBB1_2964-.Lpost_getpc740)>>32
	s_setpc_b64 s[14:15]
.LBB1_7061:
	s_movk_i32 s4, 0x80
	v_cmp_eq_u16_e32 vcc, s4, v22
	s_mov_b64 s[4:5], -1
                                        ; implicit-def: $sgpr10
	s_and_saveexec_b64 s[8:9], vcc
; %bb.7062:
	s_mov_b32 s10, 0x7f800001
	s_xor_b64 s[4:5], exec, -1
; %bb.7063:
	s_or_b64 exec, exec, s[8:9]
	s_and_b64 s[4:5], s[4:5], exec
                                        ; implicit-def: $vgpr22
	s_or_saveexec_b64 s[6:7], s[6:7]
	v_mov_b32_e32 v23, s10
	s_xor_b64 exec, exec, s[6:7]
	s_cbranch_execnz .LBB1_7064
; %bb.15247:
	s_getpc_b64 s[14:15]
.Lpost_getpc3527:
	s_add_u32 s14, s14, (.LBB1_2966-.Lpost_getpc3527)&4294967295
	s_addc_u32 s15, s15, (.LBB1_2966-.Lpost_getpc3527)>>32
	s_setpc_b64 s[14:15]
.LBB1_7064:
	v_cmp_ne_u16_e32 vcc, 0, v22
	s_andn2_b64 s[4:5], s[4:5], exec
	s_and_b64 s[8:9], vcc, exec
	v_mov_b32_e32 v23, 0
	s_or_b64 s[4:5], s[4:5], s[8:9]
	s_or_b64 exec, exec, s[6:7]
	s_and_saveexec_b64 s[6:7], s[4:5]
	s_cbranch_execz .LBB1_9675
; %bb.15249:
	s_getpc_b64 s[14:15]
.Lpost_getpc3528:
	s_add_u32 s14, s14, (.LBB1_2967-.Lpost_getpc3528)&4294967295
	s_addc_u32 s15, s15, (.LBB1_2967-.Lpost_getpc3528)>>32
	s_setpc_b64 s[14:15]
.LBB1_9675:
	s_getpc_b64 s[14:15]
.Lpost_getpc741:
	s_add_u32 s14, s14, (.LBB1_2968-.Lpost_getpc741)&4294967295
	s_addc_u32 s15, s15, (.LBB1_2968-.Lpost_getpc741)>>32
	s_setpc_b64 s[14:15]
.LBB1_7065:
	s_movk_i32 s4, 0x80
	v_cmp_eq_u16_sdwa s[12:13], v16, s4 src0_sel:BYTE_3 src1_sel:DWORD
	s_mov_b64 s[4:5], -1
                                        ; implicit-def: $sgpr10
	s_and_saveexec_b64 s[8:9], s[12:13]
; %bb.7066:
	s_mov_b32 s10, 0x7f800001
	s_xor_b64 s[4:5], exec, -1
; %bb.7067:
	s_or_b64 exec, exec, s[8:9]
	s_and_b64 s[4:5], s[4:5], exec
	s_or_saveexec_b64 s[6:7], s[6:7]
	v_mov_b32_e32 v21, s10
	s_xor_b64 exec, exec, s[6:7]
	s_cbranch_execnz .LBB1_7068
; %bb.15251:
	s_getpc_b64 s[14:15]
.Lpost_getpc3529:
	s_add_u32 s14, s14, (.LBB1_2970-.Lpost_getpc3529)&4294967295
	s_addc_u32 s15, s15, (.LBB1_2970-.Lpost_getpc3529)>>32
	s_setpc_b64 s[14:15]
.LBB1_7068:
	v_mov_b32_e32 v21, 0
	v_cmp_ne_u16_sdwa s[8:9], v16, v21 src0_sel:BYTE_3 src1_sel:DWORD
	s_andn2_b64 s[4:5], s[4:5], exec
	s_and_b64 s[8:9], s[8:9], exec
	s_or_b64 s[4:5], s[4:5], s[8:9]
	s_or_b64 exec, exec, s[6:7]
	s_and_saveexec_b64 s[6:7], s[4:5]
	s_cbranch_execz .LBB1_9677
; %bb.15253:
	s_getpc_b64 s[14:15]
.Lpost_getpc3530:
	s_add_u32 s14, s14, (.LBB1_2971-.Lpost_getpc3530)&4294967295
	s_addc_u32 s15, s15, (.LBB1_2971-.Lpost_getpc3530)>>32
	s_setpc_b64 s[14:15]
.LBB1_9677:
	s_getpc_b64 s[14:15]
.Lpost_getpc742:
	s_add_u32 s14, s14, (.LBB1_2972-.Lpost_getpc742)&4294967295
	s_addc_u32 s15, s15, (.LBB1_2972-.Lpost_getpc742)>>32
	s_setpc_b64 s[14:15]
.LBB1_7069:
	s_movk_i32 s4, 0x80
	v_cmp_eq_u16_sdwa s[12:13], v12, s4 src0_sel:BYTE_3 src1_sel:DWORD
	s_mov_b64 s[4:5], -1
                                        ; implicit-def: $sgpr10
	s_and_saveexec_b64 s[8:9], s[12:13]
; %bb.7070:
	s_mov_b32 s10, 0x7f800001
	s_xor_b64 s[4:5], exec, -1
; %bb.7071:
	s_or_b64 exec, exec, s[8:9]
	s_and_b64 s[4:5], s[4:5], exec
	s_or_saveexec_b64 s[6:7], s[6:7]
	v_mov_b32_e32 v16, s10
	s_xor_b64 exec, exec, s[6:7]
	s_cbranch_execnz .LBB1_7072
; %bb.15255:
	s_getpc_b64 s[14:15]
.Lpost_getpc3531:
	s_add_u32 s14, s14, (.LBB1_2974-.Lpost_getpc3531)&4294967295
	s_addc_u32 s15, s15, (.LBB1_2974-.Lpost_getpc3531)>>32
	s_setpc_b64 s[14:15]
.LBB1_7072:
	v_mov_b32_e32 v16, 0
	v_cmp_ne_u16_sdwa s[8:9], v12, v16 src0_sel:BYTE_3 src1_sel:DWORD
	s_andn2_b64 s[4:5], s[4:5], exec
	s_and_b64 s[8:9], s[8:9], exec
	s_or_b64 s[4:5], s[4:5], s[8:9]
	s_or_b64 exec, exec, s[6:7]
	s_and_saveexec_b64 s[6:7], s[4:5]
	s_cbranch_execz .LBB1_9679
; %bb.15257:
	s_getpc_b64 s[14:15]
.Lpost_getpc3532:
	s_add_u32 s14, s14, (.LBB1_2975-.Lpost_getpc3532)&4294967295
	s_addc_u32 s15, s15, (.LBB1_2975-.Lpost_getpc3532)>>32
	s_setpc_b64 s[14:15]
.LBB1_9679:
	s_getpc_b64 s[14:15]
.Lpost_getpc743:
	s_add_u32 s14, s14, (.LBB1_2976-.Lpost_getpc743)&4294967295
	s_addc_u32 s15, s15, (.LBB1_2976-.Lpost_getpc743)>>32
	s_setpc_b64 s[14:15]
.LBB1_7073:
	s_movk_i32 s4, 0x80
	v_cmp_eq_u16_sdwa s[12:13], v17, s4 src0_sel:BYTE_0 src1_sel:DWORD
	s_mov_b64 s[4:5], -1
                                        ; implicit-def: $sgpr10
	s_and_saveexec_b64 s[8:9], s[12:13]
; %bb.7074:
	s_mov_b32 s10, 0x7f800001
	s_xor_b64 s[4:5], exec, -1
; %bb.7075:
	s_or_b64 exec, exec, s[8:9]
	s_and_b64 s[4:5], s[4:5], exec
	s_or_saveexec_b64 s[6:7], s[6:7]
	v_mov_b32_e32 v12, s10
	s_xor_b64 exec, exec, s[6:7]
	s_cbranch_execnz .LBB1_7076
; %bb.15259:
	s_getpc_b64 s[14:15]
.Lpost_getpc3533:
	s_add_u32 s14, s14, (.LBB1_2978-.Lpost_getpc3533)&4294967295
	s_addc_u32 s15, s15, (.LBB1_2978-.Lpost_getpc3533)>>32
	s_setpc_b64 s[14:15]
.LBB1_7076:
	v_mov_b32_e32 v12, 0
	v_cmp_ne_u16_sdwa s[8:9], v17, v12 src0_sel:BYTE_0 src1_sel:DWORD
	s_andn2_b64 s[4:5], s[4:5], exec
	s_and_b64 s[8:9], s[8:9], exec
	s_or_b64 s[4:5], s[4:5], s[8:9]
	s_or_b64 exec, exec, s[6:7]
	s_and_saveexec_b64 s[6:7], s[4:5]
	s_cbranch_execz .LBB1_9681
; %bb.15261:
	s_getpc_b64 s[14:15]
.Lpost_getpc3534:
	s_add_u32 s14, s14, (.LBB1_2979-.Lpost_getpc3534)&4294967295
	s_addc_u32 s15, s15, (.LBB1_2979-.Lpost_getpc3534)>>32
	s_setpc_b64 s[14:15]
.LBB1_9681:
	s_getpc_b64 s[14:15]
.Lpost_getpc744:
	s_add_u32 s14, s14, (.LBB1_2980-.Lpost_getpc744)&4294967295
	s_addc_u32 s15, s15, (.LBB1_2980-.Lpost_getpc744)>>32
	s_setpc_b64 s[14:15]
.LBB1_7077:
	s_movk_i32 s4, 0x80
	v_cmp_eq_u16_sdwa s[12:13], v13, s4 src0_sel:BYTE_0 src1_sel:DWORD
	s_mov_b64 s[4:5], -1
                                        ; implicit-def: $sgpr10
	s_and_saveexec_b64 s[8:9], s[12:13]
; %bb.7078:
	s_mov_b32 s10, 0x7f800001
	s_xor_b64 s[4:5], exec, -1
; %bb.7079:
	s_or_b64 exec, exec, s[8:9]
	s_and_b64 s[4:5], s[4:5], exec
	s_or_saveexec_b64 s[6:7], s[6:7]
	v_mov_b32_e32 v16, s10
	s_xor_b64 exec, exec, s[6:7]
	s_cbranch_execnz .LBB1_7080
; %bb.15263:
	s_getpc_b64 s[14:15]
.Lpost_getpc3535:
	s_add_u32 s14, s14, (.LBB1_2982-.Lpost_getpc3535)&4294967295
	s_addc_u32 s15, s15, (.LBB1_2982-.Lpost_getpc3535)>>32
	s_setpc_b64 s[14:15]
.LBB1_7080:
	v_mov_b32_e32 v16, 0
	v_cmp_ne_u16_sdwa s[8:9], v13, v16 src0_sel:BYTE_0 src1_sel:DWORD
	s_andn2_b64 s[4:5], s[4:5], exec
	s_and_b64 s[8:9], s[8:9], exec
	s_or_b64 s[4:5], s[4:5], s[8:9]
	s_or_b64 exec, exec, s[6:7]
	s_and_saveexec_b64 s[6:7], s[4:5]
	s_cbranch_execz .LBB1_9683
; %bb.15265:
	s_getpc_b64 s[14:15]
.Lpost_getpc3536:
	s_add_u32 s14, s14, (.LBB1_2983-.Lpost_getpc3536)&4294967295
	s_addc_u32 s15, s15, (.LBB1_2983-.Lpost_getpc3536)>>32
	s_setpc_b64 s[14:15]
.LBB1_9683:
	s_getpc_b64 s[14:15]
.Lpost_getpc745:
	s_add_u32 s14, s14, (.LBB1_2984-.Lpost_getpc745)&4294967295
	s_addc_u32 s15, s15, (.LBB1_2984-.Lpost_getpc745)>>32
	s_setpc_b64 s[14:15]
.LBB1_7081:
	s_movk_i32 s4, 0x80
	v_cmp_eq_u16_sdwa s[12:13], v16, s4 src0_sel:BYTE_0 src1_sel:DWORD
	s_mov_b64 s[4:5], -1
                                        ; implicit-def: $sgpr10
	s_and_saveexec_b64 s[8:9], s[12:13]
; %bb.7082:
	s_mov_b32 s10, 0x7f800001
	s_xor_b64 s[4:5], exec, -1
; %bb.7083:
	s_or_b64 exec, exec, s[8:9]
	s_and_b64 s[4:5], s[4:5], exec
	s_or_saveexec_b64 s[6:7], s[6:7]
	v_mov_b32_e32 v12, s10
	s_xor_b64 exec, exec, s[6:7]
	s_cbranch_execnz .LBB1_7084
; %bb.15267:
	s_getpc_b64 s[14:15]
.Lpost_getpc3537:
	s_add_u32 s14, s14, (.LBB1_2986-.Lpost_getpc3537)&4294967295
	s_addc_u32 s15, s15, (.LBB1_2986-.Lpost_getpc3537)>>32
	s_setpc_b64 s[14:15]
.LBB1_7084:
	v_mov_b32_e32 v12, 0
	v_cmp_ne_u16_sdwa s[8:9], v16, v12 src0_sel:BYTE_0 src1_sel:DWORD
	s_andn2_b64 s[4:5], s[4:5], exec
	s_and_b64 s[8:9], s[8:9], exec
	s_or_b64 s[4:5], s[4:5], s[8:9]
	s_or_b64 exec, exec, s[6:7]
	s_and_saveexec_b64 s[6:7], s[4:5]
	s_cbranch_execz .LBB1_9685
; %bb.15269:
	s_getpc_b64 s[14:15]
.Lpost_getpc3538:
	s_add_u32 s14, s14, (.LBB1_2987-.Lpost_getpc3538)&4294967295
	s_addc_u32 s15, s15, (.LBB1_2987-.Lpost_getpc3538)>>32
	s_setpc_b64 s[14:15]
.LBB1_9685:
	s_getpc_b64 s[14:15]
.Lpost_getpc746:
	s_add_u32 s14, s14, (.LBB1_2988-.Lpost_getpc746)&4294967295
	s_addc_u32 s15, s15, (.LBB1_2988-.Lpost_getpc746)>>32
	s_setpc_b64 s[14:15]
.LBB1_7085:
	s_movk_i32 s4, 0x80
	v_cmp_eq_u16_sdwa s[12:13], v16, s4 src0_sel:BYTE_0 src1_sel:DWORD
	s_mov_b64 s[4:5], -1
                                        ; implicit-def: $sgpr10
	s_and_saveexec_b64 s[8:9], s[12:13]
; %bb.7086:
	s_mov_b32 s10, 0x7f800001
	s_xor_b64 s[4:5], exec, -1
; %bb.7087:
	s_or_b64 exec, exec, s[8:9]
	s_and_b64 s[4:5], s[4:5], exec
	s_or_saveexec_b64 s[6:7], s[6:7]
	v_mov_b32_e32 v21, s10
	s_xor_b64 exec, exec, s[6:7]
	s_cbranch_execnz .LBB1_7088
; %bb.15271:
	s_getpc_b64 s[14:15]
.Lpost_getpc3539:
	s_add_u32 s14, s14, (.LBB1_2990-.Lpost_getpc3539)&4294967295
	s_addc_u32 s15, s15, (.LBB1_2990-.Lpost_getpc3539)>>32
	s_setpc_b64 s[14:15]
.LBB1_7088:
	v_mov_b32_e32 v21, 0
	v_cmp_ne_u16_sdwa s[8:9], v16, v21 src0_sel:BYTE_0 src1_sel:DWORD
	s_andn2_b64 s[4:5], s[4:5], exec
	s_and_b64 s[8:9], s[8:9], exec
	s_or_b64 s[4:5], s[4:5], s[8:9]
	s_or_b64 exec, exec, s[6:7]
	s_and_saveexec_b64 s[6:7], s[4:5]
	s_cbranch_execz .LBB1_9687
; %bb.15273:
	s_getpc_b64 s[14:15]
.Lpost_getpc3540:
	s_add_u32 s14, s14, (.LBB1_2991-.Lpost_getpc3540)&4294967295
	s_addc_u32 s15, s15, (.LBB1_2991-.Lpost_getpc3540)>>32
	s_setpc_b64 s[14:15]
.LBB1_9687:
	s_getpc_b64 s[14:15]
.Lpost_getpc747:
	s_add_u32 s14, s14, (.LBB1_2992-.Lpost_getpc747)&4294967295
	s_addc_u32 s15, s15, (.LBB1_2992-.Lpost_getpc747)>>32
	s_setpc_b64 s[14:15]
.LBB1_7089:
	s_movk_i32 s4, 0x80
	v_cmp_eq_u16_e32 vcc, s4, v16
	s_mov_b64 s[4:5], -1
                                        ; implicit-def: $sgpr10
	s_and_saveexec_b64 s[8:9], vcc
; %bb.7090:
	s_mov_b32 s10, 0x7f800001
	s_xor_b64 s[4:5], exec, -1
; %bb.7091:
	s_or_b64 exec, exec, s[8:9]
	s_and_b64 s[4:5], s[4:5], exec
                                        ; implicit-def: $vgpr16
	s_or_saveexec_b64 s[6:7], s[6:7]
	v_mov_b32_e32 v12, s10
	s_xor_b64 exec, exec, s[6:7]
	s_cbranch_execnz .LBB1_7092
; %bb.15275:
	s_getpc_b64 s[14:15]
.Lpost_getpc3541:
	s_add_u32 s14, s14, (.LBB1_2994-.Lpost_getpc3541)&4294967295
	s_addc_u32 s15, s15, (.LBB1_2994-.Lpost_getpc3541)>>32
	s_setpc_b64 s[14:15]
.LBB1_7092:
	v_cmp_ne_u16_e32 vcc, 0, v16
	s_andn2_b64 s[4:5], s[4:5], exec
	s_and_b64 s[8:9], vcc, exec
	v_mov_b32_e32 v12, 0
	s_or_b64 s[4:5], s[4:5], s[8:9]
	s_or_b64 exec, exec, s[6:7]
	s_and_saveexec_b64 s[6:7], s[4:5]
	s_cbranch_execz .LBB1_9689
; %bb.15277:
	s_getpc_b64 s[14:15]
.Lpost_getpc3542:
	s_add_u32 s14, s14, (.LBB1_2995-.Lpost_getpc3542)&4294967295
	s_addc_u32 s15, s15, (.LBB1_2995-.Lpost_getpc3542)>>32
	s_setpc_b64 s[14:15]
.LBB1_9689:
	s_getpc_b64 s[14:15]
.Lpost_getpc748:
	s_add_u32 s14, s14, (.LBB1_2996-.Lpost_getpc748)&4294967295
	s_addc_u32 s15, s15, (.LBB1_2996-.Lpost_getpc748)>>32
	s_setpc_b64 s[14:15]
.LBB1_7093:
	s_movk_i32 s4, 0x80
	v_cmp_eq_u16_e32 vcc, s4, v16
	s_mov_b64 s[4:5], -1
                                        ; implicit-def: $sgpr10
	s_and_saveexec_b64 s[8:9], vcc
; %bb.7094:
	s_mov_b32 s10, 0x7f800001
	s_xor_b64 s[4:5], exec, -1
; %bb.7095:
	s_or_b64 exec, exec, s[8:9]
	s_and_b64 s[4:5], s[4:5], exec
                                        ; implicit-def: $vgpr16
	s_or_saveexec_b64 s[6:7], s[6:7]
	v_mov_b32_e32 v21, s10
	s_xor_b64 exec, exec, s[6:7]
	s_cbranch_execnz .LBB1_7096
; %bb.15279:
	s_getpc_b64 s[14:15]
.Lpost_getpc3543:
	s_add_u32 s14, s14, (.LBB1_2998-.Lpost_getpc3543)&4294967295
	s_addc_u32 s15, s15, (.LBB1_2998-.Lpost_getpc3543)>>32
	s_setpc_b64 s[14:15]
.LBB1_7096:
	v_cmp_ne_u16_e32 vcc, 0, v16
	s_andn2_b64 s[4:5], s[4:5], exec
	s_and_b64 s[8:9], vcc, exec
	v_mov_b32_e32 v21, 0
	s_or_b64 s[4:5], s[4:5], s[8:9]
	s_or_b64 exec, exec, s[6:7]
	s_and_saveexec_b64 s[6:7], s[4:5]
	s_cbranch_execz .LBB1_9691
; %bb.15281:
	s_getpc_b64 s[14:15]
.Lpost_getpc3544:
	s_add_u32 s14, s14, (.LBB1_2999-.Lpost_getpc3544)&4294967295
	s_addc_u32 s15, s15, (.LBB1_2999-.Lpost_getpc3544)>>32
	s_setpc_b64 s[14:15]
.LBB1_9691:
	s_getpc_b64 s[14:15]
.Lpost_getpc749:
	s_add_u32 s14, s14, (.LBB1_3000-.Lpost_getpc749)&4294967295
	s_addc_u32 s15, s15, (.LBB1_3000-.Lpost_getpc749)>>32
	s_setpc_b64 s[14:15]
.LBB1_7097:
	s_movk_i32 s4, 0x80
	v_cmp_eq_u16_sdwa s[12:13], v17, s4 src0_sel:BYTE_3 src1_sel:DWORD
	s_mov_b64 s[4:5], -1
                                        ; implicit-def: $sgpr10
	s_and_saveexec_b64 s[8:9], s[12:13]
; %bb.7098:
	s_mov_b32 s10, 0x7f800001
	s_xor_b64 s[4:5], exec, -1
; %bb.7099:
	s_or_b64 exec, exec, s[8:9]
	s_and_b64 s[4:5], s[4:5], exec
	s_or_saveexec_b64 s[6:7], s[6:7]
	v_mov_b32_e32 v12, s10
	s_xor_b64 exec, exec, s[6:7]
	s_cbranch_execnz .LBB1_7100
; %bb.15283:
	s_getpc_b64 s[14:15]
.Lpost_getpc3545:
	s_add_u32 s14, s14, (.LBB1_3002-.Lpost_getpc3545)&4294967295
	s_addc_u32 s15, s15, (.LBB1_3002-.Lpost_getpc3545)>>32
	s_setpc_b64 s[14:15]
.LBB1_7100:
	v_mov_b32_e32 v12, 0
	v_cmp_ne_u16_sdwa s[8:9], v17, v12 src0_sel:BYTE_3 src1_sel:DWORD
	s_andn2_b64 s[4:5], s[4:5], exec
	s_and_b64 s[8:9], s[8:9], exec
	s_or_b64 s[4:5], s[4:5], s[8:9]
	s_or_b64 exec, exec, s[6:7]
	s_and_saveexec_b64 s[6:7], s[4:5]
	s_cbranch_execz .LBB1_9693
; %bb.15285:
	s_getpc_b64 s[14:15]
.Lpost_getpc3546:
	s_add_u32 s14, s14, (.LBB1_3003-.Lpost_getpc3546)&4294967295
	s_addc_u32 s15, s15, (.LBB1_3003-.Lpost_getpc3546)>>32
	s_setpc_b64 s[14:15]
.LBB1_9693:
	s_getpc_b64 s[14:15]
.Lpost_getpc750:
	s_add_u32 s14, s14, (.LBB1_3004-.Lpost_getpc750)&4294967295
	s_addc_u32 s15, s15, (.LBB1_3004-.Lpost_getpc750)>>32
	s_setpc_b64 s[14:15]
.LBB1_7101:
	s_movk_i32 s4, 0x80
	v_cmp_eq_u16_sdwa s[12:13], v13, s4 src0_sel:BYTE_3 src1_sel:DWORD
	s_mov_b64 s[4:5], -1
                                        ; implicit-def: $sgpr10
	s_and_saveexec_b64 s[8:9], s[12:13]
; %bb.7102:
	s_mov_b32 s10, 0x7f800001
	s_xor_b64 s[4:5], exec, -1
; %bb.7103:
	s_or_b64 exec, exec, s[8:9]
	s_and_b64 s[4:5], s[4:5], exec
	s_or_saveexec_b64 s[6:7], s[6:7]
	v_mov_b32_e32 v16, s10
	s_xor_b64 exec, exec, s[6:7]
	s_cbranch_execnz .LBB1_7104
; %bb.15287:
	s_getpc_b64 s[14:15]
.Lpost_getpc3547:
	s_add_u32 s14, s14, (.LBB1_3006-.Lpost_getpc3547)&4294967295
	s_addc_u32 s15, s15, (.LBB1_3006-.Lpost_getpc3547)>>32
	s_setpc_b64 s[14:15]
.LBB1_7104:
	v_mov_b32_e32 v16, 0
	v_cmp_ne_u16_sdwa s[8:9], v13, v16 src0_sel:BYTE_3 src1_sel:DWORD
	s_andn2_b64 s[4:5], s[4:5], exec
	s_and_b64 s[8:9], s[8:9], exec
	s_or_b64 s[4:5], s[4:5], s[8:9]
	s_or_b64 exec, exec, s[6:7]
	s_and_saveexec_b64 s[6:7], s[4:5]
	s_cbranch_execz .LBB1_9695
; %bb.15289:
	s_getpc_b64 s[14:15]
.Lpost_getpc3548:
	s_add_u32 s14, s14, (.LBB1_3007-.Lpost_getpc3548)&4294967295
	s_addc_u32 s15, s15, (.LBB1_3007-.Lpost_getpc3548)>>32
	s_setpc_b64 s[14:15]
.LBB1_9695:
	s_getpc_b64 s[14:15]
.Lpost_getpc751:
	s_add_u32 s14, s14, (.LBB1_3008-.Lpost_getpc751)&4294967295
	s_addc_u32 s15, s15, (.LBB1_3008-.Lpost_getpc751)>>32
	s_setpc_b64 s[14:15]
.LBB1_7105:
	s_movk_i32 s4, 0x80
	v_cmp_eq_u16_sdwa s[12:13], v18, s4 src0_sel:BYTE_0 src1_sel:DWORD
	s_mov_b64 s[4:5], -1
                                        ; implicit-def: $sgpr10
	s_and_saveexec_b64 s[8:9], s[12:13]
; %bb.7106:
	s_mov_b32 s10, 0x7f800001
	s_xor_b64 s[4:5], exec, -1
; %bb.7107:
	s_or_b64 exec, exec, s[8:9]
	s_and_b64 s[4:5], s[4:5], exec
	s_or_saveexec_b64 s[6:7], s[6:7]
	v_mov_b32_e32 v13, s10
	s_xor_b64 exec, exec, s[6:7]
	s_cbranch_execnz .LBB1_7108
; %bb.15291:
	s_getpc_b64 s[14:15]
.Lpost_getpc3549:
	s_add_u32 s14, s14, (.LBB1_3010-.Lpost_getpc3549)&4294967295
	s_addc_u32 s15, s15, (.LBB1_3010-.Lpost_getpc3549)>>32
	s_setpc_b64 s[14:15]
.LBB1_7108:
	v_mov_b32_e32 v13, 0
	v_cmp_ne_u16_sdwa s[8:9], v18, v13 src0_sel:BYTE_0 src1_sel:DWORD
	s_andn2_b64 s[4:5], s[4:5], exec
	s_and_b64 s[8:9], s[8:9], exec
	s_or_b64 s[4:5], s[4:5], s[8:9]
	s_or_b64 exec, exec, s[6:7]
	s_and_saveexec_b64 s[6:7], s[4:5]
	s_cbranch_execz .LBB1_9697
; %bb.15293:
	s_getpc_b64 s[14:15]
.Lpost_getpc3550:
	s_add_u32 s14, s14, (.LBB1_3011-.Lpost_getpc3550)&4294967295
	s_addc_u32 s15, s15, (.LBB1_3011-.Lpost_getpc3550)>>32
	s_setpc_b64 s[14:15]
.LBB1_9697:
	s_getpc_b64 s[14:15]
.Lpost_getpc752:
	s_add_u32 s14, s14, (.LBB1_3012-.Lpost_getpc752)&4294967295
	s_addc_u32 s15, s15, (.LBB1_3012-.Lpost_getpc752)>>32
	s_setpc_b64 s[14:15]
.LBB1_7109:
	s_movk_i32 s4, 0x80
	v_cmp_eq_u16_sdwa s[12:13], v16, s4 src0_sel:BYTE_0 src1_sel:DWORD
	s_mov_b64 s[4:5], -1
                                        ; implicit-def: $sgpr10
	s_and_saveexec_b64 s[8:9], s[12:13]
; %bb.7110:
	s_mov_b32 s10, 0x7f800001
	s_xor_b64 s[4:5], exec, -1
; %bb.7111:
	s_or_b64 exec, exec, s[8:9]
	s_and_b64 s[4:5], s[4:5], exec
	s_or_saveexec_b64 s[6:7], s[6:7]
	v_mov_b32_e32 v14, s10
	s_xor_b64 exec, exec, s[6:7]
	s_cbranch_execnz .LBB1_7112
; %bb.15295:
	s_getpc_b64 s[14:15]
.Lpost_getpc3551:
	s_add_u32 s14, s14, (.LBB1_3014-.Lpost_getpc3551)&4294967295
	s_addc_u32 s15, s15, (.LBB1_3014-.Lpost_getpc3551)>>32
	s_setpc_b64 s[14:15]
.LBB1_7112:
	v_mov_b32_e32 v14, 0
	v_cmp_ne_u16_sdwa s[8:9], v16, v14 src0_sel:BYTE_0 src1_sel:DWORD
	s_andn2_b64 s[4:5], s[4:5], exec
	s_and_b64 s[8:9], s[8:9], exec
	s_or_b64 s[4:5], s[4:5], s[8:9]
	s_or_b64 exec, exec, s[6:7]
	v_or_b32_sdwa v12, v16, v12 dst_sel:DWORD dst_unused:UNUSED_PAD src0_sel:WORD_0 src1_sel:DWORD
	s_and_saveexec_b64 s[6:7], s[4:5]
	s_cbranch_execz .LBB1_9699
; %bb.15297:
	s_getpc_b64 s[14:15]
.Lpost_getpc3552:
	s_add_u32 s14, s14, (.LBB1_3015-.Lpost_getpc3552)&4294967295
	s_addc_u32 s15, s15, (.LBB1_3015-.Lpost_getpc3552)>>32
	s_setpc_b64 s[14:15]
.LBB1_9699:
	s_getpc_b64 s[14:15]
.Lpost_getpc753:
	s_add_u32 s14, s14, (.LBB1_3016-.Lpost_getpc753)&4294967295
	s_addc_u32 s15, s15, (.LBB1_3016-.Lpost_getpc753)>>32
	s_setpc_b64 s[14:15]
.LBB1_7113:
	s_movk_i32 s4, 0x80
	v_cmp_eq_u16_sdwa s[12:13], v14, s4 src0_sel:BYTE_0 src1_sel:DWORD
	s_mov_b64 s[4:5], -1
                                        ; implicit-def: $sgpr10
	s_and_saveexec_b64 s[8:9], s[12:13]
; %bb.7114:
	s_mov_b32 s10, 0x7f800001
	s_xor_b64 s[4:5], exec, -1
; %bb.7115:
	s_or_b64 exec, exec, s[8:9]
	s_and_b64 s[4:5], s[4:5], exec
	s_or_saveexec_b64 s[6:7], s[6:7]
	v_mov_b32_e32 v13, s10
	s_xor_b64 exec, exec, s[6:7]
	s_cbranch_execnz .LBB1_7116
; %bb.15299:
	s_getpc_b64 s[14:15]
.Lpost_getpc3553:
	s_add_u32 s14, s14, (.LBB1_3018-.Lpost_getpc3553)&4294967295
	s_addc_u32 s15, s15, (.LBB1_3018-.Lpost_getpc3553)>>32
	s_setpc_b64 s[14:15]
.LBB1_7116:
	v_mov_b32_e32 v13, 0
	v_cmp_ne_u16_sdwa s[8:9], v14, v13 src0_sel:BYTE_0 src1_sel:DWORD
	s_andn2_b64 s[4:5], s[4:5], exec
	s_and_b64 s[8:9], s[8:9], exec
	s_or_b64 s[4:5], s[4:5], s[8:9]
	s_or_b64 exec, exec, s[6:7]
	s_and_saveexec_b64 s[6:7], s[4:5]
	s_cbranch_execz .LBB1_9701
; %bb.15301:
	s_getpc_b64 s[14:15]
.Lpost_getpc3554:
	s_add_u32 s14, s14, (.LBB1_3019-.Lpost_getpc3554)&4294967295
	s_addc_u32 s15, s15, (.LBB1_3019-.Lpost_getpc3554)>>32
	s_setpc_b64 s[14:15]
.LBB1_9701:
	s_getpc_b64 s[14:15]
.Lpost_getpc754:
	s_add_u32 s14, s14, (.LBB1_3020-.Lpost_getpc754)&4294967295
	s_addc_u32 s15, s15, (.LBB1_3020-.Lpost_getpc754)>>32
	s_setpc_b64 s[14:15]
.LBB1_7117:
	s_movk_i32 s4, 0x80
	v_cmp_eq_u16_sdwa s[12:13], v14, s4 src0_sel:BYTE_0 src1_sel:DWORD
	s_mov_b64 s[4:5], -1
                                        ; implicit-def: $sgpr10
	s_and_saveexec_b64 s[8:9], s[12:13]
; %bb.7118:
	s_mov_b32 s10, 0x7f800001
	s_xor_b64 s[4:5], exec, -1
; %bb.7119:
	s_or_b64 exec, exec, s[8:9]
	s_and_b64 s[4:5], s[4:5], exec
	s_or_saveexec_b64 s[6:7], s[6:7]
	v_mov_b32_e32 v16, s10
	s_xor_b64 exec, exec, s[6:7]
	s_cbranch_execnz .LBB1_7120
; %bb.15303:
	s_getpc_b64 s[14:15]
.Lpost_getpc3555:
	s_add_u32 s14, s14, (.LBB1_3022-.Lpost_getpc3555)&4294967295
	s_addc_u32 s15, s15, (.LBB1_3022-.Lpost_getpc3555)>>32
	s_setpc_b64 s[14:15]
.LBB1_7120:
	v_mov_b32_e32 v16, 0
	v_cmp_ne_u16_sdwa s[8:9], v14, v16 src0_sel:BYTE_0 src1_sel:DWORD
	s_andn2_b64 s[4:5], s[4:5], exec
	s_and_b64 s[8:9], s[8:9], exec
	s_or_b64 s[4:5], s[4:5], s[8:9]
	s_or_b64 exec, exec, s[6:7]
	s_and_saveexec_b64 s[6:7], s[4:5]
	s_cbranch_execz .LBB1_9703
; %bb.15305:
	s_getpc_b64 s[14:15]
.Lpost_getpc3556:
	s_add_u32 s14, s14, (.LBB1_3023-.Lpost_getpc3556)&4294967295
	s_addc_u32 s15, s15, (.LBB1_3023-.Lpost_getpc3556)>>32
	s_setpc_b64 s[14:15]
.LBB1_9703:
	s_getpc_b64 s[14:15]
.Lpost_getpc755:
	s_add_u32 s14, s14, (.LBB1_3024-.Lpost_getpc755)&4294967295
	s_addc_u32 s15, s15, (.LBB1_3024-.Lpost_getpc755)>>32
	s_setpc_b64 s[14:15]
.LBB1_7121:
	s_movk_i32 s4, 0x80
	v_cmp_eq_u16_e32 vcc, s4, v14
	s_mov_b64 s[4:5], -1
                                        ; implicit-def: $sgpr10
	s_and_saveexec_b64 s[8:9], vcc
; %bb.7122:
	s_mov_b32 s10, 0x7f800001
	s_xor_b64 s[4:5], exec, -1
; %bb.7123:
	s_or_b64 exec, exec, s[8:9]
	s_and_b64 s[4:5], s[4:5], exec
                                        ; implicit-def: $vgpr14
	s_or_saveexec_b64 s[6:7], s[6:7]
	v_mov_b32_e32 v13, s10
	s_xor_b64 exec, exec, s[6:7]
	s_cbranch_execnz .LBB1_7124
; %bb.15307:
	s_getpc_b64 s[14:15]
.Lpost_getpc3557:
	s_add_u32 s14, s14, (.LBB1_3026-.Lpost_getpc3557)&4294967295
	s_addc_u32 s15, s15, (.LBB1_3026-.Lpost_getpc3557)>>32
	s_setpc_b64 s[14:15]
.LBB1_7124:
	v_cmp_ne_u16_e32 vcc, 0, v14
	s_andn2_b64 s[4:5], s[4:5], exec
	s_and_b64 s[8:9], vcc, exec
	v_mov_b32_e32 v13, 0
	s_or_b64 s[4:5], s[4:5], s[8:9]
	s_or_b64 exec, exec, s[6:7]
	s_and_saveexec_b64 s[6:7], s[4:5]
	s_cbranch_execz .LBB1_9705
; %bb.15309:
	s_getpc_b64 s[14:15]
.Lpost_getpc3558:
	s_add_u32 s14, s14, (.LBB1_3027-.Lpost_getpc3558)&4294967295
	s_addc_u32 s15, s15, (.LBB1_3027-.Lpost_getpc3558)>>32
	s_setpc_b64 s[14:15]
.LBB1_9705:
	s_getpc_b64 s[14:15]
.Lpost_getpc756:
	s_add_u32 s14, s14, (.LBB1_3028-.Lpost_getpc756)&4294967295
	s_addc_u32 s15, s15, (.LBB1_3028-.Lpost_getpc756)>>32
	s_setpc_b64 s[14:15]
.LBB1_7125:
	s_movk_i32 s4, 0x80
	v_cmp_eq_u16_e32 vcc, s4, v14
	s_mov_b64 s[4:5], -1
                                        ; implicit-def: $sgpr10
	s_and_saveexec_b64 s[8:9], vcc
; %bb.7126:
	s_mov_b32 s10, 0x7f800001
	s_xor_b64 s[4:5], exec, -1
; %bb.7127:
	s_or_b64 exec, exec, s[8:9]
	s_and_b64 s[4:5], s[4:5], exec
                                        ; implicit-def: $vgpr14
	s_or_saveexec_b64 s[6:7], s[6:7]
	v_mov_b32_e32 v16, s10
	s_xor_b64 exec, exec, s[6:7]
	s_cbranch_execnz .LBB1_7128
; %bb.15311:
	s_getpc_b64 s[14:15]
.Lpost_getpc3559:
	s_add_u32 s14, s14, (.LBB1_3030-.Lpost_getpc3559)&4294967295
	s_addc_u32 s15, s15, (.LBB1_3030-.Lpost_getpc3559)>>32
	s_setpc_b64 s[14:15]
.LBB1_7128:
	v_cmp_ne_u16_e32 vcc, 0, v14
	s_andn2_b64 s[4:5], s[4:5], exec
	s_and_b64 s[8:9], vcc, exec
	v_mov_b32_e32 v16, 0
	s_or_b64 s[4:5], s[4:5], s[8:9]
	s_or_b64 exec, exec, s[6:7]
	s_and_saveexec_b64 s[6:7], s[4:5]
	s_cbranch_execz .LBB1_9707
; %bb.15313:
	s_getpc_b64 s[14:15]
.Lpost_getpc3560:
	s_add_u32 s14, s14, (.LBB1_3031-.Lpost_getpc3560)&4294967295
	s_addc_u32 s15, s15, (.LBB1_3031-.Lpost_getpc3560)>>32
	s_setpc_b64 s[14:15]
.LBB1_9707:
	s_getpc_b64 s[14:15]
.Lpost_getpc757:
	s_add_u32 s14, s14, (.LBB1_3032-.Lpost_getpc757)&4294967295
	s_addc_u32 s15, s15, (.LBB1_3032-.Lpost_getpc757)>>32
	s_setpc_b64 s[14:15]
.LBB1_7129:
	s_movk_i32 s4, 0x80
	v_cmp_eq_u16_sdwa s[12:13], v18, s4 src0_sel:BYTE_3 src1_sel:DWORD
	s_mov_b64 s[4:5], -1
                                        ; implicit-def: $sgpr10
	s_and_saveexec_b64 s[8:9], s[12:13]
; %bb.7130:
	s_mov_b32 s10, 0x7f800001
	s_xor_b64 s[4:5], exec, -1
; %bb.7131:
	s_or_b64 exec, exec, s[8:9]
	s_and_b64 s[4:5], s[4:5], exec
	s_or_saveexec_b64 s[6:7], s[6:7]
	v_mov_b32_e32 v13, s10
	s_xor_b64 exec, exec, s[6:7]
	s_cbranch_execnz .LBB1_7132
; %bb.15315:
	s_getpc_b64 s[14:15]
.Lpost_getpc3561:
	s_add_u32 s14, s14, (.LBB1_3034-.Lpost_getpc3561)&4294967295
	s_addc_u32 s15, s15, (.LBB1_3034-.Lpost_getpc3561)>>32
	s_setpc_b64 s[14:15]
.LBB1_7132:
	v_mov_b32_e32 v13, 0
	v_cmp_ne_u16_sdwa s[8:9], v18, v13 src0_sel:BYTE_3 src1_sel:DWORD
	s_andn2_b64 s[4:5], s[4:5], exec
	s_and_b64 s[8:9], s[8:9], exec
	s_or_b64 s[4:5], s[4:5], s[8:9]
	s_or_b64 exec, exec, s[6:7]
	s_and_saveexec_b64 s[6:7], s[4:5]
	s_cbranch_execz .LBB1_9709
; %bb.15317:
	s_getpc_b64 s[14:15]
.Lpost_getpc3562:
	s_add_u32 s14, s14, (.LBB1_3035-.Lpost_getpc3562)&4294967295
	s_addc_u32 s15, s15, (.LBB1_3035-.Lpost_getpc3562)>>32
	s_setpc_b64 s[14:15]
.LBB1_9709:
	s_getpc_b64 s[14:15]
.Lpost_getpc758:
	s_add_u32 s14, s14, (.LBB1_3036-.Lpost_getpc758)&4294967295
	s_addc_u32 s15, s15, (.LBB1_3036-.Lpost_getpc758)>>32
	s_setpc_b64 s[14:15]
.LBB1_7133:
	s_movk_i32 s4, 0x80
	v_cmp_eq_u16_sdwa s[12:13], v12, s4 src0_sel:BYTE_3 src1_sel:DWORD
	s_mov_b64 s[4:5], -1
                                        ; implicit-def: $sgpr10
	s_and_saveexec_b64 s[8:9], s[12:13]
; %bb.7134:
	s_mov_b32 s10, 0x7f800001
	s_xor_b64 s[4:5], exec, -1
; %bb.7135:
	s_or_b64 exec, exec, s[8:9]
	s_and_b64 s[4:5], s[4:5], exec
	s_or_saveexec_b64 s[6:7], s[6:7]
	v_mov_b32_e32 v14, s10
	s_xor_b64 exec, exec, s[6:7]
	s_cbranch_execnz .LBB1_7136
; %bb.15319:
	s_getpc_b64 s[14:15]
.Lpost_getpc3563:
	s_add_u32 s14, s14, (.LBB1_3038-.Lpost_getpc3563)&4294967295
	s_addc_u32 s15, s15, (.LBB1_3038-.Lpost_getpc3563)>>32
	s_setpc_b64 s[14:15]
.LBB1_7136:
	v_mov_b32_e32 v14, 0
	v_cmp_ne_u16_sdwa s[8:9], v12, v14 src0_sel:BYTE_3 src1_sel:DWORD
	s_andn2_b64 s[4:5], s[4:5], exec
	s_and_b64 s[8:9], s[8:9], exec
	s_or_b64 s[4:5], s[4:5], s[8:9]
	s_or_b64 exec, exec, s[6:7]
	s_and_saveexec_b64 s[6:7], s[4:5]
	s_cbranch_execz .LBB1_9711
; %bb.15321:
	s_getpc_b64 s[14:15]
.Lpost_getpc3564:
	s_add_u32 s14, s14, (.LBB1_3039-.Lpost_getpc3564)&4294967295
	s_addc_u32 s15, s15, (.LBB1_3039-.Lpost_getpc3564)>>32
	s_setpc_b64 s[14:15]
.LBB1_9711:
	s_getpc_b64 s[14:15]
.Lpost_getpc759:
	s_add_u32 s14, s14, (.LBB1_3040-.Lpost_getpc759)&4294967295
	s_addc_u32 s15, s15, (.LBB1_3040-.Lpost_getpc759)>>32
	s_setpc_b64 s[14:15]
.LBB1_7137:
	s_movk_i32 s4, 0x80
	v_cmp_eq_u16_sdwa s[12:13], v19, s4 src0_sel:BYTE_0 src1_sel:DWORD
	s_mov_b64 s[4:5], -1
                                        ; implicit-def: $sgpr10
	s_and_saveexec_b64 s[8:9], s[12:13]
; %bb.7138:
	s_mov_b32 s10, 0x7f800001
	s_xor_b64 s[4:5], exec, -1
; %bb.7139:
	s_or_b64 exec, exec, s[8:9]
	s_and_b64 s[4:5], s[4:5], exec
	s_or_saveexec_b64 s[6:7], s[6:7]
	v_mov_b32_e32 v12, s10
	s_xor_b64 exec, exec, s[6:7]
	s_cbranch_execnz .LBB1_7140
; %bb.15323:
	s_getpc_b64 s[14:15]
.Lpost_getpc3565:
	s_add_u32 s14, s14, (.LBB1_3042-.Lpost_getpc3565)&4294967295
	s_addc_u32 s15, s15, (.LBB1_3042-.Lpost_getpc3565)>>32
	s_setpc_b64 s[14:15]
.LBB1_7140:
	v_mov_b32_e32 v12, 0
	v_cmp_ne_u16_sdwa s[8:9], v19, v12 src0_sel:BYTE_0 src1_sel:DWORD
	s_andn2_b64 s[4:5], s[4:5], exec
	s_and_b64 s[8:9], s[8:9], exec
	s_or_b64 s[4:5], s[4:5], s[8:9]
	s_or_b64 exec, exec, s[6:7]
	s_and_saveexec_b64 s[6:7], s[4:5]
	s_cbranch_execz .LBB1_9713
; %bb.15325:
	s_getpc_b64 s[14:15]
.Lpost_getpc3566:
	s_add_u32 s14, s14, (.LBB1_3043-.Lpost_getpc3566)&4294967295
	s_addc_u32 s15, s15, (.LBB1_3043-.Lpost_getpc3566)>>32
	s_setpc_b64 s[14:15]
.LBB1_9713:
	s_getpc_b64 s[14:15]
.Lpost_getpc760:
	s_add_u32 s14, s14, (.LBB1_3044-.Lpost_getpc760)&4294967295
	s_addc_u32 s15, s15, (.LBB1_3044-.Lpost_getpc760)>>32
	s_setpc_b64 s[14:15]
.LBB1_7141:
	s_movk_i32 s4, 0x80
	v_cmp_eq_u16_sdwa s[12:13], v15, s4 src0_sel:BYTE_0 src1_sel:DWORD
	s_mov_b64 s[4:5], -1
                                        ; implicit-def: $sgpr10
	s_and_saveexec_b64 s[8:9], s[12:13]
; %bb.7142:
	s_mov_b32 s10, 0x7f800001
	s_xor_b64 s[4:5], exec, -1
; %bb.7143:
	s_or_b64 exec, exec, s[8:9]
	s_and_b64 s[4:5], s[4:5], exec
	s_or_saveexec_b64 s[6:7], s[6:7]
	v_mov_b32_e32 v13, s10
	s_xor_b64 exec, exec, s[6:7]
	s_cbranch_execnz .LBB1_7144
; %bb.15327:
	s_getpc_b64 s[14:15]
.Lpost_getpc3567:
	s_add_u32 s14, s14, (.LBB1_3046-.Lpost_getpc3567)&4294967295
	s_addc_u32 s15, s15, (.LBB1_3046-.Lpost_getpc3567)>>32
	s_setpc_b64 s[14:15]
.LBB1_7144:
	v_mov_b32_e32 v13, 0
	v_cmp_ne_u16_sdwa s[8:9], v15, v13 src0_sel:BYTE_0 src1_sel:DWORD
	s_andn2_b64 s[4:5], s[4:5], exec
	s_and_b64 s[8:9], s[8:9], exec
	s_or_b64 s[4:5], s[4:5], s[8:9]
	s_or_b64 exec, exec, s[6:7]
	s_and_saveexec_b64 s[6:7], s[4:5]
	s_cbranch_execz .LBB1_9715
; %bb.15329:
	s_getpc_b64 s[14:15]
.Lpost_getpc3568:
	s_add_u32 s14, s14, (.LBB1_3047-.Lpost_getpc3568)&4294967295
	s_addc_u32 s15, s15, (.LBB1_3047-.Lpost_getpc3568)>>32
	s_setpc_b64 s[14:15]
.LBB1_9715:
	s_getpc_b64 s[14:15]
.Lpost_getpc761:
	s_add_u32 s14, s14, (.LBB1_3048-.Lpost_getpc761)&4294967295
	s_addc_u32 s15, s15, (.LBB1_3048-.Lpost_getpc761)>>32
	s_setpc_b64 s[14:15]
.LBB1_7145:
	s_movk_i32 s4, 0x80
	v_cmp_eq_u16_sdwa s[12:13], v13, s4 src0_sel:BYTE_0 src1_sel:DWORD
	s_mov_b64 s[4:5], -1
                                        ; implicit-def: $sgpr10
	s_and_saveexec_b64 s[8:9], s[12:13]
; %bb.7146:
	s_mov_b32 s10, 0x7f800001
	s_xor_b64 s[4:5], exec, -1
; %bb.7147:
	s_or_b64 exec, exec, s[8:9]
	s_and_b64 s[4:5], s[4:5], exec
	s_or_saveexec_b64 s[6:7], s[6:7]
	v_mov_b32_e32 v12, s10
	s_xor_b64 exec, exec, s[6:7]
	s_cbranch_execnz .LBB1_7148
; %bb.15331:
	s_getpc_b64 s[14:15]
.Lpost_getpc3569:
	s_add_u32 s14, s14, (.LBB1_3050-.Lpost_getpc3569)&4294967295
	s_addc_u32 s15, s15, (.LBB1_3050-.Lpost_getpc3569)>>32
	s_setpc_b64 s[14:15]
.LBB1_7148:
	v_mov_b32_e32 v12, 0
	v_cmp_ne_u16_sdwa s[8:9], v13, v12 src0_sel:BYTE_0 src1_sel:DWORD
	s_andn2_b64 s[4:5], s[4:5], exec
	s_and_b64 s[8:9], s[8:9], exec
	s_or_b64 s[4:5], s[4:5], s[8:9]
	s_or_b64 exec, exec, s[6:7]
	s_and_saveexec_b64 s[6:7], s[4:5]
	s_cbranch_execz .LBB1_9717
; %bb.15333:
	s_getpc_b64 s[14:15]
.Lpost_getpc3570:
	s_add_u32 s14, s14, (.LBB1_3051-.Lpost_getpc3570)&4294967295
	s_addc_u32 s15, s15, (.LBB1_3051-.Lpost_getpc3570)>>32
	s_setpc_b64 s[14:15]
.LBB1_9717:
	s_getpc_b64 s[14:15]
.Lpost_getpc762:
	s_add_u32 s14, s14, (.LBB1_3052-.Lpost_getpc762)&4294967295
	s_addc_u32 s15, s15, (.LBB1_3052-.Lpost_getpc762)>>32
	s_setpc_b64 s[14:15]
.LBB1_7149:
	s_movk_i32 s4, 0x80
	v_cmp_eq_u16_sdwa s[12:13], v13, s4 src0_sel:BYTE_0 src1_sel:DWORD
	s_mov_b64 s[4:5], -1
                                        ; implicit-def: $sgpr10
	s_and_saveexec_b64 s[8:9], s[12:13]
; %bb.7150:
	s_mov_b32 s10, 0x7f800001
	s_xor_b64 s[4:5], exec, -1
; %bb.7151:
	s_or_b64 exec, exec, s[8:9]
	s_and_b64 s[4:5], s[4:5], exec
	s_or_saveexec_b64 s[6:7], s[6:7]
	v_mov_b32_e32 v14, s10
	s_xor_b64 exec, exec, s[6:7]
	s_cbranch_execnz .LBB1_7152
; %bb.15335:
	s_getpc_b64 s[14:15]
.Lpost_getpc3571:
	s_add_u32 s14, s14, (.LBB1_3054-.Lpost_getpc3571)&4294967295
	s_addc_u32 s15, s15, (.LBB1_3054-.Lpost_getpc3571)>>32
	s_setpc_b64 s[14:15]
.LBB1_7152:
	v_mov_b32_e32 v14, 0
	v_cmp_ne_u16_sdwa s[8:9], v13, v14 src0_sel:BYTE_0 src1_sel:DWORD
	s_andn2_b64 s[4:5], s[4:5], exec
	s_and_b64 s[8:9], s[8:9], exec
	s_or_b64 s[4:5], s[4:5], s[8:9]
	s_or_b64 exec, exec, s[6:7]
	s_and_saveexec_b64 s[6:7], s[4:5]
	s_cbranch_execz .LBB1_9719
; %bb.15337:
	s_getpc_b64 s[14:15]
.Lpost_getpc3572:
	s_add_u32 s14, s14, (.LBB1_3055-.Lpost_getpc3572)&4294967295
	s_addc_u32 s15, s15, (.LBB1_3055-.Lpost_getpc3572)>>32
	s_setpc_b64 s[14:15]
.LBB1_9719:
	s_getpc_b64 s[14:15]
.Lpost_getpc763:
	s_add_u32 s14, s14, (.LBB1_3056-.Lpost_getpc763)&4294967295
	s_addc_u32 s15, s15, (.LBB1_3056-.Lpost_getpc763)>>32
	s_setpc_b64 s[14:15]
.LBB1_7153:
	s_movk_i32 s4, 0x80
	v_cmp_eq_u16_e32 vcc, s4, v13
	s_mov_b64 s[4:5], -1
                                        ; implicit-def: $sgpr10
	s_and_saveexec_b64 s[8:9], vcc
; %bb.7154:
	s_mov_b32 s10, 0x7f800001
	s_xor_b64 s[4:5], exec, -1
; %bb.7155:
	s_or_b64 exec, exec, s[8:9]
	s_and_b64 s[4:5], s[4:5], exec
                                        ; implicit-def: $vgpr13
	s_or_saveexec_b64 s[6:7], s[6:7]
	v_mov_b32_e32 v12, s10
	s_xor_b64 exec, exec, s[6:7]
	s_cbranch_execnz .LBB1_7156
; %bb.15339:
	s_getpc_b64 s[14:15]
.Lpost_getpc3573:
	s_add_u32 s14, s14, (.LBB1_3058-.Lpost_getpc3573)&4294967295
	s_addc_u32 s15, s15, (.LBB1_3058-.Lpost_getpc3573)>>32
	s_setpc_b64 s[14:15]
.LBB1_7156:
	v_cmp_ne_u16_e32 vcc, 0, v13
	s_andn2_b64 s[4:5], s[4:5], exec
	s_and_b64 s[8:9], vcc, exec
	v_mov_b32_e32 v12, 0
	s_or_b64 s[4:5], s[4:5], s[8:9]
	s_or_b64 exec, exec, s[6:7]
	s_and_saveexec_b64 s[6:7], s[4:5]
	s_cbranch_execz .LBB1_9721
; %bb.15341:
	s_getpc_b64 s[14:15]
.Lpost_getpc3574:
	s_add_u32 s14, s14, (.LBB1_3059-.Lpost_getpc3574)&4294967295
	s_addc_u32 s15, s15, (.LBB1_3059-.Lpost_getpc3574)>>32
	s_setpc_b64 s[14:15]
.LBB1_9721:
	s_getpc_b64 s[14:15]
.Lpost_getpc764:
	s_add_u32 s14, s14, (.LBB1_3060-.Lpost_getpc764)&4294967295
	s_addc_u32 s15, s15, (.LBB1_3060-.Lpost_getpc764)>>32
	s_setpc_b64 s[14:15]
.LBB1_7157:
	s_movk_i32 s4, 0x80
	v_cmp_eq_u16_e32 vcc, s4, v13
	s_mov_b64 s[4:5], -1
                                        ; implicit-def: $sgpr10
	s_and_saveexec_b64 s[8:9], vcc
; %bb.7158:
	s_mov_b32 s10, 0x7f800001
	s_xor_b64 s[4:5], exec, -1
; %bb.7159:
	s_or_b64 exec, exec, s[8:9]
	s_and_b64 s[4:5], s[4:5], exec
                                        ; implicit-def: $vgpr13
	s_or_saveexec_b64 s[6:7], s[6:7]
	v_mov_b32_e32 v14, s10
	s_xor_b64 exec, exec, s[6:7]
	s_cbranch_execnz .LBB1_7160
; %bb.15343:
	s_getpc_b64 s[14:15]
.Lpost_getpc3575:
	s_add_u32 s14, s14, (.LBB1_3062-.Lpost_getpc3575)&4294967295
	s_addc_u32 s15, s15, (.LBB1_3062-.Lpost_getpc3575)>>32
	s_setpc_b64 s[14:15]
.LBB1_7160:
	v_cmp_ne_u16_e32 vcc, 0, v13
	s_andn2_b64 s[4:5], s[4:5], exec
	s_and_b64 s[8:9], vcc, exec
	v_mov_b32_e32 v14, 0
	s_or_b64 s[4:5], s[4:5], s[8:9]
	s_or_b64 exec, exec, s[6:7]
	s_and_saveexec_b64 s[6:7], s[4:5]
	s_cbranch_execz .LBB1_9723
; %bb.15345:
	s_getpc_b64 s[14:15]
.Lpost_getpc3576:
	s_add_u32 s14, s14, (.LBB1_3063-.Lpost_getpc3576)&4294967295
	s_addc_u32 s15, s15, (.LBB1_3063-.Lpost_getpc3576)>>32
	s_setpc_b64 s[14:15]
.LBB1_9723:
	s_getpc_b64 s[14:15]
.Lpost_getpc765:
	s_add_u32 s14, s14, (.LBB1_3064-.Lpost_getpc765)&4294967295
	s_addc_u32 s15, s15, (.LBB1_3064-.Lpost_getpc765)>>32
	s_setpc_b64 s[14:15]
.LBB1_7161:
	s_movk_i32 s4, 0x80
	v_cmp_eq_u16_sdwa s[12:13], v19, s4 src0_sel:BYTE_3 src1_sel:DWORD
	s_mov_b64 s[4:5], -1
                                        ; implicit-def: $sgpr10
	s_and_saveexec_b64 s[8:9], s[12:13]
; %bb.7162:
	s_mov_b32 s10, 0x7f800001
	s_xor_b64 s[4:5], exec, -1
; %bb.7163:
	s_or_b64 exec, exec, s[8:9]
	s_and_b64 s[4:5], s[4:5], exec
	s_or_saveexec_b64 s[6:7], s[6:7]
	v_mov_b32_e32 v12, s10
	s_xor_b64 exec, exec, s[6:7]
	s_cbranch_execnz .LBB1_7164
; %bb.15347:
	s_getpc_b64 s[14:15]
.Lpost_getpc3577:
	s_add_u32 s14, s14, (.LBB1_3066-.Lpost_getpc3577)&4294967295
	s_addc_u32 s15, s15, (.LBB1_3066-.Lpost_getpc3577)>>32
	s_setpc_b64 s[14:15]
.LBB1_7164:
	v_mov_b32_e32 v12, 0
	v_cmp_ne_u16_sdwa s[8:9], v19, v12 src0_sel:BYTE_3 src1_sel:DWORD
	s_andn2_b64 s[4:5], s[4:5], exec
	s_and_b64 s[8:9], s[8:9], exec
	s_or_b64 s[4:5], s[4:5], s[8:9]
	s_or_b64 exec, exec, s[6:7]
	s_and_saveexec_b64 s[6:7], s[4:5]
	s_cbranch_execz .LBB1_9725
; %bb.15349:
	s_getpc_b64 s[14:15]
.Lpost_getpc3578:
	s_add_u32 s14, s14, (.LBB1_3067-.Lpost_getpc3578)&4294967295
	s_addc_u32 s15, s15, (.LBB1_3067-.Lpost_getpc3578)>>32
	s_setpc_b64 s[14:15]
.LBB1_9725:
	s_getpc_b64 s[14:15]
.Lpost_getpc766:
	s_add_u32 s14, s14, (.LBB1_3068-.Lpost_getpc766)&4294967295
	s_addc_u32 s15, s15, (.LBB1_3068-.Lpost_getpc766)>>32
	s_setpc_b64 s[14:15]
.LBB1_7165:
	s_movk_i32 s4, 0x80
	v_cmp_eq_u16_sdwa s[12:13], v15, s4 src0_sel:BYTE_3 src1_sel:DWORD
	s_mov_b64 s[4:5], -1
                                        ; implicit-def: $sgpr10
	s_and_saveexec_b64 s[8:9], s[12:13]
; %bb.7166:
	s_mov_b32 s10, 0x7f800001
	s_xor_b64 s[4:5], exec, -1
; %bb.7167:
	s_or_b64 exec, exec, s[8:9]
	s_and_b64 s[4:5], s[4:5], exec
	s_or_saveexec_b64 s[6:7], s[6:7]
	v_mov_b32_e32 v13, s10
	s_xor_b64 exec, exec, s[6:7]
	s_cbranch_execnz .LBB1_7168
; %bb.15351:
	s_getpc_b64 s[14:15]
.Lpost_getpc3579:
	s_add_u32 s14, s14, (.LBB1_3070-.Lpost_getpc3579)&4294967295
	s_addc_u32 s15, s15, (.LBB1_3070-.Lpost_getpc3579)>>32
	s_setpc_b64 s[14:15]
.LBB1_7168:
	v_mov_b32_e32 v13, 0
	v_cmp_ne_u16_sdwa s[8:9], v15, v13 src0_sel:BYTE_3 src1_sel:DWORD
	s_andn2_b64 s[4:5], s[4:5], exec
	s_and_b64 s[8:9], s[8:9], exec
	s_or_b64 s[4:5], s[4:5], s[8:9]
	s_or_b64 exec, exec, s[6:7]
	s_and_saveexec_b64 s[6:7], s[4:5]
	s_cbranch_execz .LBB1_9727
; %bb.15353:
	s_getpc_b64 s[14:15]
.Lpost_getpc3580:
	s_add_u32 s14, s14, (.LBB1_3071-.Lpost_getpc3580)&4294967295
	s_addc_u32 s15, s15, (.LBB1_3071-.Lpost_getpc3580)>>32
	s_setpc_b64 s[14:15]
.LBB1_9727:
	s_getpc_b64 s[14:15]
.Lpost_getpc767:
	s_add_u32 s14, s14, (.LBB1_3072-.Lpost_getpc767)&4294967295
	s_addc_u32 s15, s15, (.LBB1_3072-.Lpost_getpc767)>>32
	s_setpc_b64 s[14:15]
.LBB1_7169:
	s_movk_i32 s4, 0x80
	v_cmp_eq_u16_sdwa s[12:13], v16, s4 src0_sel:BYTE_0 src1_sel:DWORD
	s_mov_b64 s[4:5], -1
                                        ; implicit-def: $sgpr10
	s_and_saveexec_b64 s[8:9], s[12:13]
; %bb.7170:
	s_mov_b32 s10, 0x7f800001
	s_xor_b64 s[4:5], exec, -1
; %bb.7171:
	s_or_b64 exec, exec, s[8:9]
	s_and_b64 s[4:5], s[4:5], exec
	s_or_saveexec_b64 s[6:7], s[6:7]
	v_mov_b32_e32 v21, s10
	s_xor_b64 exec, exec, s[6:7]
	s_cbranch_execnz .LBB1_7172
; %bb.15355:
	s_getpc_b64 s[14:15]
.Lpost_getpc3581:
	s_add_u32 s14, s14, (.LBB1_3074-.Lpost_getpc3581)&4294967295
	s_addc_u32 s15, s15, (.LBB1_3074-.Lpost_getpc3581)>>32
	s_setpc_b64 s[14:15]
.LBB1_7172:
	v_mov_b32_e32 v21, 0
	v_cmp_ne_u16_sdwa s[8:9], v16, v21 src0_sel:BYTE_0 src1_sel:DWORD
	s_andn2_b64 s[4:5], s[4:5], exec
	s_and_b64 s[8:9], s[8:9], exec
	s_or_b64 s[4:5], s[4:5], s[8:9]
	s_or_b64 exec, exec, s[6:7]
	s_and_saveexec_b64 s[6:7], s[4:5]
	s_cbranch_execz .LBB1_9729
; %bb.15357:
	s_getpc_b64 s[14:15]
.Lpost_getpc3582:
	s_add_u32 s14, s14, (.LBB1_3075-.Lpost_getpc3582)&4294967295
	s_addc_u32 s15, s15, (.LBB1_3075-.Lpost_getpc3582)>>32
	s_setpc_b64 s[14:15]
.LBB1_9729:
	s_getpc_b64 s[14:15]
.Lpost_getpc768:
	s_add_u32 s14, s14, (.LBB1_3076-.Lpost_getpc768)&4294967295
	s_addc_u32 s15, s15, (.LBB1_3076-.Lpost_getpc768)>>32
	s_setpc_b64 s[14:15]
.LBB1_7173:
	s_movk_i32 s4, 0x80
	v_cmp_eq_u16_sdwa s[12:13], v12, s4 src0_sel:BYTE_0 src1_sel:DWORD
	s_mov_b64 s[4:5], -1
                                        ; implicit-def: $sgpr10
	s_and_saveexec_b64 s[8:9], s[12:13]
; %bb.7174:
	s_mov_b32 s10, 0x7f800001
	s_xor_b64 s[4:5], exec, -1
; %bb.7175:
	s_or_b64 exec, exec, s[8:9]
	s_and_b64 s[4:5], s[4:5], exec
	s_or_saveexec_b64 s[6:7], s[6:7]
	v_mov_b32_e32 v22, s10
	s_xor_b64 exec, exec, s[6:7]
	s_cbranch_execnz .LBB1_7176
; %bb.15359:
	s_getpc_b64 s[14:15]
.Lpost_getpc3583:
	s_add_u32 s14, s14, (.LBB1_3078-.Lpost_getpc3583)&4294967295
	s_addc_u32 s15, s15, (.LBB1_3078-.Lpost_getpc3583)>>32
	s_setpc_b64 s[14:15]
.LBB1_7176:
	v_mov_b32_e32 v22, 0
	v_cmp_ne_u16_sdwa s[8:9], v12, v22 src0_sel:BYTE_0 src1_sel:DWORD
	s_andn2_b64 s[4:5], s[4:5], exec
	s_and_b64 s[8:9], s[8:9], exec
	s_or_b64 s[4:5], s[4:5], s[8:9]
	s_or_b64 exec, exec, s[6:7]
	s_and_saveexec_b64 s[6:7], s[4:5]
	s_cbranch_execz .LBB1_9731
; %bb.15361:
	s_getpc_b64 s[14:15]
.Lpost_getpc3584:
	s_add_u32 s14, s14, (.LBB1_3079-.Lpost_getpc3584)&4294967295
	s_addc_u32 s15, s15, (.LBB1_3079-.Lpost_getpc3584)>>32
	s_setpc_b64 s[14:15]
.LBB1_9731:
	s_getpc_b64 s[14:15]
.Lpost_getpc769:
	s_add_u32 s14, s14, (.LBB1_3080-.Lpost_getpc769)&4294967295
	s_addc_u32 s15, s15, (.LBB1_3080-.Lpost_getpc769)>>32
	s_setpc_b64 s[14:15]
.LBB1_7177:
	s_movk_i32 s4, 0x80
	v_cmp_eq_u16_sdwa s[12:13], v22, s4 src0_sel:BYTE_0 src1_sel:DWORD
	s_mov_b64 s[4:5], -1
                                        ; implicit-def: $sgpr10
	s_and_saveexec_b64 s[8:9], s[12:13]
; %bb.7178:
	s_mov_b32 s10, 0x7f800001
	s_xor_b64 s[4:5], exec, -1
; %bb.7179:
	s_or_b64 exec, exec, s[8:9]
	s_and_b64 s[4:5], s[4:5], exec
	s_or_saveexec_b64 s[6:7], s[6:7]
	v_mov_b32_e32 v21, s10
	s_xor_b64 exec, exec, s[6:7]
	s_cbranch_execnz .LBB1_7180
; %bb.15363:
	s_getpc_b64 s[14:15]
.Lpost_getpc3585:
	s_add_u32 s14, s14, (.LBB1_3082-.Lpost_getpc3585)&4294967295
	s_addc_u32 s15, s15, (.LBB1_3082-.Lpost_getpc3585)>>32
	s_setpc_b64 s[14:15]
.LBB1_7180:
	v_mov_b32_e32 v21, 0
	v_cmp_ne_u16_sdwa s[8:9], v22, v21 src0_sel:BYTE_0 src1_sel:DWORD
	s_andn2_b64 s[4:5], s[4:5], exec
	s_and_b64 s[8:9], s[8:9], exec
	s_or_b64 s[4:5], s[4:5], s[8:9]
	s_or_b64 exec, exec, s[6:7]
	s_and_saveexec_b64 s[6:7], s[4:5]
	s_cbranch_execz .LBB1_9733
; %bb.15365:
	s_getpc_b64 s[14:15]
.Lpost_getpc3586:
	s_add_u32 s14, s14, (.LBB1_3083-.Lpost_getpc3586)&4294967295
	s_addc_u32 s15, s15, (.LBB1_3083-.Lpost_getpc3586)>>32
	s_setpc_b64 s[14:15]
.LBB1_9733:
	s_getpc_b64 s[14:15]
.Lpost_getpc770:
	s_add_u32 s14, s14, (.LBB1_3084-.Lpost_getpc770)&4294967295
	s_addc_u32 s15, s15, (.LBB1_3084-.Lpost_getpc770)>>32
	s_setpc_b64 s[14:15]
.LBB1_7181:
	s_movk_i32 s4, 0x80
	v_cmp_eq_u16_sdwa s[12:13], v22, s4 src0_sel:BYTE_0 src1_sel:DWORD
	s_mov_b64 s[4:5], -1
                                        ; implicit-def: $sgpr10
	s_and_saveexec_b64 s[8:9], s[12:13]
; %bb.7182:
	s_mov_b32 s10, 0x7f800001
	s_xor_b64 s[4:5], exec, -1
; %bb.7183:
	s_or_b64 exec, exec, s[8:9]
	s_and_b64 s[4:5], s[4:5], exec
	s_or_saveexec_b64 s[6:7], s[6:7]
	v_mov_b32_e32 v23, s10
	s_xor_b64 exec, exec, s[6:7]
	s_cbranch_execnz .LBB1_7184
; %bb.15367:
	s_getpc_b64 s[14:15]
.Lpost_getpc3587:
	s_add_u32 s14, s14, (.LBB1_3086-.Lpost_getpc3587)&4294967295
	s_addc_u32 s15, s15, (.LBB1_3086-.Lpost_getpc3587)>>32
	s_setpc_b64 s[14:15]
.LBB1_7184:
	v_mov_b32_e32 v23, 0
	v_cmp_ne_u16_sdwa s[8:9], v22, v23 src0_sel:BYTE_0 src1_sel:DWORD
	s_andn2_b64 s[4:5], s[4:5], exec
	s_and_b64 s[8:9], s[8:9], exec
	s_or_b64 s[4:5], s[4:5], s[8:9]
	s_or_b64 exec, exec, s[6:7]
	s_and_saveexec_b64 s[6:7], s[4:5]
	s_cbranch_execz .LBB1_9735
; %bb.15369:
	s_getpc_b64 s[14:15]
.Lpost_getpc3588:
	s_add_u32 s14, s14, (.LBB1_3087-.Lpost_getpc3588)&4294967295
	s_addc_u32 s15, s15, (.LBB1_3087-.Lpost_getpc3588)>>32
	s_setpc_b64 s[14:15]
.LBB1_9735:
	s_getpc_b64 s[14:15]
.Lpost_getpc771:
	s_add_u32 s14, s14, (.LBB1_3088-.Lpost_getpc771)&4294967295
	s_addc_u32 s15, s15, (.LBB1_3088-.Lpost_getpc771)>>32
	s_setpc_b64 s[14:15]
.LBB1_7185:
	s_movk_i32 s4, 0x80
	v_cmp_eq_u16_e32 vcc, s4, v22
	s_mov_b64 s[4:5], -1
                                        ; implicit-def: $sgpr10
	s_and_saveexec_b64 s[8:9], vcc
; %bb.7186:
	s_mov_b32 s10, 0x7f800001
	s_xor_b64 s[4:5], exec, -1
; %bb.7187:
	s_or_b64 exec, exec, s[8:9]
	s_and_b64 s[4:5], s[4:5], exec
                                        ; implicit-def: $vgpr22
	s_or_saveexec_b64 s[6:7], s[6:7]
	v_mov_b32_e32 v21, s10
	s_xor_b64 exec, exec, s[6:7]
	s_cbranch_execnz .LBB1_7188
; %bb.15371:
	s_getpc_b64 s[14:15]
.Lpost_getpc3589:
	s_add_u32 s14, s14, (.LBB1_3090-.Lpost_getpc3589)&4294967295
	s_addc_u32 s15, s15, (.LBB1_3090-.Lpost_getpc3589)>>32
	s_setpc_b64 s[14:15]
.LBB1_7188:
	v_cmp_ne_u16_e32 vcc, 0, v22
	s_andn2_b64 s[4:5], s[4:5], exec
	s_and_b64 s[8:9], vcc, exec
	v_mov_b32_e32 v21, 0
	s_or_b64 s[4:5], s[4:5], s[8:9]
	s_or_b64 exec, exec, s[6:7]
	s_and_saveexec_b64 s[6:7], s[4:5]
	s_cbranch_execz .LBB1_9737
; %bb.15373:
	s_getpc_b64 s[14:15]
.Lpost_getpc3590:
	s_add_u32 s14, s14, (.LBB1_3091-.Lpost_getpc3590)&4294967295
	s_addc_u32 s15, s15, (.LBB1_3091-.Lpost_getpc3590)>>32
	s_setpc_b64 s[14:15]
.LBB1_9737:
	s_getpc_b64 s[14:15]
.Lpost_getpc772:
	s_add_u32 s14, s14, (.LBB1_3092-.Lpost_getpc772)&4294967295
	s_addc_u32 s15, s15, (.LBB1_3092-.Lpost_getpc772)>>32
	s_setpc_b64 s[14:15]
.LBB1_7189:
	s_movk_i32 s4, 0x80
	v_cmp_eq_u16_e32 vcc, s4, v22
	s_mov_b64 s[4:5], -1
                                        ; implicit-def: $sgpr10
	s_and_saveexec_b64 s[8:9], vcc
; %bb.7190:
	s_mov_b32 s10, 0x7f800001
	s_xor_b64 s[4:5], exec, -1
; %bb.7191:
	s_or_b64 exec, exec, s[8:9]
	s_and_b64 s[4:5], s[4:5], exec
                                        ; implicit-def: $vgpr22
	s_or_saveexec_b64 s[6:7], s[6:7]
	v_mov_b32_e32 v23, s10
	s_xor_b64 exec, exec, s[6:7]
	s_cbranch_execnz .LBB1_7192
; %bb.15375:
	s_getpc_b64 s[14:15]
.Lpost_getpc3591:
	s_add_u32 s14, s14, (.LBB1_3094-.Lpost_getpc3591)&4294967295
	s_addc_u32 s15, s15, (.LBB1_3094-.Lpost_getpc3591)>>32
	s_setpc_b64 s[14:15]
.LBB1_7192:
	v_cmp_ne_u16_e32 vcc, 0, v22
	s_andn2_b64 s[4:5], s[4:5], exec
	s_and_b64 s[8:9], vcc, exec
	v_mov_b32_e32 v23, 0
	s_or_b64 s[4:5], s[4:5], s[8:9]
	s_or_b64 exec, exec, s[6:7]
	s_and_saveexec_b64 s[6:7], s[4:5]
	s_cbranch_execz .LBB1_9739
; %bb.15377:
	s_getpc_b64 s[14:15]
.Lpost_getpc3592:
	s_add_u32 s14, s14, (.LBB1_3095-.Lpost_getpc3592)&4294967295
	s_addc_u32 s15, s15, (.LBB1_3095-.Lpost_getpc3592)>>32
	s_setpc_b64 s[14:15]
.LBB1_9739:
	s_getpc_b64 s[14:15]
.Lpost_getpc773:
	s_add_u32 s14, s14, (.LBB1_3096-.Lpost_getpc773)&4294967295
	s_addc_u32 s15, s15, (.LBB1_3096-.Lpost_getpc773)>>32
	s_setpc_b64 s[14:15]
.LBB1_7193:
	s_movk_i32 s4, 0x80
	v_cmp_eq_u16_sdwa s[12:13], v16, s4 src0_sel:BYTE_3 src1_sel:DWORD
	s_mov_b64 s[4:5], -1
                                        ; implicit-def: $sgpr10
	s_and_saveexec_b64 s[8:9], s[12:13]
; %bb.7194:
	s_mov_b32 s10, 0x7f800001
	s_xor_b64 s[4:5], exec, -1
; %bb.7195:
	s_or_b64 exec, exec, s[8:9]
	s_and_b64 s[4:5], s[4:5], exec
	s_or_saveexec_b64 s[6:7], s[6:7]
	v_mov_b32_e32 v21, s10
	s_xor_b64 exec, exec, s[6:7]
	s_cbranch_execnz .LBB1_7196
; %bb.15379:
	s_getpc_b64 s[14:15]
.Lpost_getpc3593:
	s_add_u32 s14, s14, (.LBB1_3098-.Lpost_getpc3593)&4294967295
	s_addc_u32 s15, s15, (.LBB1_3098-.Lpost_getpc3593)>>32
	s_setpc_b64 s[14:15]
.LBB1_7196:
	v_mov_b32_e32 v21, 0
	v_cmp_ne_u16_sdwa s[8:9], v16, v21 src0_sel:BYTE_3 src1_sel:DWORD
	s_andn2_b64 s[4:5], s[4:5], exec
	s_and_b64 s[8:9], s[8:9], exec
	s_or_b64 s[4:5], s[4:5], s[8:9]
	s_or_b64 exec, exec, s[6:7]
	s_and_saveexec_b64 s[6:7], s[4:5]
	s_cbranch_execz .LBB1_9741
; %bb.15381:
	s_getpc_b64 s[14:15]
.Lpost_getpc3594:
	s_add_u32 s14, s14, (.LBB1_3099-.Lpost_getpc3594)&4294967295
	s_addc_u32 s15, s15, (.LBB1_3099-.Lpost_getpc3594)>>32
	s_setpc_b64 s[14:15]
.LBB1_9741:
	s_getpc_b64 s[14:15]
.Lpost_getpc774:
	s_add_u32 s14, s14, (.LBB1_3100-.Lpost_getpc774)&4294967295
	s_addc_u32 s15, s15, (.LBB1_3100-.Lpost_getpc774)>>32
	s_setpc_b64 s[14:15]
.LBB1_7197:
	s_movk_i32 s4, 0x80
	v_cmp_eq_u16_sdwa s[12:13], v12, s4 src0_sel:BYTE_3 src1_sel:DWORD
	s_mov_b64 s[4:5], -1
                                        ; implicit-def: $sgpr10
	s_and_saveexec_b64 s[8:9], s[12:13]
; %bb.7198:
	s_mov_b32 s10, 0x7f800001
	s_xor_b64 s[4:5], exec, -1
; %bb.7199:
	s_or_b64 exec, exec, s[8:9]
	s_and_b64 s[4:5], s[4:5], exec
	s_or_saveexec_b64 s[6:7], s[6:7]
	v_mov_b32_e32 v16, s10
	s_xor_b64 exec, exec, s[6:7]
	s_cbranch_execnz .LBB1_7200
; %bb.15383:
	s_getpc_b64 s[14:15]
.Lpost_getpc3595:
	s_add_u32 s14, s14, (.LBB1_3102-.Lpost_getpc3595)&4294967295
	s_addc_u32 s15, s15, (.LBB1_3102-.Lpost_getpc3595)>>32
	s_setpc_b64 s[14:15]
.LBB1_7200:
	v_mov_b32_e32 v16, 0
	v_cmp_ne_u16_sdwa s[8:9], v12, v16 src0_sel:BYTE_3 src1_sel:DWORD
	s_andn2_b64 s[4:5], s[4:5], exec
	s_and_b64 s[8:9], s[8:9], exec
	s_or_b64 s[4:5], s[4:5], s[8:9]
	s_or_b64 exec, exec, s[6:7]
	s_and_saveexec_b64 s[6:7], s[4:5]
	s_cbranch_execz .LBB1_9743
; %bb.15385:
	s_getpc_b64 s[14:15]
.Lpost_getpc3596:
	s_add_u32 s14, s14, (.LBB1_3103-.Lpost_getpc3596)&4294967295
	s_addc_u32 s15, s15, (.LBB1_3103-.Lpost_getpc3596)>>32
	s_setpc_b64 s[14:15]
.LBB1_9743:
	s_getpc_b64 s[14:15]
.Lpost_getpc775:
	s_add_u32 s14, s14, (.LBB1_3104-.Lpost_getpc775)&4294967295
	s_addc_u32 s15, s15, (.LBB1_3104-.Lpost_getpc775)>>32
	s_setpc_b64 s[14:15]
.LBB1_7201:
	s_movk_i32 s4, 0x80
	v_cmp_eq_u16_sdwa s[12:13], v17, s4 src0_sel:BYTE_0 src1_sel:DWORD
	s_mov_b64 s[4:5], -1
                                        ; implicit-def: $sgpr10
	s_and_saveexec_b64 s[8:9], s[12:13]
; %bb.7202:
	s_mov_b32 s10, 0x7f800001
	s_xor_b64 s[4:5], exec, -1
; %bb.7203:
	s_or_b64 exec, exec, s[8:9]
	s_and_b64 s[4:5], s[4:5], exec
	s_or_saveexec_b64 s[6:7], s[6:7]
	v_mov_b32_e32 v12, s10
	s_xor_b64 exec, exec, s[6:7]
	s_cbranch_execnz .LBB1_7204
; %bb.15387:
	s_getpc_b64 s[14:15]
.Lpost_getpc3597:
	s_add_u32 s14, s14, (.LBB1_3106-.Lpost_getpc3597)&4294967295
	s_addc_u32 s15, s15, (.LBB1_3106-.Lpost_getpc3597)>>32
	s_setpc_b64 s[14:15]
.LBB1_7204:
	v_mov_b32_e32 v12, 0
	v_cmp_ne_u16_sdwa s[8:9], v17, v12 src0_sel:BYTE_0 src1_sel:DWORD
	s_andn2_b64 s[4:5], s[4:5], exec
	s_and_b64 s[8:9], s[8:9], exec
	s_or_b64 s[4:5], s[4:5], s[8:9]
	s_or_b64 exec, exec, s[6:7]
	s_and_saveexec_b64 s[6:7], s[4:5]
	s_cbranch_execz .LBB1_9745
; %bb.15389:
	s_getpc_b64 s[14:15]
.Lpost_getpc3598:
	s_add_u32 s14, s14, (.LBB1_3107-.Lpost_getpc3598)&4294967295
	s_addc_u32 s15, s15, (.LBB1_3107-.Lpost_getpc3598)>>32
	s_setpc_b64 s[14:15]
.LBB1_9745:
	s_getpc_b64 s[14:15]
.Lpost_getpc776:
	s_add_u32 s14, s14, (.LBB1_3108-.Lpost_getpc776)&4294967295
	s_addc_u32 s15, s15, (.LBB1_3108-.Lpost_getpc776)>>32
	s_setpc_b64 s[14:15]
.LBB1_7205:
	s_movk_i32 s4, 0x80
	v_cmp_eq_u16_sdwa s[12:13], v13, s4 src0_sel:BYTE_0 src1_sel:DWORD
	s_mov_b64 s[4:5], -1
                                        ; implicit-def: $sgpr10
	s_and_saveexec_b64 s[8:9], s[12:13]
; %bb.7206:
	s_mov_b32 s10, 0x7f800001
	s_xor_b64 s[4:5], exec, -1
; %bb.7207:
	s_or_b64 exec, exec, s[8:9]
	s_and_b64 s[4:5], s[4:5], exec
	s_or_saveexec_b64 s[6:7], s[6:7]
	v_mov_b32_e32 v16, s10
	s_xor_b64 exec, exec, s[6:7]
	s_cbranch_execnz .LBB1_7208
; %bb.15391:
	s_getpc_b64 s[14:15]
.Lpost_getpc3599:
	s_add_u32 s14, s14, (.LBB1_3110-.Lpost_getpc3599)&4294967295
	s_addc_u32 s15, s15, (.LBB1_3110-.Lpost_getpc3599)>>32
	s_setpc_b64 s[14:15]
.LBB1_7208:
	v_mov_b32_e32 v16, 0
	v_cmp_ne_u16_sdwa s[8:9], v13, v16 src0_sel:BYTE_0 src1_sel:DWORD
	s_andn2_b64 s[4:5], s[4:5], exec
	s_and_b64 s[8:9], s[8:9], exec
	s_or_b64 s[4:5], s[4:5], s[8:9]
	s_or_b64 exec, exec, s[6:7]
	s_and_saveexec_b64 s[6:7], s[4:5]
	s_cbranch_execz .LBB1_9747
; %bb.15393:
	s_getpc_b64 s[14:15]
.Lpost_getpc3600:
	s_add_u32 s14, s14, (.LBB1_3111-.Lpost_getpc3600)&4294967295
	s_addc_u32 s15, s15, (.LBB1_3111-.Lpost_getpc3600)>>32
	s_setpc_b64 s[14:15]
.LBB1_9747:
	s_getpc_b64 s[14:15]
.Lpost_getpc777:
	s_add_u32 s14, s14, (.LBB1_3112-.Lpost_getpc777)&4294967295
	s_addc_u32 s15, s15, (.LBB1_3112-.Lpost_getpc777)>>32
	s_setpc_b64 s[14:15]
.LBB1_7209:
	s_movk_i32 s4, 0x80
	v_cmp_eq_u16_sdwa s[12:13], v16, s4 src0_sel:BYTE_0 src1_sel:DWORD
	s_mov_b64 s[4:5], -1
                                        ; implicit-def: $sgpr10
	s_and_saveexec_b64 s[8:9], s[12:13]
; %bb.7210:
	s_mov_b32 s10, 0x7f800001
	s_xor_b64 s[4:5], exec, -1
; %bb.7211:
	s_or_b64 exec, exec, s[8:9]
	s_and_b64 s[4:5], s[4:5], exec
	s_or_saveexec_b64 s[6:7], s[6:7]
	v_mov_b32_e32 v12, s10
	s_xor_b64 exec, exec, s[6:7]
	s_cbranch_execnz .LBB1_7212
; %bb.15395:
	s_getpc_b64 s[14:15]
.Lpost_getpc3601:
	s_add_u32 s14, s14, (.LBB1_3114-.Lpost_getpc3601)&4294967295
	s_addc_u32 s15, s15, (.LBB1_3114-.Lpost_getpc3601)>>32
	s_setpc_b64 s[14:15]
.LBB1_7212:
	v_mov_b32_e32 v12, 0
	v_cmp_ne_u16_sdwa s[8:9], v16, v12 src0_sel:BYTE_0 src1_sel:DWORD
	s_andn2_b64 s[4:5], s[4:5], exec
	s_and_b64 s[8:9], s[8:9], exec
	s_or_b64 s[4:5], s[4:5], s[8:9]
	s_or_b64 exec, exec, s[6:7]
	s_and_saveexec_b64 s[6:7], s[4:5]
	s_cbranch_execz .LBB1_9749
; %bb.15397:
	s_getpc_b64 s[14:15]
.Lpost_getpc3602:
	s_add_u32 s14, s14, (.LBB1_3115-.Lpost_getpc3602)&4294967295
	s_addc_u32 s15, s15, (.LBB1_3115-.Lpost_getpc3602)>>32
	s_setpc_b64 s[14:15]
.LBB1_9749:
	s_getpc_b64 s[14:15]
.Lpost_getpc778:
	s_add_u32 s14, s14, (.LBB1_3116-.Lpost_getpc778)&4294967295
	s_addc_u32 s15, s15, (.LBB1_3116-.Lpost_getpc778)>>32
	s_setpc_b64 s[14:15]
.LBB1_7213:
	s_movk_i32 s4, 0x80
	v_cmp_eq_u16_sdwa s[12:13], v16, s4 src0_sel:BYTE_0 src1_sel:DWORD
	s_mov_b64 s[4:5], -1
                                        ; implicit-def: $sgpr10
	s_and_saveexec_b64 s[8:9], s[12:13]
; %bb.7214:
	s_mov_b32 s10, 0x7f800001
	s_xor_b64 s[4:5], exec, -1
; %bb.7215:
	s_or_b64 exec, exec, s[8:9]
	s_and_b64 s[4:5], s[4:5], exec
	s_or_saveexec_b64 s[6:7], s[6:7]
	v_mov_b32_e32 v21, s10
	s_xor_b64 exec, exec, s[6:7]
	s_cbranch_execnz .LBB1_7216
; %bb.15399:
	s_getpc_b64 s[14:15]
.Lpost_getpc3603:
	s_add_u32 s14, s14, (.LBB1_3118-.Lpost_getpc3603)&4294967295
	s_addc_u32 s15, s15, (.LBB1_3118-.Lpost_getpc3603)>>32
	s_setpc_b64 s[14:15]
.LBB1_7216:
	v_mov_b32_e32 v21, 0
	v_cmp_ne_u16_sdwa s[8:9], v16, v21 src0_sel:BYTE_0 src1_sel:DWORD
	s_andn2_b64 s[4:5], s[4:5], exec
	s_and_b64 s[8:9], s[8:9], exec
	s_or_b64 s[4:5], s[4:5], s[8:9]
	s_or_b64 exec, exec, s[6:7]
	s_and_saveexec_b64 s[6:7], s[4:5]
	s_cbranch_execz .LBB1_9751
; %bb.15401:
	s_getpc_b64 s[14:15]
.Lpost_getpc3604:
	s_add_u32 s14, s14, (.LBB1_3119-.Lpost_getpc3604)&4294967295
	s_addc_u32 s15, s15, (.LBB1_3119-.Lpost_getpc3604)>>32
	s_setpc_b64 s[14:15]
.LBB1_9751:
	s_getpc_b64 s[14:15]
.Lpost_getpc779:
	s_add_u32 s14, s14, (.LBB1_3120-.Lpost_getpc779)&4294967295
	s_addc_u32 s15, s15, (.LBB1_3120-.Lpost_getpc779)>>32
	s_setpc_b64 s[14:15]
.LBB1_7217:
	s_movk_i32 s4, 0x80
	v_cmp_eq_u16_e32 vcc, s4, v16
	s_mov_b64 s[4:5], -1
                                        ; implicit-def: $sgpr10
	s_and_saveexec_b64 s[8:9], vcc
; %bb.7218:
	s_mov_b32 s10, 0x7f800001
	s_xor_b64 s[4:5], exec, -1
; %bb.7219:
	s_or_b64 exec, exec, s[8:9]
	s_and_b64 s[4:5], s[4:5], exec
                                        ; implicit-def: $vgpr16
	s_or_saveexec_b64 s[6:7], s[6:7]
	v_mov_b32_e32 v12, s10
	s_xor_b64 exec, exec, s[6:7]
	s_cbranch_execnz .LBB1_7220
; %bb.15403:
	s_getpc_b64 s[14:15]
.Lpost_getpc3605:
	s_add_u32 s14, s14, (.LBB1_3122-.Lpost_getpc3605)&4294967295
	s_addc_u32 s15, s15, (.LBB1_3122-.Lpost_getpc3605)>>32
	s_setpc_b64 s[14:15]
.LBB1_7220:
	v_cmp_ne_u16_e32 vcc, 0, v16
	s_andn2_b64 s[4:5], s[4:5], exec
	s_and_b64 s[8:9], vcc, exec
	v_mov_b32_e32 v12, 0
	s_or_b64 s[4:5], s[4:5], s[8:9]
	s_or_b64 exec, exec, s[6:7]
	s_and_saveexec_b64 s[6:7], s[4:5]
	s_cbranch_execz .LBB1_9753
; %bb.15405:
	s_getpc_b64 s[14:15]
.Lpost_getpc3606:
	s_add_u32 s14, s14, (.LBB1_3123-.Lpost_getpc3606)&4294967295
	s_addc_u32 s15, s15, (.LBB1_3123-.Lpost_getpc3606)>>32
	s_setpc_b64 s[14:15]
.LBB1_9753:
	s_getpc_b64 s[14:15]
.Lpost_getpc780:
	s_add_u32 s14, s14, (.LBB1_3124-.Lpost_getpc780)&4294967295
	s_addc_u32 s15, s15, (.LBB1_3124-.Lpost_getpc780)>>32
	s_setpc_b64 s[14:15]
.LBB1_7221:
	s_movk_i32 s4, 0x80
	v_cmp_eq_u16_e32 vcc, s4, v16
	s_mov_b64 s[4:5], -1
                                        ; implicit-def: $sgpr10
	s_and_saveexec_b64 s[8:9], vcc
; %bb.7222:
	s_mov_b32 s10, 0x7f800001
	s_xor_b64 s[4:5], exec, -1
; %bb.7223:
	s_or_b64 exec, exec, s[8:9]
	s_and_b64 s[4:5], s[4:5], exec
                                        ; implicit-def: $vgpr16
	s_or_saveexec_b64 s[6:7], s[6:7]
	v_mov_b32_e32 v21, s10
	s_xor_b64 exec, exec, s[6:7]
	s_cbranch_execnz .LBB1_7224
; %bb.15407:
	s_getpc_b64 s[14:15]
.Lpost_getpc3607:
	s_add_u32 s14, s14, (.LBB1_3126-.Lpost_getpc3607)&4294967295
	s_addc_u32 s15, s15, (.LBB1_3126-.Lpost_getpc3607)>>32
	s_setpc_b64 s[14:15]
.LBB1_7224:
	v_cmp_ne_u16_e32 vcc, 0, v16
	s_andn2_b64 s[4:5], s[4:5], exec
	s_and_b64 s[8:9], vcc, exec
	v_mov_b32_e32 v21, 0
	s_or_b64 s[4:5], s[4:5], s[8:9]
	s_or_b64 exec, exec, s[6:7]
	s_and_saveexec_b64 s[6:7], s[4:5]
	s_cbranch_execz .LBB1_9755
; %bb.15409:
	s_getpc_b64 s[14:15]
.Lpost_getpc3608:
	s_add_u32 s14, s14, (.LBB1_3127-.Lpost_getpc3608)&4294967295
	s_addc_u32 s15, s15, (.LBB1_3127-.Lpost_getpc3608)>>32
	s_setpc_b64 s[14:15]
.LBB1_9755:
	s_getpc_b64 s[14:15]
.Lpost_getpc781:
	s_add_u32 s14, s14, (.LBB1_3128-.Lpost_getpc781)&4294967295
	s_addc_u32 s15, s15, (.LBB1_3128-.Lpost_getpc781)>>32
	s_setpc_b64 s[14:15]
.LBB1_7225:
	s_movk_i32 s4, 0x80
	v_cmp_eq_u16_sdwa s[12:13], v17, s4 src0_sel:BYTE_3 src1_sel:DWORD
	s_mov_b64 s[4:5], -1
                                        ; implicit-def: $sgpr10
	s_and_saveexec_b64 s[8:9], s[12:13]
; %bb.7226:
	s_mov_b32 s10, 0x7f800001
	s_xor_b64 s[4:5], exec, -1
; %bb.7227:
	s_or_b64 exec, exec, s[8:9]
	s_and_b64 s[4:5], s[4:5], exec
	s_or_saveexec_b64 s[6:7], s[6:7]
	v_mov_b32_e32 v12, s10
	s_xor_b64 exec, exec, s[6:7]
	s_cbranch_execnz .LBB1_7228
; %bb.15411:
	s_getpc_b64 s[14:15]
.Lpost_getpc3609:
	s_add_u32 s14, s14, (.LBB1_3130-.Lpost_getpc3609)&4294967295
	s_addc_u32 s15, s15, (.LBB1_3130-.Lpost_getpc3609)>>32
	s_setpc_b64 s[14:15]
.LBB1_7228:
	v_mov_b32_e32 v12, 0
	v_cmp_ne_u16_sdwa s[8:9], v17, v12 src0_sel:BYTE_3 src1_sel:DWORD
	s_andn2_b64 s[4:5], s[4:5], exec
	s_and_b64 s[8:9], s[8:9], exec
	s_or_b64 s[4:5], s[4:5], s[8:9]
	s_or_b64 exec, exec, s[6:7]
	s_and_saveexec_b64 s[6:7], s[4:5]
	s_cbranch_execz .LBB1_9757
; %bb.15413:
	s_getpc_b64 s[14:15]
.Lpost_getpc3610:
	s_add_u32 s14, s14, (.LBB1_3131-.Lpost_getpc3610)&4294967295
	s_addc_u32 s15, s15, (.LBB1_3131-.Lpost_getpc3610)>>32
	s_setpc_b64 s[14:15]
.LBB1_9757:
	s_getpc_b64 s[14:15]
.Lpost_getpc782:
	s_add_u32 s14, s14, (.LBB1_3132-.Lpost_getpc782)&4294967295
	s_addc_u32 s15, s15, (.LBB1_3132-.Lpost_getpc782)>>32
	s_setpc_b64 s[14:15]
.LBB1_7229:
	s_movk_i32 s4, 0x80
	v_cmp_eq_u16_sdwa s[12:13], v13, s4 src0_sel:BYTE_3 src1_sel:DWORD
	s_mov_b64 s[4:5], -1
                                        ; implicit-def: $sgpr10
	s_and_saveexec_b64 s[8:9], s[12:13]
; %bb.7230:
	s_mov_b32 s10, 0x7f800001
	s_xor_b64 s[4:5], exec, -1
; %bb.7231:
	s_or_b64 exec, exec, s[8:9]
	s_and_b64 s[4:5], s[4:5], exec
	s_or_saveexec_b64 s[6:7], s[6:7]
	v_mov_b32_e32 v16, s10
	s_xor_b64 exec, exec, s[6:7]
	s_cbranch_execnz .LBB1_7232
; %bb.15415:
	s_getpc_b64 s[14:15]
.Lpost_getpc3611:
	s_add_u32 s14, s14, (.LBB1_3134-.Lpost_getpc3611)&4294967295
	s_addc_u32 s15, s15, (.LBB1_3134-.Lpost_getpc3611)>>32
	s_setpc_b64 s[14:15]
.LBB1_7232:
	v_mov_b32_e32 v16, 0
	v_cmp_ne_u16_sdwa s[8:9], v13, v16 src0_sel:BYTE_3 src1_sel:DWORD
	s_andn2_b64 s[4:5], s[4:5], exec
	s_and_b64 s[8:9], s[8:9], exec
	s_or_b64 s[4:5], s[4:5], s[8:9]
	s_or_b64 exec, exec, s[6:7]
	s_and_saveexec_b64 s[6:7], s[4:5]
	s_cbranch_execz .LBB1_9759
; %bb.15417:
	s_getpc_b64 s[14:15]
.Lpost_getpc3612:
	s_add_u32 s14, s14, (.LBB1_3135-.Lpost_getpc3612)&4294967295
	s_addc_u32 s15, s15, (.LBB1_3135-.Lpost_getpc3612)>>32
	s_setpc_b64 s[14:15]
.LBB1_9759:
	s_getpc_b64 s[14:15]
.Lpost_getpc783:
	s_add_u32 s14, s14, (.LBB1_3136-.Lpost_getpc783)&4294967295
	s_addc_u32 s15, s15, (.LBB1_3136-.Lpost_getpc783)>>32
	s_setpc_b64 s[14:15]
.LBB1_7233:
	s_movk_i32 s4, 0x80
	v_cmp_eq_u16_sdwa s[12:13], v18, s4 src0_sel:BYTE_0 src1_sel:DWORD
	s_mov_b64 s[4:5], -1
                                        ; implicit-def: $sgpr10
	s_and_saveexec_b64 s[8:9], s[12:13]
; %bb.7234:
	s_mov_b32 s10, 0x7f800001
	s_xor_b64 s[4:5], exec, -1
; %bb.7235:
	s_or_b64 exec, exec, s[8:9]
	s_and_b64 s[4:5], s[4:5], exec
	s_or_saveexec_b64 s[6:7], s[6:7]
	v_mov_b32_e32 v13, s10
	s_xor_b64 exec, exec, s[6:7]
	s_cbranch_execnz .LBB1_7236
; %bb.15419:
	s_getpc_b64 s[14:15]
.Lpost_getpc3613:
	s_add_u32 s14, s14, (.LBB1_3138-.Lpost_getpc3613)&4294967295
	s_addc_u32 s15, s15, (.LBB1_3138-.Lpost_getpc3613)>>32
	s_setpc_b64 s[14:15]
.LBB1_7236:
	v_mov_b32_e32 v13, 0
	v_cmp_ne_u16_sdwa s[8:9], v18, v13 src0_sel:BYTE_0 src1_sel:DWORD
	s_andn2_b64 s[4:5], s[4:5], exec
	s_and_b64 s[8:9], s[8:9], exec
	s_or_b64 s[4:5], s[4:5], s[8:9]
	s_or_b64 exec, exec, s[6:7]
	s_and_saveexec_b64 s[6:7], s[4:5]
	s_cbranch_execz .LBB1_9761
; %bb.15421:
	s_getpc_b64 s[14:15]
.Lpost_getpc3614:
	s_add_u32 s14, s14, (.LBB1_3139-.Lpost_getpc3614)&4294967295
	s_addc_u32 s15, s15, (.LBB1_3139-.Lpost_getpc3614)>>32
	s_setpc_b64 s[14:15]
.LBB1_9761:
	s_getpc_b64 s[14:15]
.Lpost_getpc784:
	s_add_u32 s14, s14, (.LBB1_3140-.Lpost_getpc784)&4294967295
	s_addc_u32 s15, s15, (.LBB1_3140-.Lpost_getpc784)>>32
	s_setpc_b64 s[14:15]
.LBB1_7237:
	s_movk_i32 s4, 0x80
	v_cmp_eq_u16_sdwa s[12:13], v16, s4 src0_sel:BYTE_0 src1_sel:DWORD
	s_mov_b64 s[4:5], -1
                                        ; implicit-def: $sgpr10
	s_and_saveexec_b64 s[8:9], s[12:13]
; %bb.7238:
	s_mov_b32 s10, 0x7f800001
	s_xor_b64 s[4:5], exec, -1
; %bb.7239:
	s_or_b64 exec, exec, s[8:9]
	s_and_b64 s[4:5], s[4:5], exec
	s_or_saveexec_b64 s[6:7], s[6:7]
	v_mov_b32_e32 v14, s10
	s_xor_b64 exec, exec, s[6:7]
	s_cbranch_execnz .LBB1_7240
; %bb.15423:
	s_getpc_b64 s[14:15]
.Lpost_getpc3615:
	s_add_u32 s14, s14, (.LBB1_3142-.Lpost_getpc3615)&4294967295
	s_addc_u32 s15, s15, (.LBB1_3142-.Lpost_getpc3615)>>32
	s_setpc_b64 s[14:15]
.LBB1_7240:
	v_mov_b32_e32 v14, 0
	v_cmp_ne_u16_sdwa s[8:9], v16, v14 src0_sel:BYTE_0 src1_sel:DWORD
	s_andn2_b64 s[4:5], s[4:5], exec
	s_and_b64 s[8:9], s[8:9], exec
	s_or_b64 s[4:5], s[4:5], s[8:9]
	s_or_b64 exec, exec, s[6:7]
	v_or_b32_sdwa v12, v16, v12 dst_sel:DWORD dst_unused:UNUSED_PAD src0_sel:WORD_0 src1_sel:DWORD
	s_and_saveexec_b64 s[6:7], s[4:5]
	s_cbranch_execz .LBB1_9763
; %bb.15425:
	s_getpc_b64 s[14:15]
.Lpost_getpc3616:
	s_add_u32 s14, s14, (.LBB1_3143-.Lpost_getpc3616)&4294967295
	s_addc_u32 s15, s15, (.LBB1_3143-.Lpost_getpc3616)>>32
	s_setpc_b64 s[14:15]
.LBB1_9763:
	s_getpc_b64 s[14:15]
.Lpost_getpc785:
	s_add_u32 s14, s14, (.LBB1_3144-.Lpost_getpc785)&4294967295
	s_addc_u32 s15, s15, (.LBB1_3144-.Lpost_getpc785)>>32
	s_setpc_b64 s[14:15]
.LBB1_7241:
	s_movk_i32 s4, 0x80
	v_cmp_eq_u16_sdwa s[12:13], v14, s4 src0_sel:BYTE_0 src1_sel:DWORD
	s_mov_b64 s[4:5], -1
                                        ; implicit-def: $sgpr10
	s_and_saveexec_b64 s[8:9], s[12:13]
; %bb.7242:
	s_mov_b32 s10, 0x7f800001
	s_xor_b64 s[4:5], exec, -1
; %bb.7243:
	s_or_b64 exec, exec, s[8:9]
	s_and_b64 s[4:5], s[4:5], exec
	s_or_saveexec_b64 s[6:7], s[6:7]
	v_mov_b32_e32 v13, s10
	s_xor_b64 exec, exec, s[6:7]
	s_cbranch_execnz .LBB1_7244
; %bb.15427:
	s_getpc_b64 s[14:15]
.Lpost_getpc3617:
	s_add_u32 s14, s14, (.LBB1_3146-.Lpost_getpc3617)&4294967295
	s_addc_u32 s15, s15, (.LBB1_3146-.Lpost_getpc3617)>>32
	s_setpc_b64 s[14:15]
.LBB1_7244:
	v_mov_b32_e32 v13, 0
	v_cmp_ne_u16_sdwa s[8:9], v14, v13 src0_sel:BYTE_0 src1_sel:DWORD
	s_andn2_b64 s[4:5], s[4:5], exec
	s_and_b64 s[8:9], s[8:9], exec
	s_or_b64 s[4:5], s[4:5], s[8:9]
	s_or_b64 exec, exec, s[6:7]
	s_and_saveexec_b64 s[6:7], s[4:5]
	s_cbranch_execz .LBB1_9765
; %bb.15429:
	s_getpc_b64 s[14:15]
.Lpost_getpc3618:
	s_add_u32 s14, s14, (.LBB1_3147-.Lpost_getpc3618)&4294967295
	s_addc_u32 s15, s15, (.LBB1_3147-.Lpost_getpc3618)>>32
	s_setpc_b64 s[14:15]
.LBB1_9765:
	s_getpc_b64 s[14:15]
.Lpost_getpc786:
	s_add_u32 s14, s14, (.LBB1_3148-.Lpost_getpc786)&4294967295
	s_addc_u32 s15, s15, (.LBB1_3148-.Lpost_getpc786)>>32
	s_setpc_b64 s[14:15]
.LBB1_7245:
	s_movk_i32 s4, 0x80
	v_cmp_eq_u16_sdwa s[12:13], v14, s4 src0_sel:BYTE_0 src1_sel:DWORD
	s_mov_b64 s[4:5], -1
                                        ; implicit-def: $sgpr10
	s_and_saveexec_b64 s[8:9], s[12:13]
; %bb.7246:
	s_mov_b32 s10, 0x7f800001
	s_xor_b64 s[4:5], exec, -1
; %bb.7247:
	s_or_b64 exec, exec, s[8:9]
	s_and_b64 s[4:5], s[4:5], exec
	s_or_saveexec_b64 s[6:7], s[6:7]
	v_mov_b32_e32 v16, s10
	s_xor_b64 exec, exec, s[6:7]
	s_cbranch_execnz .LBB1_7248
; %bb.15431:
	s_getpc_b64 s[14:15]
.Lpost_getpc3619:
	s_add_u32 s14, s14, (.LBB1_3150-.Lpost_getpc3619)&4294967295
	s_addc_u32 s15, s15, (.LBB1_3150-.Lpost_getpc3619)>>32
	s_setpc_b64 s[14:15]
.LBB1_7248:
	v_mov_b32_e32 v16, 0
	v_cmp_ne_u16_sdwa s[8:9], v14, v16 src0_sel:BYTE_0 src1_sel:DWORD
	s_andn2_b64 s[4:5], s[4:5], exec
	s_and_b64 s[8:9], s[8:9], exec
	s_or_b64 s[4:5], s[4:5], s[8:9]
	s_or_b64 exec, exec, s[6:7]
	s_and_saveexec_b64 s[6:7], s[4:5]
	s_cbranch_execz .LBB1_9767
; %bb.15433:
	s_getpc_b64 s[14:15]
.Lpost_getpc3620:
	s_add_u32 s14, s14, (.LBB1_3151-.Lpost_getpc3620)&4294967295
	s_addc_u32 s15, s15, (.LBB1_3151-.Lpost_getpc3620)>>32
	s_setpc_b64 s[14:15]
.LBB1_9767:
	s_getpc_b64 s[14:15]
.Lpost_getpc787:
	s_add_u32 s14, s14, (.LBB1_3152-.Lpost_getpc787)&4294967295
	s_addc_u32 s15, s15, (.LBB1_3152-.Lpost_getpc787)>>32
	s_setpc_b64 s[14:15]
.LBB1_7249:
	s_movk_i32 s4, 0x80
	v_cmp_eq_u16_e32 vcc, s4, v14
	s_mov_b64 s[4:5], -1
                                        ; implicit-def: $sgpr10
	s_and_saveexec_b64 s[8:9], vcc
; %bb.7250:
	s_mov_b32 s10, 0x7f800001
	s_xor_b64 s[4:5], exec, -1
; %bb.7251:
	s_or_b64 exec, exec, s[8:9]
	s_and_b64 s[4:5], s[4:5], exec
                                        ; implicit-def: $vgpr14
	s_or_saveexec_b64 s[6:7], s[6:7]
	v_mov_b32_e32 v13, s10
	s_xor_b64 exec, exec, s[6:7]
	s_cbranch_execnz .LBB1_7252
; %bb.15435:
	s_getpc_b64 s[14:15]
.Lpost_getpc3621:
	s_add_u32 s14, s14, (.LBB1_3154-.Lpost_getpc3621)&4294967295
	s_addc_u32 s15, s15, (.LBB1_3154-.Lpost_getpc3621)>>32
	s_setpc_b64 s[14:15]
.LBB1_7252:
	v_cmp_ne_u16_e32 vcc, 0, v14
	s_andn2_b64 s[4:5], s[4:5], exec
	s_and_b64 s[8:9], vcc, exec
	v_mov_b32_e32 v13, 0
	s_or_b64 s[4:5], s[4:5], s[8:9]
	s_or_b64 exec, exec, s[6:7]
	s_and_saveexec_b64 s[6:7], s[4:5]
	s_cbranch_execz .LBB1_9769
; %bb.15437:
	s_getpc_b64 s[14:15]
.Lpost_getpc3622:
	s_add_u32 s14, s14, (.LBB1_3155-.Lpost_getpc3622)&4294967295
	s_addc_u32 s15, s15, (.LBB1_3155-.Lpost_getpc3622)>>32
	s_setpc_b64 s[14:15]
.LBB1_9769:
	s_getpc_b64 s[14:15]
.Lpost_getpc788:
	s_add_u32 s14, s14, (.LBB1_3156-.Lpost_getpc788)&4294967295
	s_addc_u32 s15, s15, (.LBB1_3156-.Lpost_getpc788)>>32
	s_setpc_b64 s[14:15]
.LBB1_7253:
	s_movk_i32 s4, 0x80
	v_cmp_eq_u16_e32 vcc, s4, v14
	s_mov_b64 s[4:5], -1
                                        ; implicit-def: $sgpr10
	s_and_saveexec_b64 s[8:9], vcc
; %bb.7254:
	s_mov_b32 s10, 0x7f800001
	s_xor_b64 s[4:5], exec, -1
; %bb.7255:
	s_or_b64 exec, exec, s[8:9]
	s_and_b64 s[4:5], s[4:5], exec
                                        ; implicit-def: $vgpr14
	s_or_saveexec_b64 s[6:7], s[6:7]
	v_mov_b32_e32 v16, s10
	s_xor_b64 exec, exec, s[6:7]
	s_cbranch_execnz .LBB1_7256
; %bb.15439:
	s_getpc_b64 s[14:15]
.Lpost_getpc3623:
	s_add_u32 s14, s14, (.LBB1_3158-.Lpost_getpc3623)&4294967295
	s_addc_u32 s15, s15, (.LBB1_3158-.Lpost_getpc3623)>>32
	s_setpc_b64 s[14:15]
.LBB1_7256:
	v_cmp_ne_u16_e32 vcc, 0, v14
	s_andn2_b64 s[4:5], s[4:5], exec
	s_and_b64 s[8:9], vcc, exec
	v_mov_b32_e32 v16, 0
	s_or_b64 s[4:5], s[4:5], s[8:9]
	s_or_b64 exec, exec, s[6:7]
	s_and_saveexec_b64 s[6:7], s[4:5]
	s_cbranch_execz .LBB1_9771
; %bb.15441:
	s_getpc_b64 s[14:15]
.Lpost_getpc3624:
	s_add_u32 s14, s14, (.LBB1_3159-.Lpost_getpc3624)&4294967295
	s_addc_u32 s15, s15, (.LBB1_3159-.Lpost_getpc3624)>>32
	s_setpc_b64 s[14:15]
.LBB1_9771:
	s_getpc_b64 s[14:15]
.Lpost_getpc789:
	s_add_u32 s14, s14, (.LBB1_3160-.Lpost_getpc789)&4294967295
	s_addc_u32 s15, s15, (.LBB1_3160-.Lpost_getpc789)>>32
	s_setpc_b64 s[14:15]
.LBB1_7257:
	s_movk_i32 s4, 0x80
	v_cmp_eq_u16_sdwa s[12:13], v18, s4 src0_sel:BYTE_3 src1_sel:DWORD
	s_mov_b64 s[4:5], -1
                                        ; implicit-def: $sgpr10
	s_and_saveexec_b64 s[8:9], s[12:13]
; %bb.7258:
	s_mov_b32 s10, 0x7f800001
	s_xor_b64 s[4:5], exec, -1
; %bb.7259:
	s_or_b64 exec, exec, s[8:9]
	s_and_b64 s[4:5], s[4:5], exec
	s_or_saveexec_b64 s[6:7], s[6:7]
	v_mov_b32_e32 v13, s10
	s_xor_b64 exec, exec, s[6:7]
	s_cbranch_execnz .LBB1_7260
; %bb.15443:
	s_getpc_b64 s[14:15]
.Lpost_getpc3625:
	s_add_u32 s14, s14, (.LBB1_3162-.Lpost_getpc3625)&4294967295
	s_addc_u32 s15, s15, (.LBB1_3162-.Lpost_getpc3625)>>32
	s_setpc_b64 s[14:15]
.LBB1_7260:
	v_mov_b32_e32 v13, 0
	v_cmp_ne_u16_sdwa s[8:9], v18, v13 src0_sel:BYTE_3 src1_sel:DWORD
	s_andn2_b64 s[4:5], s[4:5], exec
	s_and_b64 s[8:9], s[8:9], exec
	s_or_b64 s[4:5], s[4:5], s[8:9]
	s_or_b64 exec, exec, s[6:7]
	s_and_saveexec_b64 s[6:7], s[4:5]
	s_cbranch_execz .LBB1_9773
; %bb.15445:
	s_getpc_b64 s[14:15]
.Lpost_getpc3626:
	s_add_u32 s14, s14, (.LBB1_3163-.Lpost_getpc3626)&4294967295
	s_addc_u32 s15, s15, (.LBB1_3163-.Lpost_getpc3626)>>32
	s_setpc_b64 s[14:15]
.LBB1_9773:
	s_getpc_b64 s[14:15]
.Lpost_getpc790:
	s_add_u32 s14, s14, (.LBB1_3164-.Lpost_getpc790)&4294967295
	s_addc_u32 s15, s15, (.LBB1_3164-.Lpost_getpc790)>>32
	s_setpc_b64 s[14:15]
.LBB1_7261:
	s_movk_i32 s4, 0x80
	v_cmp_eq_u16_sdwa s[12:13], v12, s4 src0_sel:BYTE_3 src1_sel:DWORD
	s_mov_b64 s[4:5], -1
                                        ; implicit-def: $sgpr10
	s_and_saveexec_b64 s[8:9], s[12:13]
; %bb.7262:
	s_mov_b32 s10, 0x7f800001
	s_xor_b64 s[4:5], exec, -1
; %bb.7263:
	s_or_b64 exec, exec, s[8:9]
	s_and_b64 s[4:5], s[4:5], exec
	s_or_saveexec_b64 s[6:7], s[6:7]
	v_mov_b32_e32 v14, s10
	s_xor_b64 exec, exec, s[6:7]
	s_cbranch_execnz .LBB1_7264
; %bb.15447:
	s_getpc_b64 s[14:15]
.Lpost_getpc3627:
	s_add_u32 s14, s14, (.LBB1_3166-.Lpost_getpc3627)&4294967295
	s_addc_u32 s15, s15, (.LBB1_3166-.Lpost_getpc3627)>>32
	s_setpc_b64 s[14:15]
.LBB1_7264:
	v_mov_b32_e32 v14, 0
	v_cmp_ne_u16_sdwa s[8:9], v12, v14 src0_sel:BYTE_3 src1_sel:DWORD
	s_andn2_b64 s[4:5], s[4:5], exec
	s_and_b64 s[8:9], s[8:9], exec
	s_or_b64 s[4:5], s[4:5], s[8:9]
	s_or_b64 exec, exec, s[6:7]
	s_and_saveexec_b64 s[6:7], s[4:5]
	s_cbranch_execz .LBB1_9775
; %bb.15449:
	s_getpc_b64 s[14:15]
.Lpost_getpc3628:
	s_add_u32 s14, s14, (.LBB1_3167-.Lpost_getpc3628)&4294967295
	s_addc_u32 s15, s15, (.LBB1_3167-.Lpost_getpc3628)>>32
	s_setpc_b64 s[14:15]
.LBB1_9775:
	s_getpc_b64 s[14:15]
.Lpost_getpc791:
	s_add_u32 s14, s14, (.LBB1_3168-.Lpost_getpc791)&4294967295
	s_addc_u32 s15, s15, (.LBB1_3168-.Lpost_getpc791)>>32
	s_setpc_b64 s[14:15]
.LBB1_7265:
	s_movk_i32 s4, 0x80
	v_cmp_eq_u16_sdwa s[12:13], v19, s4 src0_sel:BYTE_0 src1_sel:DWORD
	s_mov_b64 s[4:5], -1
                                        ; implicit-def: $sgpr10
	s_and_saveexec_b64 s[8:9], s[12:13]
; %bb.7266:
	s_mov_b32 s10, 0x7f800001
	s_xor_b64 s[4:5], exec, -1
; %bb.7267:
	s_or_b64 exec, exec, s[8:9]
	s_and_b64 s[4:5], s[4:5], exec
	s_or_saveexec_b64 s[6:7], s[6:7]
	v_mov_b32_e32 v12, s10
	s_xor_b64 exec, exec, s[6:7]
	s_cbranch_execnz .LBB1_7268
; %bb.15451:
	s_getpc_b64 s[14:15]
.Lpost_getpc3629:
	s_add_u32 s14, s14, (.LBB1_3170-.Lpost_getpc3629)&4294967295
	s_addc_u32 s15, s15, (.LBB1_3170-.Lpost_getpc3629)>>32
	s_setpc_b64 s[14:15]
.LBB1_7268:
	v_mov_b32_e32 v12, 0
	v_cmp_ne_u16_sdwa s[8:9], v19, v12 src0_sel:BYTE_0 src1_sel:DWORD
	s_andn2_b64 s[4:5], s[4:5], exec
	s_and_b64 s[8:9], s[8:9], exec
	s_or_b64 s[4:5], s[4:5], s[8:9]
	s_or_b64 exec, exec, s[6:7]
	s_and_saveexec_b64 s[6:7], s[4:5]
	s_cbranch_execz .LBB1_9777
; %bb.15453:
	s_getpc_b64 s[14:15]
.Lpost_getpc3630:
	s_add_u32 s14, s14, (.LBB1_3171-.Lpost_getpc3630)&4294967295
	s_addc_u32 s15, s15, (.LBB1_3171-.Lpost_getpc3630)>>32
	s_setpc_b64 s[14:15]
.LBB1_9777:
	s_getpc_b64 s[14:15]
.Lpost_getpc792:
	s_add_u32 s14, s14, (.LBB1_3172-.Lpost_getpc792)&4294967295
	s_addc_u32 s15, s15, (.LBB1_3172-.Lpost_getpc792)>>32
	s_setpc_b64 s[14:15]
.LBB1_7269:
	s_movk_i32 s4, 0x80
	v_cmp_eq_u16_sdwa s[12:13], v15, s4 src0_sel:BYTE_0 src1_sel:DWORD
	s_mov_b64 s[4:5], -1
                                        ; implicit-def: $sgpr10
	s_and_saveexec_b64 s[8:9], s[12:13]
; %bb.7270:
	s_mov_b32 s10, 0x7f800001
	s_xor_b64 s[4:5], exec, -1
; %bb.7271:
	s_or_b64 exec, exec, s[8:9]
	s_and_b64 s[4:5], s[4:5], exec
	s_or_saveexec_b64 s[6:7], s[6:7]
	v_mov_b32_e32 v13, s10
	s_xor_b64 exec, exec, s[6:7]
	s_cbranch_execnz .LBB1_7272
; %bb.15455:
	s_getpc_b64 s[14:15]
.Lpost_getpc3631:
	s_add_u32 s14, s14, (.LBB1_3174-.Lpost_getpc3631)&4294967295
	s_addc_u32 s15, s15, (.LBB1_3174-.Lpost_getpc3631)>>32
	s_setpc_b64 s[14:15]
.LBB1_7272:
	v_mov_b32_e32 v13, 0
	v_cmp_ne_u16_sdwa s[8:9], v15, v13 src0_sel:BYTE_0 src1_sel:DWORD
	s_andn2_b64 s[4:5], s[4:5], exec
	s_and_b64 s[8:9], s[8:9], exec
	s_or_b64 s[4:5], s[4:5], s[8:9]
	s_or_b64 exec, exec, s[6:7]
	s_and_saveexec_b64 s[6:7], s[4:5]
	s_cbranch_execz .LBB1_9779
; %bb.15457:
	s_getpc_b64 s[14:15]
.Lpost_getpc3632:
	s_add_u32 s14, s14, (.LBB1_3175-.Lpost_getpc3632)&4294967295
	s_addc_u32 s15, s15, (.LBB1_3175-.Lpost_getpc3632)>>32
	s_setpc_b64 s[14:15]
.LBB1_9779:
	s_getpc_b64 s[14:15]
.Lpost_getpc793:
	s_add_u32 s14, s14, (.LBB1_3176-.Lpost_getpc793)&4294967295
	s_addc_u32 s15, s15, (.LBB1_3176-.Lpost_getpc793)>>32
	s_setpc_b64 s[14:15]
.LBB1_7273:
	s_movk_i32 s4, 0x80
	v_cmp_eq_u16_sdwa s[12:13], v13, s4 src0_sel:BYTE_0 src1_sel:DWORD
	s_mov_b64 s[4:5], -1
                                        ; implicit-def: $sgpr10
	s_and_saveexec_b64 s[8:9], s[12:13]
; %bb.7274:
	s_mov_b32 s10, 0x7f800001
	s_xor_b64 s[4:5], exec, -1
; %bb.7275:
	s_or_b64 exec, exec, s[8:9]
	s_and_b64 s[4:5], s[4:5], exec
	s_or_saveexec_b64 s[6:7], s[6:7]
	v_mov_b32_e32 v12, s10
	s_xor_b64 exec, exec, s[6:7]
	s_cbranch_execnz .LBB1_7276
; %bb.15459:
	s_getpc_b64 s[14:15]
.Lpost_getpc3633:
	s_add_u32 s14, s14, (.LBB1_3178-.Lpost_getpc3633)&4294967295
	s_addc_u32 s15, s15, (.LBB1_3178-.Lpost_getpc3633)>>32
	s_setpc_b64 s[14:15]
.LBB1_7276:
	v_mov_b32_e32 v12, 0
	v_cmp_ne_u16_sdwa s[8:9], v13, v12 src0_sel:BYTE_0 src1_sel:DWORD
	s_andn2_b64 s[4:5], s[4:5], exec
	s_and_b64 s[8:9], s[8:9], exec
	s_or_b64 s[4:5], s[4:5], s[8:9]
	s_or_b64 exec, exec, s[6:7]
	s_and_saveexec_b64 s[6:7], s[4:5]
	s_cbranch_execz .LBB1_9781
; %bb.15461:
	s_getpc_b64 s[14:15]
.Lpost_getpc3634:
	s_add_u32 s14, s14, (.LBB1_3179-.Lpost_getpc3634)&4294967295
	s_addc_u32 s15, s15, (.LBB1_3179-.Lpost_getpc3634)>>32
	s_setpc_b64 s[14:15]
.LBB1_9781:
	s_getpc_b64 s[14:15]
.Lpost_getpc794:
	s_add_u32 s14, s14, (.LBB1_3180-.Lpost_getpc794)&4294967295
	s_addc_u32 s15, s15, (.LBB1_3180-.Lpost_getpc794)>>32
	s_setpc_b64 s[14:15]
.LBB1_7277:
	s_movk_i32 s4, 0x80
	v_cmp_eq_u16_sdwa s[12:13], v13, s4 src0_sel:BYTE_0 src1_sel:DWORD
	s_mov_b64 s[4:5], -1
                                        ; implicit-def: $sgpr10
	s_and_saveexec_b64 s[8:9], s[12:13]
; %bb.7278:
	s_mov_b32 s10, 0x7f800001
	s_xor_b64 s[4:5], exec, -1
; %bb.7279:
	s_or_b64 exec, exec, s[8:9]
	s_and_b64 s[4:5], s[4:5], exec
	s_or_saveexec_b64 s[6:7], s[6:7]
	v_mov_b32_e32 v14, s10
	s_xor_b64 exec, exec, s[6:7]
	s_cbranch_execnz .LBB1_7280
; %bb.15463:
	s_getpc_b64 s[14:15]
.Lpost_getpc3635:
	s_add_u32 s14, s14, (.LBB1_3182-.Lpost_getpc3635)&4294967295
	s_addc_u32 s15, s15, (.LBB1_3182-.Lpost_getpc3635)>>32
	s_setpc_b64 s[14:15]
.LBB1_7280:
	v_mov_b32_e32 v14, 0
	v_cmp_ne_u16_sdwa s[8:9], v13, v14 src0_sel:BYTE_0 src1_sel:DWORD
	s_andn2_b64 s[4:5], s[4:5], exec
	s_and_b64 s[8:9], s[8:9], exec
	s_or_b64 s[4:5], s[4:5], s[8:9]
	s_or_b64 exec, exec, s[6:7]
	s_and_saveexec_b64 s[6:7], s[4:5]
	s_cbranch_execz .LBB1_9783
; %bb.15465:
	s_getpc_b64 s[14:15]
.Lpost_getpc3636:
	s_add_u32 s14, s14, (.LBB1_3183-.Lpost_getpc3636)&4294967295
	s_addc_u32 s15, s15, (.LBB1_3183-.Lpost_getpc3636)>>32
	s_setpc_b64 s[14:15]
.LBB1_9783:
	s_getpc_b64 s[14:15]
.Lpost_getpc795:
	s_add_u32 s14, s14, (.LBB1_3184-.Lpost_getpc795)&4294967295
	s_addc_u32 s15, s15, (.LBB1_3184-.Lpost_getpc795)>>32
	s_setpc_b64 s[14:15]
.LBB1_7281:
	s_movk_i32 s4, 0x80
	v_cmp_eq_u16_e32 vcc, s4, v13
	s_mov_b64 s[4:5], -1
                                        ; implicit-def: $sgpr10
	s_and_saveexec_b64 s[8:9], vcc
; %bb.7282:
	s_mov_b32 s10, 0x7f800001
	s_xor_b64 s[4:5], exec, -1
; %bb.7283:
	s_or_b64 exec, exec, s[8:9]
	s_and_b64 s[4:5], s[4:5], exec
                                        ; implicit-def: $vgpr13
	s_or_saveexec_b64 s[6:7], s[6:7]
	v_mov_b32_e32 v12, s10
	s_xor_b64 exec, exec, s[6:7]
	s_cbranch_execnz .LBB1_7284
; %bb.15467:
	s_getpc_b64 s[14:15]
.Lpost_getpc3637:
	s_add_u32 s14, s14, (.LBB1_3186-.Lpost_getpc3637)&4294967295
	s_addc_u32 s15, s15, (.LBB1_3186-.Lpost_getpc3637)>>32
	s_setpc_b64 s[14:15]
.LBB1_7284:
	v_cmp_ne_u16_e32 vcc, 0, v13
	s_andn2_b64 s[4:5], s[4:5], exec
	s_and_b64 s[8:9], vcc, exec
	v_mov_b32_e32 v12, 0
	s_or_b64 s[4:5], s[4:5], s[8:9]
	s_or_b64 exec, exec, s[6:7]
	s_and_saveexec_b64 s[6:7], s[4:5]
	s_cbranch_execz .LBB1_9785
; %bb.15469:
	s_getpc_b64 s[14:15]
.Lpost_getpc3638:
	s_add_u32 s14, s14, (.LBB1_3187-.Lpost_getpc3638)&4294967295
	s_addc_u32 s15, s15, (.LBB1_3187-.Lpost_getpc3638)>>32
	s_setpc_b64 s[14:15]
.LBB1_9785:
	s_getpc_b64 s[14:15]
.Lpost_getpc796:
	s_add_u32 s14, s14, (.LBB1_3188-.Lpost_getpc796)&4294967295
	s_addc_u32 s15, s15, (.LBB1_3188-.Lpost_getpc796)>>32
	s_setpc_b64 s[14:15]
.LBB1_7285:
	s_movk_i32 s4, 0x80
	v_cmp_eq_u16_e32 vcc, s4, v13
	s_mov_b64 s[4:5], -1
                                        ; implicit-def: $sgpr10
	s_and_saveexec_b64 s[8:9], vcc
; %bb.7286:
	s_mov_b32 s10, 0x7f800001
	s_xor_b64 s[4:5], exec, -1
; %bb.7287:
	s_or_b64 exec, exec, s[8:9]
	s_and_b64 s[4:5], s[4:5], exec
                                        ; implicit-def: $vgpr13
	s_or_saveexec_b64 s[6:7], s[6:7]
	v_mov_b32_e32 v14, s10
	s_xor_b64 exec, exec, s[6:7]
	s_cbranch_execnz .LBB1_7288
; %bb.15471:
	s_getpc_b64 s[14:15]
.Lpost_getpc3639:
	s_add_u32 s14, s14, (.LBB1_3190-.Lpost_getpc3639)&4294967295
	s_addc_u32 s15, s15, (.LBB1_3190-.Lpost_getpc3639)>>32
	s_setpc_b64 s[14:15]
.LBB1_7288:
	v_cmp_ne_u16_e32 vcc, 0, v13
	s_andn2_b64 s[4:5], s[4:5], exec
	s_and_b64 s[8:9], vcc, exec
	v_mov_b32_e32 v14, 0
	s_or_b64 s[4:5], s[4:5], s[8:9]
	s_or_b64 exec, exec, s[6:7]
	s_and_saveexec_b64 s[6:7], s[4:5]
	s_cbranch_execz .LBB1_9787
; %bb.15473:
	s_getpc_b64 s[14:15]
.Lpost_getpc3640:
	s_add_u32 s14, s14, (.LBB1_3191-.Lpost_getpc3640)&4294967295
	s_addc_u32 s15, s15, (.LBB1_3191-.Lpost_getpc3640)>>32
	s_setpc_b64 s[14:15]
.LBB1_9787:
	s_getpc_b64 s[14:15]
.Lpost_getpc797:
	s_add_u32 s14, s14, (.LBB1_3192-.Lpost_getpc797)&4294967295
	s_addc_u32 s15, s15, (.LBB1_3192-.Lpost_getpc797)>>32
	s_setpc_b64 s[14:15]
.LBB1_7289:
	s_movk_i32 s4, 0x80
	v_cmp_eq_u16_sdwa s[12:13], v19, s4 src0_sel:BYTE_3 src1_sel:DWORD
	s_mov_b64 s[4:5], -1
                                        ; implicit-def: $sgpr10
	s_and_saveexec_b64 s[8:9], s[12:13]
; %bb.7290:
	s_mov_b32 s10, 0x7f800001
	s_xor_b64 s[4:5], exec, -1
; %bb.7291:
	s_or_b64 exec, exec, s[8:9]
	s_and_b64 s[4:5], s[4:5], exec
	s_or_saveexec_b64 s[6:7], s[6:7]
	v_mov_b32_e32 v12, s10
	s_xor_b64 exec, exec, s[6:7]
	s_cbranch_execnz .LBB1_7292
; %bb.15475:
	s_getpc_b64 s[14:15]
.Lpost_getpc3641:
	s_add_u32 s14, s14, (.LBB1_3194-.Lpost_getpc3641)&4294967295
	s_addc_u32 s15, s15, (.LBB1_3194-.Lpost_getpc3641)>>32
	s_setpc_b64 s[14:15]
.LBB1_7292:
	v_mov_b32_e32 v12, 0
	v_cmp_ne_u16_sdwa s[8:9], v19, v12 src0_sel:BYTE_3 src1_sel:DWORD
	s_andn2_b64 s[4:5], s[4:5], exec
	s_and_b64 s[8:9], s[8:9], exec
	s_or_b64 s[4:5], s[4:5], s[8:9]
	s_or_b64 exec, exec, s[6:7]
	s_and_saveexec_b64 s[6:7], s[4:5]
	s_cbranch_execz .LBB1_9789
; %bb.15477:
	s_getpc_b64 s[14:15]
.Lpost_getpc3642:
	s_add_u32 s14, s14, (.LBB1_3195-.Lpost_getpc3642)&4294967295
	s_addc_u32 s15, s15, (.LBB1_3195-.Lpost_getpc3642)>>32
	s_setpc_b64 s[14:15]
.LBB1_9789:
	s_getpc_b64 s[14:15]
.Lpost_getpc798:
	s_add_u32 s14, s14, (.LBB1_3196-.Lpost_getpc798)&4294967295
	s_addc_u32 s15, s15, (.LBB1_3196-.Lpost_getpc798)>>32
	s_setpc_b64 s[14:15]
.LBB1_7293:
	s_movk_i32 s4, 0x80
	v_cmp_eq_u16_sdwa s[12:13], v15, s4 src0_sel:BYTE_3 src1_sel:DWORD
	s_mov_b64 s[4:5], -1
                                        ; implicit-def: $sgpr10
	s_and_saveexec_b64 s[8:9], s[12:13]
; %bb.7294:
	s_mov_b32 s10, 0x7f800001
	s_xor_b64 s[4:5], exec, -1
; %bb.7295:
	s_or_b64 exec, exec, s[8:9]
	s_and_b64 s[4:5], s[4:5], exec
	s_or_saveexec_b64 s[6:7], s[6:7]
	v_mov_b32_e32 v13, s10
	s_xor_b64 exec, exec, s[6:7]
	s_cbranch_execnz .LBB1_7296
; %bb.15479:
	s_getpc_b64 s[14:15]
.Lpost_getpc3643:
	s_add_u32 s14, s14, (.LBB1_3198-.Lpost_getpc3643)&4294967295
	s_addc_u32 s15, s15, (.LBB1_3198-.Lpost_getpc3643)>>32
	s_setpc_b64 s[14:15]
.LBB1_7296:
	v_mov_b32_e32 v13, 0
	v_cmp_ne_u16_sdwa s[8:9], v15, v13 src0_sel:BYTE_3 src1_sel:DWORD
	s_andn2_b64 s[4:5], s[4:5], exec
	s_and_b64 s[8:9], s[8:9], exec
	s_or_b64 s[4:5], s[4:5], s[8:9]
	s_or_b64 exec, exec, s[6:7]
	s_and_saveexec_b64 s[6:7], s[4:5]
	s_cbranch_execz .LBB1_9791
; %bb.15481:
	s_getpc_b64 s[14:15]
.Lpost_getpc3644:
	s_add_u32 s14, s14, (.LBB1_3199-.Lpost_getpc3644)&4294967295
	s_addc_u32 s15, s15, (.LBB1_3199-.Lpost_getpc3644)>>32
	s_setpc_b64 s[14:15]
.LBB1_9791:
	s_getpc_b64 s[14:15]
.Lpost_getpc799:
	s_add_u32 s14, s14, (.LBB1_3200-.Lpost_getpc799)&4294967295
	s_addc_u32 s15, s15, (.LBB1_3200-.Lpost_getpc799)>>32
	s_setpc_b64 s[14:15]
.LBB1_7297:
	s_movk_i32 s4, 0x80
	v_cmp_eq_u16_sdwa s[12:13], v16, s4 src0_sel:BYTE_0 src1_sel:DWORD
	s_mov_b64 s[4:5], -1
                                        ; implicit-def: $sgpr10
	s_and_saveexec_b64 s[8:9], s[12:13]
; %bb.7298:
	s_mov_b32 s10, 0x7f800001
	s_xor_b64 s[4:5], exec, -1
; %bb.7299:
	s_or_b64 exec, exec, s[8:9]
	s_and_b64 s[4:5], s[4:5], exec
	s_or_saveexec_b64 s[6:7], s[6:7]
	v_mov_b32_e32 v21, s10
	s_xor_b64 exec, exec, s[6:7]
	s_cbranch_execnz .LBB1_7300
; %bb.15483:
	s_getpc_b64 s[14:15]
.Lpost_getpc3645:
	s_add_u32 s14, s14, (.LBB1_3202-.Lpost_getpc3645)&4294967295
	s_addc_u32 s15, s15, (.LBB1_3202-.Lpost_getpc3645)>>32
	s_setpc_b64 s[14:15]
.LBB1_7300:
	v_mov_b32_e32 v21, 0
	v_cmp_ne_u16_sdwa s[8:9], v16, v21 src0_sel:BYTE_0 src1_sel:DWORD
	s_andn2_b64 s[4:5], s[4:5], exec
	s_and_b64 s[8:9], s[8:9], exec
	s_or_b64 s[4:5], s[4:5], s[8:9]
	s_or_b64 exec, exec, s[6:7]
	s_and_saveexec_b64 s[6:7], s[4:5]
	s_cbranch_execz .LBB1_9793
; %bb.15485:
	s_getpc_b64 s[14:15]
.Lpost_getpc3646:
	s_add_u32 s14, s14, (.LBB1_3203-.Lpost_getpc3646)&4294967295
	s_addc_u32 s15, s15, (.LBB1_3203-.Lpost_getpc3646)>>32
	s_setpc_b64 s[14:15]
.LBB1_9793:
	s_getpc_b64 s[14:15]
.Lpost_getpc800:
	s_add_u32 s14, s14, (.LBB1_3204-.Lpost_getpc800)&4294967295
	s_addc_u32 s15, s15, (.LBB1_3204-.Lpost_getpc800)>>32
	s_setpc_b64 s[14:15]
.LBB1_7301:
	s_movk_i32 s4, 0x80
	v_cmp_eq_u16_sdwa s[12:13], v12, s4 src0_sel:BYTE_0 src1_sel:DWORD
	s_mov_b64 s[4:5], -1
                                        ; implicit-def: $sgpr10
	s_and_saveexec_b64 s[8:9], s[12:13]
; %bb.7302:
	s_mov_b32 s10, 0x7f800001
	s_xor_b64 s[4:5], exec, -1
; %bb.7303:
	s_or_b64 exec, exec, s[8:9]
	s_and_b64 s[4:5], s[4:5], exec
	s_or_saveexec_b64 s[6:7], s[6:7]
	v_mov_b32_e32 v22, s10
	s_xor_b64 exec, exec, s[6:7]
	s_cbranch_execnz .LBB1_7304
; %bb.15487:
	s_getpc_b64 s[14:15]
.Lpost_getpc3647:
	s_add_u32 s14, s14, (.LBB1_3206-.Lpost_getpc3647)&4294967295
	s_addc_u32 s15, s15, (.LBB1_3206-.Lpost_getpc3647)>>32
	s_setpc_b64 s[14:15]
.LBB1_7304:
	v_mov_b32_e32 v22, 0
	v_cmp_ne_u16_sdwa s[8:9], v12, v22 src0_sel:BYTE_0 src1_sel:DWORD
	s_andn2_b64 s[4:5], s[4:5], exec
	s_and_b64 s[8:9], s[8:9], exec
	s_or_b64 s[4:5], s[4:5], s[8:9]
	s_or_b64 exec, exec, s[6:7]
	s_and_saveexec_b64 s[6:7], s[4:5]
	s_cbranch_execz .LBB1_9795
; %bb.15489:
	s_getpc_b64 s[14:15]
.Lpost_getpc3648:
	s_add_u32 s14, s14, (.LBB1_3207-.Lpost_getpc3648)&4294967295
	s_addc_u32 s15, s15, (.LBB1_3207-.Lpost_getpc3648)>>32
	s_setpc_b64 s[14:15]
.LBB1_9795:
	s_getpc_b64 s[14:15]
.Lpost_getpc801:
	s_add_u32 s14, s14, (.LBB1_3208-.Lpost_getpc801)&4294967295
	s_addc_u32 s15, s15, (.LBB1_3208-.Lpost_getpc801)>>32
	s_setpc_b64 s[14:15]
.LBB1_7305:
	s_movk_i32 s4, 0x80
	v_cmp_eq_u16_sdwa s[12:13], v22, s4 src0_sel:BYTE_0 src1_sel:DWORD
	s_mov_b64 s[4:5], -1
                                        ; implicit-def: $sgpr10
	s_and_saveexec_b64 s[8:9], s[12:13]
; %bb.7306:
	s_mov_b32 s10, 0x7f800001
	s_xor_b64 s[4:5], exec, -1
; %bb.7307:
	s_or_b64 exec, exec, s[8:9]
	s_and_b64 s[4:5], s[4:5], exec
	s_or_saveexec_b64 s[6:7], s[6:7]
	v_mov_b32_e32 v21, s10
	s_xor_b64 exec, exec, s[6:7]
	s_cbranch_execnz .LBB1_7308
; %bb.15491:
	s_getpc_b64 s[14:15]
.Lpost_getpc3649:
	s_add_u32 s14, s14, (.LBB1_3210-.Lpost_getpc3649)&4294967295
	s_addc_u32 s15, s15, (.LBB1_3210-.Lpost_getpc3649)>>32
	s_setpc_b64 s[14:15]
.LBB1_7308:
	v_mov_b32_e32 v21, 0
	v_cmp_ne_u16_sdwa s[8:9], v22, v21 src0_sel:BYTE_0 src1_sel:DWORD
	s_andn2_b64 s[4:5], s[4:5], exec
	s_and_b64 s[8:9], s[8:9], exec
	s_or_b64 s[4:5], s[4:5], s[8:9]
	s_or_b64 exec, exec, s[6:7]
	s_and_saveexec_b64 s[6:7], s[4:5]
	s_cbranch_execz .LBB1_9797
; %bb.15493:
	s_getpc_b64 s[14:15]
.Lpost_getpc3650:
	s_add_u32 s14, s14, (.LBB1_3211-.Lpost_getpc3650)&4294967295
	s_addc_u32 s15, s15, (.LBB1_3211-.Lpost_getpc3650)>>32
	s_setpc_b64 s[14:15]
.LBB1_9797:
	s_getpc_b64 s[14:15]
.Lpost_getpc802:
	s_add_u32 s14, s14, (.LBB1_3212-.Lpost_getpc802)&4294967295
	s_addc_u32 s15, s15, (.LBB1_3212-.Lpost_getpc802)>>32
	s_setpc_b64 s[14:15]
.LBB1_7309:
	s_movk_i32 s4, 0x80
	v_cmp_eq_u16_sdwa s[12:13], v22, s4 src0_sel:BYTE_0 src1_sel:DWORD
	s_mov_b64 s[4:5], -1
                                        ; implicit-def: $sgpr10
	s_and_saveexec_b64 s[8:9], s[12:13]
; %bb.7310:
	s_mov_b32 s10, 0x7f800001
	s_xor_b64 s[4:5], exec, -1
; %bb.7311:
	s_or_b64 exec, exec, s[8:9]
	s_and_b64 s[4:5], s[4:5], exec
	s_or_saveexec_b64 s[6:7], s[6:7]
	v_mov_b32_e32 v23, s10
	s_xor_b64 exec, exec, s[6:7]
	s_cbranch_execnz .LBB1_7312
; %bb.15495:
	s_getpc_b64 s[14:15]
.Lpost_getpc3651:
	s_add_u32 s14, s14, (.LBB1_3214-.Lpost_getpc3651)&4294967295
	s_addc_u32 s15, s15, (.LBB1_3214-.Lpost_getpc3651)>>32
	s_setpc_b64 s[14:15]
.LBB1_7312:
	v_mov_b32_e32 v23, 0
	v_cmp_ne_u16_sdwa s[8:9], v22, v23 src0_sel:BYTE_0 src1_sel:DWORD
	s_andn2_b64 s[4:5], s[4:5], exec
	s_and_b64 s[8:9], s[8:9], exec
	s_or_b64 s[4:5], s[4:5], s[8:9]
	s_or_b64 exec, exec, s[6:7]
	s_and_saveexec_b64 s[6:7], s[4:5]
	s_cbranch_execz .LBB1_9799
; %bb.15497:
	s_getpc_b64 s[14:15]
.Lpost_getpc3652:
	s_add_u32 s14, s14, (.LBB1_3215-.Lpost_getpc3652)&4294967295
	s_addc_u32 s15, s15, (.LBB1_3215-.Lpost_getpc3652)>>32
	s_setpc_b64 s[14:15]
.LBB1_9799:
	s_getpc_b64 s[14:15]
.Lpost_getpc803:
	s_add_u32 s14, s14, (.LBB1_3216-.Lpost_getpc803)&4294967295
	s_addc_u32 s15, s15, (.LBB1_3216-.Lpost_getpc803)>>32
	s_setpc_b64 s[14:15]
.LBB1_7313:
	s_movk_i32 s4, 0x80
	v_cmp_eq_u16_e32 vcc, s4, v22
	s_mov_b64 s[4:5], -1
                                        ; implicit-def: $sgpr10
	s_and_saveexec_b64 s[8:9], vcc
; %bb.7314:
	s_mov_b32 s10, 0x7f800001
	s_xor_b64 s[4:5], exec, -1
; %bb.7315:
	s_or_b64 exec, exec, s[8:9]
	s_and_b64 s[4:5], s[4:5], exec
                                        ; implicit-def: $vgpr22
	s_or_saveexec_b64 s[6:7], s[6:7]
	v_mov_b32_e32 v21, s10
	s_xor_b64 exec, exec, s[6:7]
	s_cbranch_execnz .LBB1_7316
; %bb.15499:
	s_getpc_b64 s[14:15]
.Lpost_getpc3653:
	s_add_u32 s14, s14, (.LBB1_3218-.Lpost_getpc3653)&4294967295
	s_addc_u32 s15, s15, (.LBB1_3218-.Lpost_getpc3653)>>32
	s_setpc_b64 s[14:15]
.LBB1_7316:
	v_cmp_ne_u16_e32 vcc, 0, v22
	s_andn2_b64 s[4:5], s[4:5], exec
	s_and_b64 s[8:9], vcc, exec
	v_mov_b32_e32 v21, 0
	s_or_b64 s[4:5], s[4:5], s[8:9]
	s_or_b64 exec, exec, s[6:7]
	s_and_saveexec_b64 s[6:7], s[4:5]
	s_cbranch_execz .LBB1_9801
; %bb.15501:
	s_getpc_b64 s[14:15]
.Lpost_getpc3654:
	s_add_u32 s14, s14, (.LBB1_3219-.Lpost_getpc3654)&4294967295
	s_addc_u32 s15, s15, (.LBB1_3219-.Lpost_getpc3654)>>32
	s_setpc_b64 s[14:15]
.LBB1_9801:
	s_getpc_b64 s[14:15]
.Lpost_getpc804:
	s_add_u32 s14, s14, (.LBB1_3220-.Lpost_getpc804)&4294967295
	s_addc_u32 s15, s15, (.LBB1_3220-.Lpost_getpc804)>>32
	s_setpc_b64 s[14:15]
.LBB1_7317:
	s_movk_i32 s4, 0x80
	v_cmp_eq_u16_e32 vcc, s4, v22
	s_mov_b64 s[4:5], -1
                                        ; implicit-def: $sgpr10
	s_and_saveexec_b64 s[8:9], vcc
; %bb.7318:
	s_mov_b32 s10, 0x7f800001
	s_xor_b64 s[4:5], exec, -1
; %bb.7319:
	s_or_b64 exec, exec, s[8:9]
	s_and_b64 s[4:5], s[4:5], exec
                                        ; implicit-def: $vgpr22
	s_or_saveexec_b64 s[6:7], s[6:7]
	v_mov_b32_e32 v23, s10
	s_xor_b64 exec, exec, s[6:7]
	s_cbranch_execnz .LBB1_7320
; %bb.15503:
	s_getpc_b64 s[14:15]
.Lpost_getpc3655:
	s_add_u32 s14, s14, (.LBB1_3222-.Lpost_getpc3655)&4294967295
	s_addc_u32 s15, s15, (.LBB1_3222-.Lpost_getpc3655)>>32
	s_setpc_b64 s[14:15]
.LBB1_7320:
	v_cmp_ne_u16_e32 vcc, 0, v22
	s_andn2_b64 s[4:5], s[4:5], exec
	s_and_b64 s[8:9], vcc, exec
	v_mov_b32_e32 v23, 0
	s_or_b64 s[4:5], s[4:5], s[8:9]
	s_or_b64 exec, exec, s[6:7]
	s_and_saveexec_b64 s[6:7], s[4:5]
	s_cbranch_execz .LBB1_9803
; %bb.15505:
	s_getpc_b64 s[14:15]
.Lpost_getpc3656:
	s_add_u32 s14, s14, (.LBB1_3223-.Lpost_getpc3656)&4294967295
	s_addc_u32 s15, s15, (.LBB1_3223-.Lpost_getpc3656)>>32
	s_setpc_b64 s[14:15]
.LBB1_9803:
	s_getpc_b64 s[14:15]
.Lpost_getpc805:
	s_add_u32 s14, s14, (.LBB1_3224-.Lpost_getpc805)&4294967295
	s_addc_u32 s15, s15, (.LBB1_3224-.Lpost_getpc805)>>32
	s_setpc_b64 s[14:15]
.LBB1_7321:
	s_movk_i32 s4, 0x80
	v_cmp_eq_u16_sdwa s[12:13], v16, s4 src0_sel:BYTE_3 src1_sel:DWORD
	s_mov_b64 s[4:5], -1
                                        ; implicit-def: $sgpr10
	s_and_saveexec_b64 s[8:9], s[12:13]
; %bb.7322:
	s_mov_b32 s10, 0x7f800001
	s_xor_b64 s[4:5], exec, -1
; %bb.7323:
	s_or_b64 exec, exec, s[8:9]
	s_and_b64 s[4:5], s[4:5], exec
	s_or_saveexec_b64 s[6:7], s[6:7]
	v_mov_b32_e32 v21, s10
	s_xor_b64 exec, exec, s[6:7]
	s_cbranch_execnz .LBB1_7324
; %bb.15507:
	s_getpc_b64 s[14:15]
.Lpost_getpc3657:
	s_add_u32 s14, s14, (.LBB1_3226-.Lpost_getpc3657)&4294967295
	s_addc_u32 s15, s15, (.LBB1_3226-.Lpost_getpc3657)>>32
	s_setpc_b64 s[14:15]
.LBB1_7324:
	v_mov_b32_e32 v21, 0
	v_cmp_ne_u16_sdwa s[8:9], v16, v21 src0_sel:BYTE_3 src1_sel:DWORD
	s_andn2_b64 s[4:5], s[4:5], exec
	s_and_b64 s[8:9], s[8:9], exec
	s_or_b64 s[4:5], s[4:5], s[8:9]
	s_or_b64 exec, exec, s[6:7]
	s_and_saveexec_b64 s[6:7], s[4:5]
	s_cbranch_execz .LBB1_9805
; %bb.15509:
	s_getpc_b64 s[14:15]
.Lpost_getpc3658:
	s_add_u32 s14, s14, (.LBB1_3227-.Lpost_getpc3658)&4294967295
	s_addc_u32 s15, s15, (.LBB1_3227-.Lpost_getpc3658)>>32
	s_setpc_b64 s[14:15]
.LBB1_9805:
	s_getpc_b64 s[14:15]
.Lpost_getpc806:
	s_add_u32 s14, s14, (.LBB1_3228-.Lpost_getpc806)&4294967295
	s_addc_u32 s15, s15, (.LBB1_3228-.Lpost_getpc806)>>32
	s_setpc_b64 s[14:15]
.LBB1_7325:
	s_movk_i32 s4, 0x80
	v_cmp_eq_u16_sdwa s[12:13], v12, s4 src0_sel:BYTE_3 src1_sel:DWORD
	s_mov_b64 s[4:5], -1
                                        ; implicit-def: $sgpr10
	s_and_saveexec_b64 s[8:9], s[12:13]
; %bb.7326:
	s_mov_b32 s10, 0x7f800001
	s_xor_b64 s[4:5], exec, -1
; %bb.7327:
	s_or_b64 exec, exec, s[8:9]
	s_and_b64 s[4:5], s[4:5], exec
	s_or_saveexec_b64 s[6:7], s[6:7]
	v_mov_b32_e32 v16, s10
	s_xor_b64 exec, exec, s[6:7]
	s_cbranch_execnz .LBB1_7328
; %bb.15511:
	s_getpc_b64 s[14:15]
.Lpost_getpc3659:
	s_add_u32 s14, s14, (.LBB1_3230-.Lpost_getpc3659)&4294967295
	s_addc_u32 s15, s15, (.LBB1_3230-.Lpost_getpc3659)>>32
	s_setpc_b64 s[14:15]
.LBB1_7328:
	v_mov_b32_e32 v16, 0
	v_cmp_ne_u16_sdwa s[8:9], v12, v16 src0_sel:BYTE_3 src1_sel:DWORD
	s_andn2_b64 s[4:5], s[4:5], exec
	s_and_b64 s[8:9], s[8:9], exec
	s_or_b64 s[4:5], s[4:5], s[8:9]
	s_or_b64 exec, exec, s[6:7]
	s_and_saveexec_b64 s[6:7], s[4:5]
	s_cbranch_execz .LBB1_9807
; %bb.15513:
	s_getpc_b64 s[14:15]
.Lpost_getpc3660:
	s_add_u32 s14, s14, (.LBB1_3231-.Lpost_getpc3660)&4294967295
	s_addc_u32 s15, s15, (.LBB1_3231-.Lpost_getpc3660)>>32
	s_setpc_b64 s[14:15]
.LBB1_9807:
	s_getpc_b64 s[14:15]
.Lpost_getpc807:
	s_add_u32 s14, s14, (.LBB1_3232-.Lpost_getpc807)&4294967295
	s_addc_u32 s15, s15, (.LBB1_3232-.Lpost_getpc807)>>32
	s_setpc_b64 s[14:15]
.LBB1_7329:
	s_movk_i32 s4, 0x80
	v_cmp_eq_u16_sdwa s[12:13], v17, s4 src0_sel:BYTE_0 src1_sel:DWORD
	s_mov_b64 s[4:5], -1
                                        ; implicit-def: $sgpr10
	s_and_saveexec_b64 s[8:9], s[12:13]
; %bb.7330:
	s_mov_b32 s10, 0x7f800001
	s_xor_b64 s[4:5], exec, -1
; %bb.7331:
	s_or_b64 exec, exec, s[8:9]
	s_and_b64 s[4:5], s[4:5], exec
	s_or_saveexec_b64 s[6:7], s[6:7]
	v_mov_b32_e32 v12, s10
	s_xor_b64 exec, exec, s[6:7]
	s_cbranch_execnz .LBB1_7332
; %bb.15515:
	s_getpc_b64 s[14:15]
.Lpost_getpc3661:
	s_add_u32 s14, s14, (.LBB1_3234-.Lpost_getpc3661)&4294967295
	s_addc_u32 s15, s15, (.LBB1_3234-.Lpost_getpc3661)>>32
	s_setpc_b64 s[14:15]
.LBB1_7332:
	v_mov_b32_e32 v12, 0
	v_cmp_ne_u16_sdwa s[8:9], v17, v12 src0_sel:BYTE_0 src1_sel:DWORD
	s_andn2_b64 s[4:5], s[4:5], exec
	s_and_b64 s[8:9], s[8:9], exec
	s_or_b64 s[4:5], s[4:5], s[8:9]
	s_or_b64 exec, exec, s[6:7]
	s_and_saveexec_b64 s[6:7], s[4:5]
	s_cbranch_execz .LBB1_9809
; %bb.15517:
	s_getpc_b64 s[14:15]
.Lpost_getpc3662:
	s_add_u32 s14, s14, (.LBB1_3235-.Lpost_getpc3662)&4294967295
	s_addc_u32 s15, s15, (.LBB1_3235-.Lpost_getpc3662)>>32
	s_setpc_b64 s[14:15]
.LBB1_9809:
	s_getpc_b64 s[14:15]
.Lpost_getpc808:
	s_add_u32 s14, s14, (.LBB1_3236-.Lpost_getpc808)&4294967295
	s_addc_u32 s15, s15, (.LBB1_3236-.Lpost_getpc808)>>32
	s_setpc_b64 s[14:15]
.LBB1_7333:
	s_movk_i32 s4, 0x80
	v_cmp_eq_u16_sdwa s[12:13], v13, s4 src0_sel:BYTE_0 src1_sel:DWORD
	s_mov_b64 s[4:5], -1
                                        ; implicit-def: $sgpr10
	s_and_saveexec_b64 s[8:9], s[12:13]
; %bb.7334:
	s_mov_b32 s10, 0x7f800001
	s_xor_b64 s[4:5], exec, -1
; %bb.7335:
	s_or_b64 exec, exec, s[8:9]
	s_and_b64 s[4:5], s[4:5], exec
	s_or_saveexec_b64 s[6:7], s[6:7]
	v_mov_b32_e32 v16, s10
	s_xor_b64 exec, exec, s[6:7]
	s_cbranch_execnz .LBB1_7336
; %bb.15519:
	s_getpc_b64 s[14:15]
.Lpost_getpc3663:
	s_add_u32 s14, s14, (.LBB1_3238-.Lpost_getpc3663)&4294967295
	s_addc_u32 s15, s15, (.LBB1_3238-.Lpost_getpc3663)>>32
	s_setpc_b64 s[14:15]
.LBB1_7336:
	v_mov_b32_e32 v16, 0
	v_cmp_ne_u16_sdwa s[8:9], v13, v16 src0_sel:BYTE_0 src1_sel:DWORD
	s_andn2_b64 s[4:5], s[4:5], exec
	s_and_b64 s[8:9], s[8:9], exec
	s_or_b64 s[4:5], s[4:5], s[8:9]
	s_or_b64 exec, exec, s[6:7]
	s_and_saveexec_b64 s[6:7], s[4:5]
	s_cbranch_execz .LBB1_9811
; %bb.15521:
	s_getpc_b64 s[14:15]
.Lpost_getpc3664:
	s_add_u32 s14, s14, (.LBB1_3239-.Lpost_getpc3664)&4294967295
	s_addc_u32 s15, s15, (.LBB1_3239-.Lpost_getpc3664)>>32
	s_setpc_b64 s[14:15]
.LBB1_9811:
	s_getpc_b64 s[14:15]
.Lpost_getpc809:
	s_add_u32 s14, s14, (.LBB1_3240-.Lpost_getpc809)&4294967295
	s_addc_u32 s15, s15, (.LBB1_3240-.Lpost_getpc809)>>32
	s_setpc_b64 s[14:15]
.LBB1_7337:
	s_movk_i32 s4, 0x80
	v_cmp_eq_u16_sdwa s[12:13], v16, s4 src0_sel:BYTE_0 src1_sel:DWORD
	s_mov_b64 s[4:5], -1
                                        ; implicit-def: $sgpr10
	s_and_saveexec_b64 s[8:9], s[12:13]
; %bb.7338:
	s_mov_b32 s10, 0x7f800001
	s_xor_b64 s[4:5], exec, -1
; %bb.7339:
	s_or_b64 exec, exec, s[8:9]
	s_and_b64 s[4:5], s[4:5], exec
	s_or_saveexec_b64 s[6:7], s[6:7]
	v_mov_b32_e32 v12, s10
	s_xor_b64 exec, exec, s[6:7]
	s_cbranch_execnz .LBB1_7340
; %bb.15523:
	s_getpc_b64 s[14:15]
.Lpost_getpc3665:
	s_add_u32 s14, s14, (.LBB1_3242-.Lpost_getpc3665)&4294967295
	s_addc_u32 s15, s15, (.LBB1_3242-.Lpost_getpc3665)>>32
	s_setpc_b64 s[14:15]
.LBB1_7340:
	v_mov_b32_e32 v12, 0
	v_cmp_ne_u16_sdwa s[8:9], v16, v12 src0_sel:BYTE_0 src1_sel:DWORD
	s_andn2_b64 s[4:5], s[4:5], exec
	s_and_b64 s[8:9], s[8:9], exec
	s_or_b64 s[4:5], s[4:5], s[8:9]
	s_or_b64 exec, exec, s[6:7]
	s_and_saveexec_b64 s[6:7], s[4:5]
	s_cbranch_execz .LBB1_9813
; %bb.15525:
	s_getpc_b64 s[14:15]
.Lpost_getpc3666:
	s_add_u32 s14, s14, (.LBB1_3243-.Lpost_getpc3666)&4294967295
	s_addc_u32 s15, s15, (.LBB1_3243-.Lpost_getpc3666)>>32
	s_setpc_b64 s[14:15]
.LBB1_9813:
	s_getpc_b64 s[14:15]
.Lpost_getpc810:
	s_add_u32 s14, s14, (.LBB1_3244-.Lpost_getpc810)&4294967295
	s_addc_u32 s15, s15, (.LBB1_3244-.Lpost_getpc810)>>32
	s_setpc_b64 s[14:15]
.LBB1_7341:
	s_movk_i32 s4, 0x80
	v_cmp_eq_u16_sdwa s[12:13], v16, s4 src0_sel:BYTE_0 src1_sel:DWORD
	s_mov_b64 s[4:5], -1
                                        ; implicit-def: $sgpr10
	s_and_saveexec_b64 s[8:9], s[12:13]
; %bb.7342:
	s_mov_b32 s10, 0x7f800001
	s_xor_b64 s[4:5], exec, -1
; %bb.7343:
	s_or_b64 exec, exec, s[8:9]
	s_and_b64 s[4:5], s[4:5], exec
	s_or_saveexec_b64 s[6:7], s[6:7]
	v_mov_b32_e32 v21, s10
	s_xor_b64 exec, exec, s[6:7]
	s_cbranch_execnz .LBB1_7344
; %bb.15527:
	s_getpc_b64 s[14:15]
.Lpost_getpc3667:
	s_add_u32 s14, s14, (.LBB1_3246-.Lpost_getpc3667)&4294967295
	s_addc_u32 s15, s15, (.LBB1_3246-.Lpost_getpc3667)>>32
	s_setpc_b64 s[14:15]
.LBB1_7344:
	v_mov_b32_e32 v21, 0
	v_cmp_ne_u16_sdwa s[8:9], v16, v21 src0_sel:BYTE_0 src1_sel:DWORD
	s_andn2_b64 s[4:5], s[4:5], exec
	s_and_b64 s[8:9], s[8:9], exec
	s_or_b64 s[4:5], s[4:5], s[8:9]
	s_or_b64 exec, exec, s[6:7]
	s_and_saveexec_b64 s[6:7], s[4:5]
	s_cbranch_execz .LBB1_9815
; %bb.15529:
	s_getpc_b64 s[14:15]
.Lpost_getpc3668:
	s_add_u32 s14, s14, (.LBB1_3247-.Lpost_getpc3668)&4294967295
	s_addc_u32 s15, s15, (.LBB1_3247-.Lpost_getpc3668)>>32
	s_setpc_b64 s[14:15]
.LBB1_9815:
	s_getpc_b64 s[14:15]
.Lpost_getpc811:
	s_add_u32 s14, s14, (.LBB1_3248-.Lpost_getpc811)&4294967295
	s_addc_u32 s15, s15, (.LBB1_3248-.Lpost_getpc811)>>32
	s_setpc_b64 s[14:15]
.LBB1_7345:
	s_movk_i32 s4, 0x80
	v_cmp_eq_u16_e32 vcc, s4, v16
	s_mov_b64 s[4:5], -1
                                        ; implicit-def: $sgpr10
	s_and_saveexec_b64 s[8:9], vcc
; %bb.7346:
	s_mov_b32 s10, 0x7f800001
	s_xor_b64 s[4:5], exec, -1
; %bb.7347:
	s_or_b64 exec, exec, s[8:9]
	s_and_b64 s[4:5], s[4:5], exec
                                        ; implicit-def: $vgpr16
	s_or_saveexec_b64 s[6:7], s[6:7]
	v_mov_b32_e32 v12, s10
	s_xor_b64 exec, exec, s[6:7]
	s_cbranch_execnz .LBB1_7348
; %bb.15531:
	s_getpc_b64 s[14:15]
.Lpost_getpc3669:
	s_add_u32 s14, s14, (.LBB1_3250-.Lpost_getpc3669)&4294967295
	s_addc_u32 s15, s15, (.LBB1_3250-.Lpost_getpc3669)>>32
	s_setpc_b64 s[14:15]
.LBB1_7348:
	v_cmp_ne_u16_e32 vcc, 0, v16
	s_andn2_b64 s[4:5], s[4:5], exec
	s_and_b64 s[8:9], vcc, exec
	v_mov_b32_e32 v12, 0
	s_or_b64 s[4:5], s[4:5], s[8:9]
	s_or_b64 exec, exec, s[6:7]
	s_and_saveexec_b64 s[6:7], s[4:5]
	s_cbranch_execz .LBB1_9817
; %bb.15533:
	s_getpc_b64 s[14:15]
.Lpost_getpc3670:
	s_add_u32 s14, s14, (.LBB1_3251-.Lpost_getpc3670)&4294967295
	s_addc_u32 s15, s15, (.LBB1_3251-.Lpost_getpc3670)>>32
	s_setpc_b64 s[14:15]
.LBB1_9817:
	s_getpc_b64 s[14:15]
.Lpost_getpc812:
	s_add_u32 s14, s14, (.LBB1_3252-.Lpost_getpc812)&4294967295
	s_addc_u32 s15, s15, (.LBB1_3252-.Lpost_getpc812)>>32
	s_setpc_b64 s[14:15]
.LBB1_7349:
	s_movk_i32 s4, 0x80
	v_cmp_eq_u16_e32 vcc, s4, v16
	s_mov_b64 s[4:5], -1
                                        ; implicit-def: $sgpr10
	s_and_saveexec_b64 s[8:9], vcc
; %bb.7350:
	s_mov_b32 s10, 0x7f800001
	s_xor_b64 s[4:5], exec, -1
; %bb.7351:
	s_or_b64 exec, exec, s[8:9]
	s_and_b64 s[4:5], s[4:5], exec
                                        ; implicit-def: $vgpr16
	s_or_saveexec_b64 s[6:7], s[6:7]
	v_mov_b32_e32 v21, s10
	s_xor_b64 exec, exec, s[6:7]
	s_cbranch_execnz .LBB1_7352
; %bb.15535:
	s_getpc_b64 s[14:15]
.Lpost_getpc3671:
	s_add_u32 s14, s14, (.LBB1_3254-.Lpost_getpc3671)&4294967295
	s_addc_u32 s15, s15, (.LBB1_3254-.Lpost_getpc3671)>>32
	s_setpc_b64 s[14:15]
.LBB1_7352:
	v_cmp_ne_u16_e32 vcc, 0, v16
	s_andn2_b64 s[4:5], s[4:5], exec
	s_and_b64 s[8:9], vcc, exec
	v_mov_b32_e32 v21, 0
	s_or_b64 s[4:5], s[4:5], s[8:9]
	s_or_b64 exec, exec, s[6:7]
	s_and_saveexec_b64 s[6:7], s[4:5]
	s_cbranch_execz .LBB1_9819
; %bb.15537:
	s_getpc_b64 s[14:15]
.Lpost_getpc3672:
	s_add_u32 s14, s14, (.LBB1_3255-.Lpost_getpc3672)&4294967295
	s_addc_u32 s15, s15, (.LBB1_3255-.Lpost_getpc3672)>>32
	s_setpc_b64 s[14:15]
.LBB1_9819:
	s_getpc_b64 s[14:15]
.Lpost_getpc813:
	s_add_u32 s14, s14, (.LBB1_3256-.Lpost_getpc813)&4294967295
	s_addc_u32 s15, s15, (.LBB1_3256-.Lpost_getpc813)>>32
	s_setpc_b64 s[14:15]
.LBB1_7353:
	s_movk_i32 s4, 0x80
	v_cmp_eq_u16_sdwa s[12:13], v17, s4 src0_sel:BYTE_3 src1_sel:DWORD
	s_mov_b64 s[4:5], -1
                                        ; implicit-def: $sgpr10
	s_and_saveexec_b64 s[8:9], s[12:13]
; %bb.7354:
	s_mov_b32 s10, 0x7f800001
	s_xor_b64 s[4:5], exec, -1
; %bb.7355:
	s_or_b64 exec, exec, s[8:9]
	s_and_b64 s[4:5], s[4:5], exec
	s_or_saveexec_b64 s[6:7], s[6:7]
	v_mov_b32_e32 v12, s10
	s_xor_b64 exec, exec, s[6:7]
	s_cbranch_execnz .LBB1_7356
; %bb.15539:
	s_getpc_b64 s[14:15]
.Lpost_getpc3673:
	s_add_u32 s14, s14, (.LBB1_3258-.Lpost_getpc3673)&4294967295
	s_addc_u32 s15, s15, (.LBB1_3258-.Lpost_getpc3673)>>32
	s_setpc_b64 s[14:15]
.LBB1_7356:
	v_mov_b32_e32 v12, 0
	v_cmp_ne_u16_sdwa s[8:9], v17, v12 src0_sel:BYTE_3 src1_sel:DWORD
	s_andn2_b64 s[4:5], s[4:5], exec
	s_and_b64 s[8:9], s[8:9], exec
	s_or_b64 s[4:5], s[4:5], s[8:9]
	s_or_b64 exec, exec, s[6:7]
	s_and_saveexec_b64 s[6:7], s[4:5]
	s_cbranch_execz .LBB1_9821
; %bb.15541:
	s_getpc_b64 s[14:15]
.Lpost_getpc3674:
	s_add_u32 s14, s14, (.LBB1_3259-.Lpost_getpc3674)&4294967295
	s_addc_u32 s15, s15, (.LBB1_3259-.Lpost_getpc3674)>>32
	s_setpc_b64 s[14:15]
.LBB1_9821:
	s_getpc_b64 s[14:15]
.Lpost_getpc814:
	s_add_u32 s14, s14, (.LBB1_3260-.Lpost_getpc814)&4294967295
	s_addc_u32 s15, s15, (.LBB1_3260-.Lpost_getpc814)>>32
	s_setpc_b64 s[14:15]
.LBB1_7357:
	s_movk_i32 s4, 0x80
	v_cmp_eq_u16_sdwa s[12:13], v13, s4 src0_sel:BYTE_3 src1_sel:DWORD
	s_mov_b64 s[4:5], -1
                                        ; implicit-def: $sgpr10
	s_and_saveexec_b64 s[8:9], s[12:13]
; %bb.7358:
	s_mov_b32 s10, 0x7f800001
	s_xor_b64 s[4:5], exec, -1
; %bb.7359:
	s_or_b64 exec, exec, s[8:9]
	s_and_b64 s[4:5], s[4:5], exec
	s_or_saveexec_b64 s[6:7], s[6:7]
	v_mov_b32_e32 v16, s10
	s_xor_b64 exec, exec, s[6:7]
	s_cbranch_execnz .LBB1_7360
; %bb.15543:
	s_getpc_b64 s[14:15]
.Lpost_getpc3675:
	s_add_u32 s14, s14, (.LBB1_3262-.Lpost_getpc3675)&4294967295
	s_addc_u32 s15, s15, (.LBB1_3262-.Lpost_getpc3675)>>32
	s_setpc_b64 s[14:15]
.LBB1_7360:
	v_mov_b32_e32 v16, 0
	v_cmp_ne_u16_sdwa s[8:9], v13, v16 src0_sel:BYTE_3 src1_sel:DWORD
	s_andn2_b64 s[4:5], s[4:5], exec
	s_and_b64 s[8:9], s[8:9], exec
	s_or_b64 s[4:5], s[4:5], s[8:9]
	s_or_b64 exec, exec, s[6:7]
	s_and_saveexec_b64 s[6:7], s[4:5]
	s_cbranch_execz .LBB1_9823
; %bb.15545:
	s_getpc_b64 s[14:15]
.Lpost_getpc3676:
	s_add_u32 s14, s14, (.LBB1_3263-.Lpost_getpc3676)&4294967295
	s_addc_u32 s15, s15, (.LBB1_3263-.Lpost_getpc3676)>>32
	s_setpc_b64 s[14:15]
.LBB1_9823:
	s_getpc_b64 s[14:15]
.Lpost_getpc815:
	s_add_u32 s14, s14, (.LBB1_3264-.Lpost_getpc815)&4294967295
	s_addc_u32 s15, s15, (.LBB1_3264-.Lpost_getpc815)>>32
	s_setpc_b64 s[14:15]
.LBB1_7361:
	s_movk_i32 s4, 0x80
	v_cmp_eq_u16_sdwa s[12:13], v18, s4 src0_sel:BYTE_0 src1_sel:DWORD
	s_mov_b64 s[4:5], -1
                                        ; implicit-def: $sgpr10
	s_and_saveexec_b64 s[8:9], s[12:13]
; %bb.7362:
	s_mov_b32 s10, 0x7f800001
	s_xor_b64 s[4:5], exec, -1
; %bb.7363:
	s_or_b64 exec, exec, s[8:9]
	s_and_b64 s[4:5], s[4:5], exec
	s_or_saveexec_b64 s[6:7], s[6:7]
	v_mov_b32_e32 v13, s10
	s_xor_b64 exec, exec, s[6:7]
	s_cbranch_execnz .LBB1_7364
; %bb.15547:
	s_getpc_b64 s[14:15]
.Lpost_getpc3677:
	s_add_u32 s14, s14, (.LBB1_3266-.Lpost_getpc3677)&4294967295
	s_addc_u32 s15, s15, (.LBB1_3266-.Lpost_getpc3677)>>32
	s_setpc_b64 s[14:15]
.LBB1_7364:
	v_mov_b32_e32 v13, 0
	v_cmp_ne_u16_sdwa s[8:9], v18, v13 src0_sel:BYTE_0 src1_sel:DWORD
	s_andn2_b64 s[4:5], s[4:5], exec
	s_and_b64 s[8:9], s[8:9], exec
	s_or_b64 s[4:5], s[4:5], s[8:9]
	s_or_b64 exec, exec, s[6:7]
	s_and_saveexec_b64 s[6:7], s[4:5]
	s_cbranch_execz .LBB1_9825
; %bb.15549:
	s_getpc_b64 s[14:15]
.Lpost_getpc3678:
	s_add_u32 s14, s14, (.LBB1_3267-.Lpost_getpc3678)&4294967295
	s_addc_u32 s15, s15, (.LBB1_3267-.Lpost_getpc3678)>>32
	s_setpc_b64 s[14:15]
.LBB1_9825:
	s_getpc_b64 s[14:15]
.Lpost_getpc816:
	s_add_u32 s14, s14, (.LBB1_3268-.Lpost_getpc816)&4294967295
	s_addc_u32 s15, s15, (.LBB1_3268-.Lpost_getpc816)>>32
	s_setpc_b64 s[14:15]
.LBB1_7365:
	s_movk_i32 s4, 0x80
	v_cmp_eq_u16_sdwa s[12:13], v16, s4 src0_sel:BYTE_0 src1_sel:DWORD
	s_mov_b64 s[4:5], -1
                                        ; implicit-def: $sgpr10
	s_and_saveexec_b64 s[8:9], s[12:13]
; %bb.7366:
	s_mov_b32 s10, 0x7f800001
	s_xor_b64 s[4:5], exec, -1
; %bb.7367:
	s_or_b64 exec, exec, s[8:9]
	s_and_b64 s[4:5], s[4:5], exec
	s_or_saveexec_b64 s[6:7], s[6:7]
	v_mov_b32_e32 v14, s10
	s_xor_b64 exec, exec, s[6:7]
	s_cbranch_execnz .LBB1_7368
; %bb.15551:
	s_getpc_b64 s[14:15]
.Lpost_getpc3679:
	s_add_u32 s14, s14, (.LBB1_3270-.Lpost_getpc3679)&4294967295
	s_addc_u32 s15, s15, (.LBB1_3270-.Lpost_getpc3679)>>32
	s_setpc_b64 s[14:15]
.LBB1_7368:
	v_mov_b32_e32 v14, 0
	v_cmp_ne_u16_sdwa s[8:9], v16, v14 src0_sel:BYTE_0 src1_sel:DWORD
	s_andn2_b64 s[4:5], s[4:5], exec
	s_and_b64 s[8:9], s[8:9], exec
	s_or_b64 s[4:5], s[4:5], s[8:9]
	s_or_b64 exec, exec, s[6:7]
	v_or_b32_sdwa v12, v16, v12 dst_sel:DWORD dst_unused:UNUSED_PAD src0_sel:WORD_0 src1_sel:DWORD
	s_and_saveexec_b64 s[6:7], s[4:5]
	s_cbranch_execz .LBB1_9827
; %bb.15553:
	s_getpc_b64 s[14:15]
.Lpost_getpc3680:
	s_add_u32 s14, s14, (.LBB1_3271-.Lpost_getpc3680)&4294967295
	s_addc_u32 s15, s15, (.LBB1_3271-.Lpost_getpc3680)>>32
	s_setpc_b64 s[14:15]
.LBB1_9827:
	s_getpc_b64 s[14:15]
.Lpost_getpc817:
	s_add_u32 s14, s14, (.LBB1_3272-.Lpost_getpc817)&4294967295
	s_addc_u32 s15, s15, (.LBB1_3272-.Lpost_getpc817)>>32
	s_setpc_b64 s[14:15]
.LBB1_7369:
	s_movk_i32 s4, 0x80
	v_cmp_eq_u16_sdwa s[12:13], v14, s4 src0_sel:BYTE_0 src1_sel:DWORD
	s_mov_b64 s[4:5], -1
                                        ; implicit-def: $sgpr10
	s_and_saveexec_b64 s[8:9], s[12:13]
; %bb.7370:
	s_mov_b32 s10, 0x7f800001
	s_xor_b64 s[4:5], exec, -1
; %bb.7371:
	s_or_b64 exec, exec, s[8:9]
	s_and_b64 s[4:5], s[4:5], exec
	s_or_saveexec_b64 s[6:7], s[6:7]
	v_mov_b32_e32 v13, s10
	s_xor_b64 exec, exec, s[6:7]
	s_cbranch_execnz .LBB1_7372
; %bb.15555:
	s_getpc_b64 s[14:15]
.Lpost_getpc3681:
	s_add_u32 s14, s14, (.LBB1_3274-.Lpost_getpc3681)&4294967295
	s_addc_u32 s15, s15, (.LBB1_3274-.Lpost_getpc3681)>>32
	s_setpc_b64 s[14:15]
.LBB1_7372:
	v_mov_b32_e32 v13, 0
	v_cmp_ne_u16_sdwa s[8:9], v14, v13 src0_sel:BYTE_0 src1_sel:DWORD
	s_andn2_b64 s[4:5], s[4:5], exec
	s_and_b64 s[8:9], s[8:9], exec
	s_or_b64 s[4:5], s[4:5], s[8:9]
	s_or_b64 exec, exec, s[6:7]
	s_and_saveexec_b64 s[6:7], s[4:5]
	s_cbranch_execz .LBB1_9829
; %bb.15557:
	s_getpc_b64 s[14:15]
.Lpost_getpc3682:
	s_add_u32 s14, s14, (.LBB1_3275-.Lpost_getpc3682)&4294967295
	s_addc_u32 s15, s15, (.LBB1_3275-.Lpost_getpc3682)>>32
	s_setpc_b64 s[14:15]
.LBB1_9829:
	s_getpc_b64 s[14:15]
.Lpost_getpc818:
	s_add_u32 s14, s14, (.LBB1_3276-.Lpost_getpc818)&4294967295
	s_addc_u32 s15, s15, (.LBB1_3276-.Lpost_getpc818)>>32
	s_setpc_b64 s[14:15]
.LBB1_7373:
	s_movk_i32 s4, 0x80
	v_cmp_eq_u16_sdwa s[12:13], v14, s4 src0_sel:BYTE_0 src1_sel:DWORD
	s_mov_b64 s[4:5], -1
                                        ; implicit-def: $sgpr10
	s_and_saveexec_b64 s[8:9], s[12:13]
; %bb.7374:
	s_mov_b32 s10, 0x7f800001
	s_xor_b64 s[4:5], exec, -1
; %bb.7375:
	s_or_b64 exec, exec, s[8:9]
	s_and_b64 s[4:5], s[4:5], exec
	s_or_saveexec_b64 s[6:7], s[6:7]
	v_mov_b32_e32 v16, s10
	s_xor_b64 exec, exec, s[6:7]
	s_cbranch_execnz .LBB1_7376
; %bb.15559:
	s_getpc_b64 s[14:15]
.Lpost_getpc3683:
	s_add_u32 s14, s14, (.LBB1_3278-.Lpost_getpc3683)&4294967295
	s_addc_u32 s15, s15, (.LBB1_3278-.Lpost_getpc3683)>>32
	s_setpc_b64 s[14:15]
.LBB1_7376:
	v_mov_b32_e32 v16, 0
	v_cmp_ne_u16_sdwa s[8:9], v14, v16 src0_sel:BYTE_0 src1_sel:DWORD
	s_andn2_b64 s[4:5], s[4:5], exec
	s_and_b64 s[8:9], s[8:9], exec
	s_or_b64 s[4:5], s[4:5], s[8:9]
	s_or_b64 exec, exec, s[6:7]
	s_and_saveexec_b64 s[6:7], s[4:5]
	s_cbranch_execz .LBB1_9831
; %bb.15561:
	s_getpc_b64 s[14:15]
.Lpost_getpc3684:
	s_add_u32 s14, s14, (.LBB1_3279-.Lpost_getpc3684)&4294967295
	s_addc_u32 s15, s15, (.LBB1_3279-.Lpost_getpc3684)>>32
	s_setpc_b64 s[14:15]
.LBB1_9831:
	s_getpc_b64 s[14:15]
.Lpost_getpc819:
	s_add_u32 s14, s14, (.LBB1_3280-.Lpost_getpc819)&4294967295
	s_addc_u32 s15, s15, (.LBB1_3280-.Lpost_getpc819)>>32
	s_setpc_b64 s[14:15]
.LBB1_7377:
	s_movk_i32 s4, 0x80
	v_cmp_eq_u16_e32 vcc, s4, v14
	s_mov_b64 s[4:5], -1
                                        ; implicit-def: $sgpr10
	s_and_saveexec_b64 s[8:9], vcc
; %bb.7378:
	s_mov_b32 s10, 0x7f800001
	s_xor_b64 s[4:5], exec, -1
; %bb.7379:
	s_or_b64 exec, exec, s[8:9]
	s_and_b64 s[4:5], s[4:5], exec
                                        ; implicit-def: $vgpr14
	s_or_saveexec_b64 s[6:7], s[6:7]
	v_mov_b32_e32 v13, s10
	s_xor_b64 exec, exec, s[6:7]
	s_cbranch_execnz .LBB1_7380
; %bb.15563:
	s_getpc_b64 s[14:15]
.Lpost_getpc3685:
	s_add_u32 s14, s14, (.LBB1_3282-.Lpost_getpc3685)&4294967295
	s_addc_u32 s15, s15, (.LBB1_3282-.Lpost_getpc3685)>>32
	s_setpc_b64 s[14:15]
.LBB1_7380:
	v_cmp_ne_u16_e32 vcc, 0, v14
	s_andn2_b64 s[4:5], s[4:5], exec
	s_and_b64 s[8:9], vcc, exec
	v_mov_b32_e32 v13, 0
	s_or_b64 s[4:5], s[4:5], s[8:9]
	s_or_b64 exec, exec, s[6:7]
	s_and_saveexec_b64 s[6:7], s[4:5]
	s_cbranch_execz .LBB1_9833
; %bb.15565:
	s_getpc_b64 s[14:15]
.Lpost_getpc3686:
	s_add_u32 s14, s14, (.LBB1_3283-.Lpost_getpc3686)&4294967295
	s_addc_u32 s15, s15, (.LBB1_3283-.Lpost_getpc3686)>>32
	s_setpc_b64 s[14:15]
.LBB1_9833:
	s_getpc_b64 s[14:15]
.Lpost_getpc820:
	s_add_u32 s14, s14, (.LBB1_3284-.Lpost_getpc820)&4294967295
	s_addc_u32 s15, s15, (.LBB1_3284-.Lpost_getpc820)>>32
	s_setpc_b64 s[14:15]
.LBB1_7381:
	s_movk_i32 s4, 0x80
	v_cmp_eq_u16_e32 vcc, s4, v14
	s_mov_b64 s[4:5], -1
                                        ; implicit-def: $sgpr10
	s_and_saveexec_b64 s[8:9], vcc
; %bb.7382:
	s_mov_b32 s10, 0x7f800001
	s_xor_b64 s[4:5], exec, -1
; %bb.7383:
	s_or_b64 exec, exec, s[8:9]
	s_and_b64 s[4:5], s[4:5], exec
                                        ; implicit-def: $vgpr14
	s_or_saveexec_b64 s[6:7], s[6:7]
	v_mov_b32_e32 v16, s10
	s_xor_b64 exec, exec, s[6:7]
	s_cbranch_execnz .LBB1_7384
; %bb.15567:
	s_getpc_b64 s[14:15]
.Lpost_getpc3687:
	s_add_u32 s14, s14, (.LBB1_3286-.Lpost_getpc3687)&4294967295
	s_addc_u32 s15, s15, (.LBB1_3286-.Lpost_getpc3687)>>32
	s_setpc_b64 s[14:15]
.LBB1_7384:
	v_cmp_ne_u16_e32 vcc, 0, v14
	s_andn2_b64 s[4:5], s[4:5], exec
	s_and_b64 s[8:9], vcc, exec
	v_mov_b32_e32 v16, 0
	s_or_b64 s[4:5], s[4:5], s[8:9]
	s_or_b64 exec, exec, s[6:7]
	s_and_saveexec_b64 s[6:7], s[4:5]
	s_cbranch_execz .LBB1_9835
; %bb.15569:
	s_getpc_b64 s[14:15]
.Lpost_getpc3688:
	s_add_u32 s14, s14, (.LBB1_3287-.Lpost_getpc3688)&4294967295
	s_addc_u32 s15, s15, (.LBB1_3287-.Lpost_getpc3688)>>32
	s_setpc_b64 s[14:15]
.LBB1_9835:
	s_getpc_b64 s[14:15]
.Lpost_getpc821:
	s_add_u32 s14, s14, (.LBB1_3288-.Lpost_getpc821)&4294967295
	s_addc_u32 s15, s15, (.LBB1_3288-.Lpost_getpc821)>>32
	s_setpc_b64 s[14:15]
.LBB1_7385:
	s_movk_i32 s4, 0x80
	v_cmp_eq_u16_sdwa s[12:13], v18, s4 src0_sel:BYTE_3 src1_sel:DWORD
	s_mov_b64 s[4:5], -1
                                        ; implicit-def: $sgpr10
	s_and_saveexec_b64 s[8:9], s[12:13]
; %bb.7386:
	s_mov_b32 s10, 0x7f800001
	s_xor_b64 s[4:5], exec, -1
; %bb.7387:
	s_or_b64 exec, exec, s[8:9]
	s_and_b64 s[4:5], s[4:5], exec
	s_or_saveexec_b64 s[6:7], s[6:7]
	v_mov_b32_e32 v13, s10
	s_xor_b64 exec, exec, s[6:7]
	s_cbranch_execnz .LBB1_7388
; %bb.15571:
	s_getpc_b64 s[14:15]
.Lpost_getpc3689:
	s_add_u32 s14, s14, (.LBB1_3290-.Lpost_getpc3689)&4294967295
	s_addc_u32 s15, s15, (.LBB1_3290-.Lpost_getpc3689)>>32
	s_setpc_b64 s[14:15]
.LBB1_7388:
	v_mov_b32_e32 v13, 0
	v_cmp_ne_u16_sdwa s[8:9], v18, v13 src0_sel:BYTE_3 src1_sel:DWORD
	s_andn2_b64 s[4:5], s[4:5], exec
	s_and_b64 s[8:9], s[8:9], exec
	s_or_b64 s[4:5], s[4:5], s[8:9]
	s_or_b64 exec, exec, s[6:7]
	s_and_saveexec_b64 s[6:7], s[4:5]
	s_cbranch_execz .LBB1_9837
; %bb.15573:
	s_getpc_b64 s[14:15]
.Lpost_getpc3690:
	s_add_u32 s14, s14, (.LBB1_3291-.Lpost_getpc3690)&4294967295
	s_addc_u32 s15, s15, (.LBB1_3291-.Lpost_getpc3690)>>32
	s_setpc_b64 s[14:15]
.LBB1_9837:
	s_getpc_b64 s[14:15]
.Lpost_getpc822:
	s_add_u32 s14, s14, (.LBB1_3292-.Lpost_getpc822)&4294967295
	s_addc_u32 s15, s15, (.LBB1_3292-.Lpost_getpc822)>>32
	s_setpc_b64 s[14:15]
.LBB1_7389:
	s_movk_i32 s4, 0x80
	v_cmp_eq_u16_sdwa s[12:13], v12, s4 src0_sel:BYTE_3 src1_sel:DWORD
	s_mov_b64 s[4:5], -1
                                        ; implicit-def: $sgpr10
	s_and_saveexec_b64 s[8:9], s[12:13]
; %bb.7390:
	s_mov_b32 s10, 0x7f800001
	s_xor_b64 s[4:5], exec, -1
; %bb.7391:
	s_or_b64 exec, exec, s[8:9]
	s_and_b64 s[4:5], s[4:5], exec
	s_or_saveexec_b64 s[6:7], s[6:7]
	v_mov_b32_e32 v14, s10
	s_xor_b64 exec, exec, s[6:7]
	s_cbranch_execnz .LBB1_7392
; %bb.15575:
	s_getpc_b64 s[14:15]
.Lpost_getpc3691:
	s_add_u32 s14, s14, (.LBB1_3294-.Lpost_getpc3691)&4294967295
	s_addc_u32 s15, s15, (.LBB1_3294-.Lpost_getpc3691)>>32
	s_setpc_b64 s[14:15]
.LBB1_7392:
	v_mov_b32_e32 v14, 0
	v_cmp_ne_u16_sdwa s[8:9], v12, v14 src0_sel:BYTE_3 src1_sel:DWORD
	s_andn2_b64 s[4:5], s[4:5], exec
	s_and_b64 s[8:9], s[8:9], exec
	s_or_b64 s[4:5], s[4:5], s[8:9]
	s_or_b64 exec, exec, s[6:7]
	s_and_saveexec_b64 s[6:7], s[4:5]
	s_cbranch_execz .LBB1_9839
; %bb.15577:
	s_getpc_b64 s[14:15]
.Lpost_getpc3692:
	s_add_u32 s14, s14, (.LBB1_3295-.Lpost_getpc3692)&4294967295
	s_addc_u32 s15, s15, (.LBB1_3295-.Lpost_getpc3692)>>32
	s_setpc_b64 s[14:15]
.LBB1_9839:
	s_getpc_b64 s[14:15]
.Lpost_getpc823:
	s_add_u32 s14, s14, (.LBB1_3296-.Lpost_getpc823)&4294967295
	s_addc_u32 s15, s15, (.LBB1_3296-.Lpost_getpc823)>>32
	s_setpc_b64 s[14:15]
.LBB1_7393:
	s_movk_i32 s4, 0x80
	v_cmp_eq_u16_sdwa s[12:13], v19, s4 src0_sel:BYTE_0 src1_sel:DWORD
	s_mov_b64 s[4:5], -1
                                        ; implicit-def: $sgpr10
	s_and_saveexec_b64 s[8:9], s[12:13]
; %bb.7394:
	s_mov_b32 s10, 0x7f800001
	s_xor_b64 s[4:5], exec, -1
; %bb.7395:
	s_or_b64 exec, exec, s[8:9]
	s_and_b64 s[4:5], s[4:5], exec
	s_or_saveexec_b64 s[6:7], s[6:7]
	v_mov_b32_e32 v12, s10
	s_xor_b64 exec, exec, s[6:7]
	s_cbranch_execnz .LBB1_7396
; %bb.15579:
	s_getpc_b64 s[14:15]
.Lpost_getpc3693:
	s_add_u32 s14, s14, (.LBB1_3298-.Lpost_getpc3693)&4294967295
	s_addc_u32 s15, s15, (.LBB1_3298-.Lpost_getpc3693)>>32
	s_setpc_b64 s[14:15]
.LBB1_7396:
	v_mov_b32_e32 v12, 0
	v_cmp_ne_u16_sdwa s[8:9], v19, v12 src0_sel:BYTE_0 src1_sel:DWORD
	s_andn2_b64 s[4:5], s[4:5], exec
	s_and_b64 s[8:9], s[8:9], exec
	s_or_b64 s[4:5], s[4:5], s[8:9]
	s_or_b64 exec, exec, s[6:7]
	s_and_saveexec_b64 s[6:7], s[4:5]
	s_cbranch_execz .LBB1_9841
; %bb.15581:
	s_getpc_b64 s[14:15]
.Lpost_getpc3694:
	s_add_u32 s14, s14, (.LBB1_3299-.Lpost_getpc3694)&4294967295
	s_addc_u32 s15, s15, (.LBB1_3299-.Lpost_getpc3694)>>32
	s_setpc_b64 s[14:15]
.LBB1_9841:
	s_getpc_b64 s[14:15]
.Lpost_getpc824:
	s_add_u32 s14, s14, (.LBB1_3300-.Lpost_getpc824)&4294967295
	s_addc_u32 s15, s15, (.LBB1_3300-.Lpost_getpc824)>>32
	s_setpc_b64 s[14:15]
.LBB1_7397:
	s_movk_i32 s4, 0x80
	v_cmp_eq_u16_sdwa s[12:13], v15, s4 src0_sel:BYTE_0 src1_sel:DWORD
	s_mov_b64 s[4:5], -1
                                        ; implicit-def: $sgpr10
	s_and_saveexec_b64 s[8:9], s[12:13]
; %bb.7398:
	s_mov_b32 s10, 0x7f800001
	s_xor_b64 s[4:5], exec, -1
; %bb.7399:
	s_or_b64 exec, exec, s[8:9]
	s_and_b64 s[4:5], s[4:5], exec
	s_or_saveexec_b64 s[6:7], s[6:7]
	v_mov_b32_e32 v13, s10
	s_xor_b64 exec, exec, s[6:7]
	s_cbranch_execnz .LBB1_7400
; %bb.15583:
	s_getpc_b64 s[14:15]
.Lpost_getpc3695:
	s_add_u32 s14, s14, (.LBB1_3302-.Lpost_getpc3695)&4294967295
	s_addc_u32 s15, s15, (.LBB1_3302-.Lpost_getpc3695)>>32
	s_setpc_b64 s[14:15]
.LBB1_7400:
	v_mov_b32_e32 v13, 0
	v_cmp_ne_u16_sdwa s[8:9], v15, v13 src0_sel:BYTE_0 src1_sel:DWORD
	s_andn2_b64 s[4:5], s[4:5], exec
	s_and_b64 s[8:9], s[8:9], exec
	s_or_b64 s[4:5], s[4:5], s[8:9]
	s_or_b64 exec, exec, s[6:7]
	s_and_saveexec_b64 s[6:7], s[4:5]
	s_cbranch_execz .LBB1_9843
; %bb.15585:
	s_getpc_b64 s[14:15]
.Lpost_getpc3696:
	s_add_u32 s14, s14, (.LBB1_3303-.Lpost_getpc3696)&4294967295
	s_addc_u32 s15, s15, (.LBB1_3303-.Lpost_getpc3696)>>32
	s_setpc_b64 s[14:15]
.LBB1_9843:
	s_getpc_b64 s[14:15]
.Lpost_getpc825:
	s_add_u32 s14, s14, (.LBB1_3304-.Lpost_getpc825)&4294967295
	s_addc_u32 s15, s15, (.LBB1_3304-.Lpost_getpc825)>>32
	s_setpc_b64 s[14:15]
.LBB1_7401:
	s_movk_i32 s4, 0x80
	v_cmp_eq_u16_sdwa s[12:13], v13, s4 src0_sel:BYTE_0 src1_sel:DWORD
	s_mov_b64 s[4:5], -1
                                        ; implicit-def: $sgpr10
	s_and_saveexec_b64 s[8:9], s[12:13]
; %bb.7402:
	s_mov_b32 s10, 0x7f800001
	s_xor_b64 s[4:5], exec, -1
; %bb.7403:
	s_or_b64 exec, exec, s[8:9]
	s_and_b64 s[4:5], s[4:5], exec
	s_or_saveexec_b64 s[6:7], s[6:7]
	v_mov_b32_e32 v12, s10
	s_xor_b64 exec, exec, s[6:7]
	s_cbranch_execnz .LBB1_7404
; %bb.15587:
	s_getpc_b64 s[14:15]
.Lpost_getpc3697:
	s_add_u32 s14, s14, (.LBB1_3306-.Lpost_getpc3697)&4294967295
	s_addc_u32 s15, s15, (.LBB1_3306-.Lpost_getpc3697)>>32
	s_setpc_b64 s[14:15]
.LBB1_7404:
	v_mov_b32_e32 v12, 0
	v_cmp_ne_u16_sdwa s[8:9], v13, v12 src0_sel:BYTE_0 src1_sel:DWORD
	s_andn2_b64 s[4:5], s[4:5], exec
	s_and_b64 s[8:9], s[8:9], exec
	s_or_b64 s[4:5], s[4:5], s[8:9]
	s_or_b64 exec, exec, s[6:7]
	s_and_saveexec_b64 s[6:7], s[4:5]
	s_cbranch_execz .LBB1_9845
; %bb.15589:
	s_getpc_b64 s[14:15]
.Lpost_getpc3698:
	s_add_u32 s14, s14, (.LBB1_3307-.Lpost_getpc3698)&4294967295
	s_addc_u32 s15, s15, (.LBB1_3307-.Lpost_getpc3698)>>32
	s_setpc_b64 s[14:15]
.LBB1_9845:
	s_getpc_b64 s[14:15]
.Lpost_getpc826:
	s_add_u32 s14, s14, (.LBB1_3308-.Lpost_getpc826)&4294967295
	s_addc_u32 s15, s15, (.LBB1_3308-.Lpost_getpc826)>>32
	s_setpc_b64 s[14:15]
.LBB1_7405:
	s_movk_i32 s4, 0x80
	v_cmp_eq_u16_sdwa s[12:13], v13, s4 src0_sel:BYTE_0 src1_sel:DWORD
	s_mov_b64 s[4:5], -1
                                        ; implicit-def: $sgpr10
	s_and_saveexec_b64 s[8:9], s[12:13]
; %bb.7406:
	s_mov_b32 s10, 0x7f800001
	s_xor_b64 s[4:5], exec, -1
; %bb.7407:
	s_or_b64 exec, exec, s[8:9]
	s_and_b64 s[4:5], s[4:5], exec
	s_or_saveexec_b64 s[6:7], s[6:7]
	v_mov_b32_e32 v14, s10
	s_xor_b64 exec, exec, s[6:7]
	s_cbranch_execnz .LBB1_7408
; %bb.15591:
	s_getpc_b64 s[14:15]
.Lpost_getpc3699:
	s_add_u32 s14, s14, (.LBB1_3310-.Lpost_getpc3699)&4294967295
	s_addc_u32 s15, s15, (.LBB1_3310-.Lpost_getpc3699)>>32
	s_setpc_b64 s[14:15]
.LBB1_7408:
	v_mov_b32_e32 v14, 0
	v_cmp_ne_u16_sdwa s[8:9], v13, v14 src0_sel:BYTE_0 src1_sel:DWORD
	s_andn2_b64 s[4:5], s[4:5], exec
	s_and_b64 s[8:9], s[8:9], exec
	s_or_b64 s[4:5], s[4:5], s[8:9]
	s_or_b64 exec, exec, s[6:7]
	s_and_saveexec_b64 s[6:7], s[4:5]
	s_cbranch_execz .LBB1_9847
; %bb.15593:
	s_getpc_b64 s[14:15]
.Lpost_getpc3700:
	s_add_u32 s14, s14, (.LBB1_3311-.Lpost_getpc3700)&4294967295
	s_addc_u32 s15, s15, (.LBB1_3311-.Lpost_getpc3700)>>32
	s_setpc_b64 s[14:15]
.LBB1_9847:
	s_getpc_b64 s[14:15]
.Lpost_getpc827:
	s_add_u32 s14, s14, (.LBB1_3312-.Lpost_getpc827)&4294967295
	s_addc_u32 s15, s15, (.LBB1_3312-.Lpost_getpc827)>>32
	s_setpc_b64 s[14:15]
.LBB1_7409:
	s_movk_i32 s4, 0x80
	v_cmp_eq_u16_e32 vcc, s4, v13
	s_mov_b64 s[4:5], -1
                                        ; implicit-def: $sgpr10
	s_and_saveexec_b64 s[8:9], vcc
; %bb.7410:
	s_mov_b32 s10, 0x7f800001
	s_xor_b64 s[4:5], exec, -1
; %bb.7411:
	s_or_b64 exec, exec, s[8:9]
	s_and_b64 s[4:5], s[4:5], exec
                                        ; implicit-def: $vgpr13
	s_or_saveexec_b64 s[6:7], s[6:7]
	v_mov_b32_e32 v12, s10
	s_xor_b64 exec, exec, s[6:7]
	s_cbranch_execnz .LBB1_7412
; %bb.15595:
	s_getpc_b64 s[14:15]
.Lpost_getpc3701:
	s_add_u32 s14, s14, (.LBB1_3314-.Lpost_getpc3701)&4294967295
	s_addc_u32 s15, s15, (.LBB1_3314-.Lpost_getpc3701)>>32
	s_setpc_b64 s[14:15]
.LBB1_7412:
	v_cmp_ne_u16_e32 vcc, 0, v13
	s_andn2_b64 s[4:5], s[4:5], exec
	s_and_b64 s[8:9], vcc, exec
	v_mov_b32_e32 v12, 0
	s_or_b64 s[4:5], s[4:5], s[8:9]
	s_or_b64 exec, exec, s[6:7]
	s_and_saveexec_b64 s[6:7], s[4:5]
	s_cbranch_execz .LBB1_9849
; %bb.15597:
	s_getpc_b64 s[14:15]
.Lpost_getpc3702:
	s_add_u32 s14, s14, (.LBB1_3315-.Lpost_getpc3702)&4294967295
	s_addc_u32 s15, s15, (.LBB1_3315-.Lpost_getpc3702)>>32
	s_setpc_b64 s[14:15]
.LBB1_9849:
	s_getpc_b64 s[14:15]
.Lpost_getpc828:
	s_add_u32 s14, s14, (.LBB1_3316-.Lpost_getpc828)&4294967295
	s_addc_u32 s15, s15, (.LBB1_3316-.Lpost_getpc828)>>32
	s_setpc_b64 s[14:15]
.LBB1_7413:
	s_movk_i32 s4, 0x80
	v_cmp_eq_u16_e32 vcc, s4, v13
	s_mov_b64 s[4:5], -1
                                        ; implicit-def: $sgpr10
	s_and_saveexec_b64 s[8:9], vcc
; %bb.7414:
	s_mov_b32 s10, 0x7f800001
	s_xor_b64 s[4:5], exec, -1
; %bb.7415:
	s_or_b64 exec, exec, s[8:9]
	s_and_b64 s[4:5], s[4:5], exec
                                        ; implicit-def: $vgpr13
	s_or_saveexec_b64 s[6:7], s[6:7]
	v_mov_b32_e32 v14, s10
	s_xor_b64 exec, exec, s[6:7]
	s_cbranch_execnz .LBB1_7416
; %bb.15599:
	s_getpc_b64 s[14:15]
.Lpost_getpc3703:
	s_add_u32 s14, s14, (.LBB1_3318-.Lpost_getpc3703)&4294967295
	s_addc_u32 s15, s15, (.LBB1_3318-.Lpost_getpc3703)>>32
	s_setpc_b64 s[14:15]
.LBB1_7416:
	v_cmp_ne_u16_e32 vcc, 0, v13
	s_andn2_b64 s[4:5], s[4:5], exec
	s_and_b64 s[8:9], vcc, exec
	v_mov_b32_e32 v14, 0
	s_or_b64 s[4:5], s[4:5], s[8:9]
	s_or_b64 exec, exec, s[6:7]
	s_and_saveexec_b64 s[6:7], s[4:5]
	s_cbranch_execz .LBB1_9851
; %bb.15601:
	s_getpc_b64 s[14:15]
.Lpost_getpc3704:
	s_add_u32 s14, s14, (.LBB1_3319-.Lpost_getpc3704)&4294967295
	s_addc_u32 s15, s15, (.LBB1_3319-.Lpost_getpc3704)>>32
	s_setpc_b64 s[14:15]
.LBB1_9851:
	s_getpc_b64 s[14:15]
.Lpost_getpc829:
	s_add_u32 s14, s14, (.LBB1_3320-.Lpost_getpc829)&4294967295
	s_addc_u32 s15, s15, (.LBB1_3320-.Lpost_getpc829)>>32
	s_setpc_b64 s[14:15]
.LBB1_7417:
	s_movk_i32 s4, 0x80
	v_cmp_eq_u16_sdwa s[12:13], v19, s4 src0_sel:BYTE_3 src1_sel:DWORD
	s_mov_b64 s[4:5], -1
                                        ; implicit-def: $sgpr10
	s_and_saveexec_b64 s[8:9], s[12:13]
; %bb.7418:
	s_mov_b32 s10, 0x7f800001
	s_xor_b64 s[4:5], exec, -1
; %bb.7419:
	s_or_b64 exec, exec, s[8:9]
	s_and_b64 s[4:5], s[4:5], exec
	s_or_saveexec_b64 s[6:7], s[6:7]
	v_mov_b32_e32 v12, s10
	s_xor_b64 exec, exec, s[6:7]
	s_cbranch_execnz .LBB1_7420
; %bb.15603:
	s_getpc_b64 s[14:15]
.Lpost_getpc3705:
	s_add_u32 s14, s14, (.LBB1_3322-.Lpost_getpc3705)&4294967295
	s_addc_u32 s15, s15, (.LBB1_3322-.Lpost_getpc3705)>>32
	s_setpc_b64 s[14:15]
.LBB1_7420:
	v_mov_b32_e32 v12, 0
	v_cmp_ne_u16_sdwa s[8:9], v19, v12 src0_sel:BYTE_3 src1_sel:DWORD
	s_andn2_b64 s[4:5], s[4:5], exec
	s_and_b64 s[8:9], s[8:9], exec
	s_or_b64 s[4:5], s[4:5], s[8:9]
	s_or_b64 exec, exec, s[6:7]
	s_and_saveexec_b64 s[6:7], s[4:5]
	s_cbranch_execz .LBB1_9853
; %bb.15605:
	s_getpc_b64 s[14:15]
.Lpost_getpc3706:
	s_add_u32 s14, s14, (.LBB1_3323-.Lpost_getpc3706)&4294967295
	s_addc_u32 s15, s15, (.LBB1_3323-.Lpost_getpc3706)>>32
	s_setpc_b64 s[14:15]
.LBB1_9853:
	s_getpc_b64 s[14:15]
.Lpost_getpc830:
	s_add_u32 s14, s14, (.LBB1_3324-.Lpost_getpc830)&4294967295
	s_addc_u32 s15, s15, (.LBB1_3324-.Lpost_getpc830)>>32
	s_setpc_b64 s[14:15]
.LBB1_7421:
	s_movk_i32 s4, 0x80
	v_cmp_eq_u16_sdwa s[12:13], v15, s4 src0_sel:BYTE_3 src1_sel:DWORD
	s_mov_b64 s[4:5], -1
                                        ; implicit-def: $sgpr10
	s_and_saveexec_b64 s[8:9], s[12:13]
; %bb.7422:
	s_mov_b32 s10, 0x7f800001
	s_xor_b64 s[4:5], exec, -1
; %bb.7423:
	s_or_b64 exec, exec, s[8:9]
	s_and_b64 s[4:5], s[4:5], exec
	s_or_saveexec_b64 s[6:7], s[6:7]
	v_mov_b32_e32 v13, s10
	s_xor_b64 exec, exec, s[6:7]
	s_cbranch_execnz .LBB1_7424
; %bb.15607:
	s_getpc_b64 s[14:15]
.Lpost_getpc3707:
	s_add_u32 s14, s14, (.LBB1_3326-.Lpost_getpc3707)&4294967295
	s_addc_u32 s15, s15, (.LBB1_3326-.Lpost_getpc3707)>>32
	s_setpc_b64 s[14:15]
.LBB1_7424:
	v_mov_b32_e32 v13, 0
	v_cmp_ne_u16_sdwa s[8:9], v15, v13 src0_sel:BYTE_3 src1_sel:DWORD
	s_andn2_b64 s[4:5], s[4:5], exec
	s_and_b64 s[8:9], s[8:9], exec
	s_or_b64 s[4:5], s[4:5], s[8:9]
	s_or_b64 exec, exec, s[6:7]
	s_and_saveexec_b64 s[6:7], s[4:5]
	s_cbranch_execz .LBB1_9855
; %bb.15609:
	s_getpc_b64 s[14:15]
.Lpost_getpc3708:
	s_add_u32 s14, s14, (.LBB1_3327-.Lpost_getpc3708)&4294967295
	s_addc_u32 s15, s15, (.LBB1_3327-.Lpost_getpc3708)>>32
	s_setpc_b64 s[14:15]
.LBB1_9855:
	s_getpc_b64 s[14:15]
.Lpost_getpc831:
	s_add_u32 s14, s14, (.LBB1_3328-.Lpost_getpc831)&4294967295
	s_addc_u32 s15, s15, (.LBB1_3328-.Lpost_getpc831)>>32
	s_setpc_b64 s[14:15]
.LBB1_7425:
	s_movk_i32 s4, 0x80
	v_cmp_eq_u16_sdwa s[12:13], v16, s4 src0_sel:BYTE_0 src1_sel:DWORD
	s_mov_b64 s[4:5], -1
                                        ; implicit-def: $sgpr10
	s_and_saveexec_b64 s[8:9], s[12:13]
; %bb.7426:
	s_mov_b32 s10, 0x7f800001
	s_xor_b64 s[4:5], exec, -1
; %bb.7427:
	s_or_b64 exec, exec, s[8:9]
	s_and_b64 s[4:5], s[4:5], exec
	s_or_saveexec_b64 s[6:7], s[6:7]
	v_mov_b32_e32 v21, s10
	s_xor_b64 exec, exec, s[6:7]
	s_cbranch_execnz .LBB1_7428
; %bb.15611:
	s_getpc_b64 s[14:15]
.Lpost_getpc3709:
	s_add_u32 s14, s14, (.LBB1_3330-.Lpost_getpc3709)&4294967295
	s_addc_u32 s15, s15, (.LBB1_3330-.Lpost_getpc3709)>>32
	s_setpc_b64 s[14:15]
.LBB1_7428:
	v_mov_b32_e32 v21, 0
	v_cmp_ne_u16_sdwa s[8:9], v16, v21 src0_sel:BYTE_0 src1_sel:DWORD
	s_andn2_b64 s[4:5], s[4:5], exec
	s_and_b64 s[8:9], s[8:9], exec
	s_or_b64 s[4:5], s[4:5], s[8:9]
	s_or_b64 exec, exec, s[6:7]
	s_and_saveexec_b64 s[6:7], s[4:5]
	s_cbranch_execz .LBB1_9857
; %bb.15613:
	s_getpc_b64 s[14:15]
.Lpost_getpc3710:
	s_add_u32 s14, s14, (.LBB1_3331-.Lpost_getpc3710)&4294967295
	s_addc_u32 s15, s15, (.LBB1_3331-.Lpost_getpc3710)>>32
	s_setpc_b64 s[14:15]
.LBB1_9857:
	s_getpc_b64 s[14:15]
.Lpost_getpc832:
	s_add_u32 s14, s14, (.LBB1_3332-.Lpost_getpc832)&4294967295
	s_addc_u32 s15, s15, (.LBB1_3332-.Lpost_getpc832)>>32
	s_setpc_b64 s[14:15]
.LBB1_7429:
	s_movk_i32 s4, 0x80
	v_cmp_eq_u16_sdwa s[12:13], v12, s4 src0_sel:BYTE_0 src1_sel:DWORD
	s_mov_b64 s[4:5], -1
                                        ; implicit-def: $sgpr10
	s_and_saveexec_b64 s[8:9], s[12:13]
; %bb.7430:
	s_mov_b32 s10, 0x7f800001
	s_xor_b64 s[4:5], exec, -1
; %bb.7431:
	s_or_b64 exec, exec, s[8:9]
	s_and_b64 s[4:5], s[4:5], exec
	s_or_saveexec_b64 s[6:7], s[6:7]
	v_mov_b32_e32 v22, s10
	s_xor_b64 exec, exec, s[6:7]
	s_cbranch_execnz .LBB1_7432
; %bb.15615:
	s_getpc_b64 s[14:15]
.Lpost_getpc3711:
	s_add_u32 s14, s14, (.LBB1_3334-.Lpost_getpc3711)&4294967295
	s_addc_u32 s15, s15, (.LBB1_3334-.Lpost_getpc3711)>>32
	s_setpc_b64 s[14:15]
.LBB1_7432:
	v_mov_b32_e32 v22, 0
	v_cmp_ne_u16_sdwa s[8:9], v12, v22 src0_sel:BYTE_0 src1_sel:DWORD
	s_andn2_b64 s[4:5], s[4:5], exec
	s_and_b64 s[8:9], s[8:9], exec
	s_or_b64 s[4:5], s[4:5], s[8:9]
	s_or_b64 exec, exec, s[6:7]
	s_and_saveexec_b64 s[6:7], s[4:5]
	s_cbranch_execz .LBB1_9859
; %bb.15617:
	s_getpc_b64 s[14:15]
.Lpost_getpc3712:
	s_add_u32 s14, s14, (.LBB1_3335-.Lpost_getpc3712)&4294967295
	s_addc_u32 s15, s15, (.LBB1_3335-.Lpost_getpc3712)>>32
	s_setpc_b64 s[14:15]
.LBB1_9859:
	s_getpc_b64 s[14:15]
.Lpost_getpc833:
	s_add_u32 s14, s14, (.LBB1_3336-.Lpost_getpc833)&4294967295
	s_addc_u32 s15, s15, (.LBB1_3336-.Lpost_getpc833)>>32
	s_setpc_b64 s[14:15]
.LBB1_7433:
	s_movk_i32 s4, 0x80
	v_cmp_eq_u16_sdwa s[12:13], v22, s4 src0_sel:BYTE_0 src1_sel:DWORD
	s_mov_b64 s[4:5], -1
                                        ; implicit-def: $sgpr10
	s_and_saveexec_b64 s[8:9], s[12:13]
; %bb.7434:
	s_mov_b32 s10, 0x7f800001
	s_xor_b64 s[4:5], exec, -1
; %bb.7435:
	s_or_b64 exec, exec, s[8:9]
	s_and_b64 s[4:5], s[4:5], exec
	s_or_saveexec_b64 s[6:7], s[6:7]
	v_mov_b32_e32 v21, s10
	s_xor_b64 exec, exec, s[6:7]
	s_cbranch_execnz .LBB1_7436
; %bb.15619:
	s_getpc_b64 s[14:15]
.Lpost_getpc3713:
	s_add_u32 s14, s14, (.LBB1_3338-.Lpost_getpc3713)&4294967295
	s_addc_u32 s15, s15, (.LBB1_3338-.Lpost_getpc3713)>>32
	s_setpc_b64 s[14:15]
.LBB1_7436:
	v_mov_b32_e32 v21, 0
	v_cmp_ne_u16_sdwa s[8:9], v22, v21 src0_sel:BYTE_0 src1_sel:DWORD
	s_andn2_b64 s[4:5], s[4:5], exec
	s_and_b64 s[8:9], s[8:9], exec
	s_or_b64 s[4:5], s[4:5], s[8:9]
	s_or_b64 exec, exec, s[6:7]
	s_and_saveexec_b64 s[6:7], s[4:5]
	s_cbranch_execz .LBB1_9861
; %bb.15621:
	s_getpc_b64 s[14:15]
.Lpost_getpc3714:
	s_add_u32 s14, s14, (.LBB1_3339-.Lpost_getpc3714)&4294967295
	s_addc_u32 s15, s15, (.LBB1_3339-.Lpost_getpc3714)>>32
	s_setpc_b64 s[14:15]
.LBB1_9861:
	s_getpc_b64 s[14:15]
.Lpost_getpc834:
	s_add_u32 s14, s14, (.LBB1_3340-.Lpost_getpc834)&4294967295
	s_addc_u32 s15, s15, (.LBB1_3340-.Lpost_getpc834)>>32
	s_setpc_b64 s[14:15]
.LBB1_7437:
	s_movk_i32 s4, 0x80
	v_cmp_eq_u16_sdwa s[12:13], v22, s4 src0_sel:BYTE_0 src1_sel:DWORD
	s_mov_b64 s[4:5], -1
                                        ; implicit-def: $sgpr10
	s_and_saveexec_b64 s[8:9], s[12:13]
; %bb.7438:
	s_mov_b32 s10, 0x7f800001
	s_xor_b64 s[4:5], exec, -1
; %bb.7439:
	s_or_b64 exec, exec, s[8:9]
	s_and_b64 s[4:5], s[4:5], exec
	s_or_saveexec_b64 s[6:7], s[6:7]
	v_mov_b32_e32 v23, s10
	s_xor_b64 exec, exec, s[6:7]
	s_cbranch_execnz .LBB1_7440
; %bb.15623:
	s_getpc_b64 s[14:15]
.Lpost_getpc3715:
	s_add_u32 s14, s14, (.LBB1_3342-.Lpost_getpc3715)&4294967295
	s_addc_u32 s15, s15, (.LBB1_3342-.Lpost_getpc3715)>>32
	s_setpc_b64 s[14:15]
.LBB1_7440:
	v_mov_b32_e32 v23, 0
	v_cmp_ne_u16_sdwa s[8:9], v22, v23 src0_sel:BYTE_0 src1_sel:DWORD
	s_andn2_b64 s[4:5], s[4:5], exec
	s_and_b64 s[8:9], s[8:9], exec
	s_or_b64 s[4:5], s[4:5], s[8:9]
	s_or_b64 exec, exec, s[6:7]
	s_and_saveexec_b64 s[6:7], s[4:5]
	s_cbranch_execz .LBB1_9863
; %bb.15625:
	s_getpc_b64 s[14:15]
.Lpost_getpc3716:
	s_add_u32 s14, s14, (.LBB1_3343-.Lpost_getpc3716)&4294967295
	s_addc_u32 s15, s15, (.LBB1_3343-.Lpost_getpc3716)>>32
	s_setpc_b64 s[14:15]
.LBB1_9863:
	s_getpc_b64 s[14:15]
.Lpost_getpc835:
	s_add_u32 s14, s14, (.LBB1_3344-.Lpost_getpc835)&4294967295
	s_addc_u32 s15, s15, (.LBB1_3344-.Lpost_getpc835)>>32
	s_setpc_b64 s[14:15]
.LBB1_7441:
	s_movk_i32 s4, 0x80
	v_cmp_eq_u16_e32 vcc, s4, v22
	s_mov_b64 s[4:5], -1
                                        ; implicit-def: $sgpr10
	s_and_saveexec_b64 s[8:9], vcc
; %bb.7442:
	s_mov_b32 s10, 0x7f800001
	s_xor_b64 s[4:5], exec, -1
; %bb.7443:
	s_or_b64 exec, exec, s[8:9]
	s_and_b64 s[4:5], s[4:5], exec
                                        ; implicit-def: $vgpr22
	s_or_saveexec_b64 s[6:7], s[6:7]
	v_mov_b32_e32 v21, s10
	s_xor_b64 exec, exec, s[6:7]
	s_cbranch_execnz .LBB1_7444
; %bb.15627:
	s_getpc_b64 s[14:15]
.Lpost_getpc3717:
	s_add_u32 s14, s14, (.LBB1_3346-.Lpost_getpc3717)&4294967295
	s_addc_u32 s15, s15, (.LBB1_3346-.Lpost_getpc3717)>>32
	s_setpc_b64 s[14:15]
.LBB1_7444:
	v_cmp_ne_u16_e32 vcc, 0, v22
	s_andn2_b64 s[4:5], s[4:5], exec
	s_and_b64 s[8:9], vcc, exec
	v_mov_b32_e32 v21, 0
	s_or_b64 s[4:5], s[4:5], s[8:9]
	s_or_b64 exec, exec, s[6:7]
	s_and_saveexec_b64 s[6:7], s[4:5]
	s_cbranch_execz .LBB1_9865
; %bb.15629:
	s_getpc_b64 s[14:15]
.Lpost_getpc3718:
	s_add_u32 s14, s14, (.LBB1_3347-.Lpost_getpc3718)&4294967295
	s_addc_u32 s15, s15, (.LBB1_3347-.Lpost_getpc3718)>>32
	s_setpc_b64 s[14:15]
.LBB1_9865:
	s_getpc_b64 s[14:15]
.Lpost_getpc836:
	s_add_u32 s14, s14, (.LBB1_3348-.Lpost_getpc836)&4294967295
	s_addc_u32 s15, s15, (.LBB1_3348-.Lpost_getpc836)>>32
	s_setpc_b64 s[14:15]
.LBB1_7445:
	s_movk_i32 s4, 0x80
	v_cmp_eq_u16_e32 vcc, s4, v22
	s_mov_b64 s[4:5], -1
                                        ; implicit-def: $sgpr10
	s_and_saveexec_b64 s[8:9], vcc
; %bb.7446:
	s_mov_b32 s10, 0x7f800001
	s_xor_b64 s[4:5], exec, -1
; %bb.7447:
	s_or_b64 exec, exec, s[8:9]
	s_and_b64 s[4:5], s[4:5], exec
                                        ; implicit-def: $vgpr22
	s_or_saveexec_b64 s[6:7], s[6:7]
	v_mov_b32_e32 v23, s10
	s_xor_b64 exec, exec, s[6:7]
	s_cbranch_execnz .LBB1_7448
; %bb.15631:
	s_getpc_b64 s[14:15]
.Lpost_getpc3719:
	s_add_u32 s14, s14, (.LBB1_3350-.Lpost_getpc3719)&4294967295
	s_addc_u32 s15, s15, (.LBB1_3350-.Lpost_getpc3719)>>32
	s_setpc_b64 s[14:15]
.LBB1_7448:
	v_cmp_ne_u16_e32 vcc, 0, v22
	s_andn2_b64 s[4:5], s[4:5], exec
	s_and_b64 s[8:9], vcc, exec
	v_mov_b32_e32 v23, 0
	s_or_b64 s[4:5], s[4:5], s[8:9]
	s_or_b64 exec, exec, s[6:7]
	s_and_saveexec_b64 s[6:7], s[4:5]
	s_cbranch_execz .LBB1_9867
; %bb.15633:
	s_getpc_b64 s[14:15]
.Lpost_getpc3720:
	s_add_u32 s14, s14, (.LBB1_3351-.Lpost_getpc3720)&4294967295
	s_addc_u32 s15, s15, (.LBB1_3351-.Lpost_getpc3720)>>32
	s_setpc_b64 s[14:15]
.LBB1_9867:
	s_getpc_b64 s[14:15]
.Lpost_getpc837:
	s_add_u32 s14, s14, (.LBB1_3352-.Lpost_getpc837)&4294967295
	s_addc_u32 s15, s15, (.LBB1_3352-.Lpost_getpc837)>>32
	s_setpc_b64 s[14:15]
.LBB1_7449:
	s_movk_i32 s4, 0x80
	v_cmp_eq_u16_sdwa s[12:13], v16, s4 src0_sel:BYTE_3 src1_sel:DWORD
	s_mov_b64 s[4:5], -1
                                        ; implicit-def: $sgpr10
	s_and_saveexec_b64 s[8:9], s[12:13]
; %bb.7450:
	s_mov_b32 s10, 0x7f800001
	s_xor_b64 s[4:5], exec, -1
; %bb.7451:
	s_or_b64 exec, exec, s[8:9]
	s_and_b64 s[4:5], s[4:5], exec
	s_or_saveexec_b64 s[6:7], s[6:7]
	v_mov_b32_e32 v21, s10
	s_xor_b64 exec, exec, s[6:7]
	s_cbranch_execnz .LBB1_7452
; %bb.15635:
	s_getpc_b64 s[14:15]
.Lpost_getpc3721:
	s_add_u32 s14, s14, (.LBB1_3354-.Lpost_getpc3721)&4294967295
	s_addc_u32 s15, s15, (.LBB1_3354-.Lpost_getpc3721)>>32
	s_setpc_b64 s[14:15]
.LBB1_7452:
	v_mov_b32_e32 v21, 0
	v_cmp_ne_u16_sdwa s[8:9], v16, v21 src0_sel:BYTE_3 src1_sel:DWORD
	s_andn2_b64 s[4:5], s[4:5], exec
	s_and_b64 s[8:9], s[8:9], exec
	s_or_b64 s[4:5], s[4:5], s[8:9]
	s_or_b64 exec, exec, s[6:7]
	s_and_saveexec_b64 s[6:7], s[4:5]
	s_cbranch_execz .LBB1_9869
; %bb.15637:
	s_getpc_b64 s[14:15]
.Lpost_getpc3722:
	s_add_u32 s14, s14, (.LBB1_3355-.Lpost_getpc3722)&4294967295
	s_addc_u32 s15, s15, (.LBB1_3355-.Lpost_getpc3722)>>32
	s_setpc_b64 s[14:15]
.LBB1_9869:
	s_getpc_b64 s[14:15]
.Lpost_getpc838:
	s_add_u32 s14, s14, (.LBB1_3356-.Lpost_getpc838)&4294967295
	s_addc_u32 s15, s15, (.LBB1_3356-.Lpost_getpc838)>>32
	s_setpc_b64 s[14:15]
.LBB1_7453:
	s_movk_i32 s4, 0x80
	v_cmp_eq_u16_sdwa s[12:13], v12, s4 src0_sel:BYTE_3 src1_sel:DWORD
	s_mov_b64 s[4:5], -1
                                        ; implicit-def: $sgpr10
	s_and_saveexec_b64 s[8:9], s[12:13]
; %bb.7454:
	s_mov_b32 s10, 0x7f800001
	s_xor_b64 s[4:5], exec, -1
; %bb.7455:
	s_or_b64 exec, exec, s[8:9]
	s_and_b64 s[4:5], s[4:5], exec
	s_or_saveexec_b64 s[6:7], s[6:7]
	v_mov_b32_e32 v16, s10
	s_xor_b64 exec, exec, s[6:7]
	s_cbranch_execnz .LBB1_7456
; %bb.15639:
	s_getpc_b64 s[14:15]
.Lpost_getpc3723:
	s_add_u32 s14, s14, (.LBB1_3358-.Lpost_getpc3723)&4294967295
	s_addc_u32 s15, s15, (.LBB1_3358-.Lpost_getpc3723)>>32
	s_setpc_b64 s[14:15]
.LBB1_7456:
	v_mov_b32_e32 v16, 0
	v_cmp_ne_u16_sdwa s[8:9], v12, v16 src0_sel:BYTE_3 src1_sel:DWORD
	s_andn2_b64 s[4:5], s[4:5], exec
	s_and_b64 s[8:9], s[8:9], exec
	s_or_b64 s[4:5], s[4:5], s[8:9]
	s_or_b64 exec, exec, s[6:7]
	s_and_saveexec_b64 s[6:7], s[4:5]
	s_cbranch_execz .LBB1_9871
; %bb.15641:
	s_getpc_b64 s[14:15]
.Lpost_getpc3724:
	s_add_u32 s14, s14, (.LBB1_3359-.Lpost_getpc3724)&4294967295
	s_addc_u32 s15, s15, (.LBB1_3359-.Lpost_getpc3724)>>32
	s_setpc_b64 s[14:15]
.LBB1_9871:
	s_getpc_b64 s[14:15]
.Lpost_getpc839:
	s_add_u32 s14, s14, (.LBB1_3360-.Lpost_getpc839)&4294967295
	s_addc_u32 s15, s15, (.LBB1_3360-.Lpost_getpc839)>>32
	s_setpc_b64 s[14:15]
.LBB1_7457:
	s_movk_i32 s4, 0x80
	v_cmp_eq_u16_sdwa s[12:13], v17, s4 src0_sel:BYTE_0 src1_sel:DWORD
	s_mov_b64 s[4:5], -1
                                        ; implicit-def: $sgpr10
	s_and_saveexec_b64 s[8:9], s[12:13]
; %bb.7458:
	s_mov_b32 s10, 0x7f800001
	s_xor_b64 s[4:5], exec, -1
; %bb.7459:
	s_or_b64 exec, exec, s[8:9]
	s_and_b64 s[4:5], s[4:5], exec
	s_or_saveexec_b64 s[6:7], s[6:7]
	v_mov_b32_e32 v12, s10
	s_xor_b64 exec, exec, s[6:7]
	s_cbranch_execnz .LBB1_7460
; %bb.15643:
	s_getpc_b64 s[14:15]
.Lpost_getpc3725:
	s_add_u32 s14, s14, (.LBB1_3362-.Lpost_getpc3725)&4294967295
	s_addc_u32 s15, s15, (.LBB1_3362-.Lpost_getpc3725)>>32
	s_setpc_b64 s[14:15]
.LBB1_7460:
	v_mov_b32_e32 v12, 0
	v_cmp_ne_u16_sdwa s[8:9], v17, v12 src0_sel:BYTE_0 src1_sel:DWORD
	s_andn2_b64 s[4:5], s[4:5], exec
	s_and_b64 s[8:9], s[8:9], exec
	s_or_b64 s[4:5], s[4:5], s[8:9]
	s_or_b64 exec, exec, s[6:7]
	s_and_saveexec_b64 s[6:7], s[4:5]
	s_cbranch_execz .LBB1_9873
; %bb.15645:
	s_getpc_b64 s[14:15]
.Lpost_getpc3726:
	s_add_u32 s14, s14, (.LBB1_3363-.Lpost_getpc3726)&4294967295
	s_addc_u32 s15, s15, (.LBB1_3363-.Lpost_getpc3726)>>32
	s_setpc_b64 s[14:15]
.LBB1_9873:
	s_getpc_b64 s[14:15]
.Lpost_getpc840:
	s_add_u32 s14, s14, (.LBB1_3364-.Lpost_getpc840)&4294967295
	s_addc_u32 s15, s15, (.LBB1_3364-.Lpost_getpc840)>>32
	s_setpc_b64 s[14:15]
.LBB1_7461:
	s_movk_i32 s4, 0x80
	v_cmp_eq_u16_sdwa s[12:13], v13, s4 src0_sel:BYTE_0 src1_sel:DWORD
	s_mov_b64 s[4:5], -1
                                        ; implicit-def: $sgpr10
	s_and_saveexec_b64 s[8:9], s[12:13]
; %bb.7462:
	s_mov_b32 s10, 0x7f800001
	s_xor_b64 s[4:5], exec, -1
; %bb.7463:
	s_or_b64 exec, exec, s[8:9]
	s_and_b64 s[4:5], s[4:5], exec
	s_or_saveexec_b64 s[6:7], s[6:7]
	v_mov_b32_e32 v16, s10
	s_xor_b64 exec, exec, s[6:7]
	s_cbranch_execnz .LBB1_7464
; %bb.15647:
	s_getpc_b64 s[14:15]
.Lpost_getpc3727:
	s_add_u32 s14, s14, (.LBB1_3366-.Lpost_getpc3727)&4294967295
	s_addc_u32 s15, s15, (.LBB1_3366-.Lpost_getpc3727)>>32
	s_setpc_b64 s[14:15]
.LBB1_7464:
	v_mov_b32_e32 v16, 0
	v_cmp_ne_u16_sdwa s[8:9], v13, v16 src0_sel:BYTE_0 src1_sel:DWORD
	s_andn2_b64 s[4:5], s[4:5], exec
	s_and_b64 s[8:9], s[8:9], exec
	s_or_b64 s[4:5], s[4:5], s[8:9]
	s_or_b64 exec, exec, s[6:7]
	s_and_saveexec_b64 s[6:7], s[4:5]
	s_cbranch_execz .LBB1_9875
; %bb.15649:
	s_getpc_b64 s[14:15]
.Lpost_getpc3728:
	s_add_u32 s14, s14, (.LBB1_3367-.Lpost_getpc3728)&4294967295
	s_addc_u32 s15, s15, (.LBB1_3367-.Lpost_getpc3728)>>32
	s_setpc_b64 s[14:15]
.LBB1_9875:
	s_getpc_b64 s[14:15]
.Lpost_getpc841:
	s_add_u32 s14, s14, (.LBB1_3368-.Lpost_getpc841)&4294967295
	s_addc_u32 s15, s15, (.LBB1_3368-.Lpost_getpc841)>>32
	s_setpc_b64 s[14:15]
.LBB1_7465:
	s_movk_i32 s4, 0x80
	v_cmp_eq_u16_sdwa s[12:13], v16, s4 src0_sel:BYTE_0 src1_sel:DWORD
	s_mov_b64 s[4:5], -1
                                        ; implicit-def: $sgpr10
	s_and_saveexec_b64 s[8:9], s[12:13]
; %bb.7466:
	s_mov_b32 s10, 0x7f800001
	s_xor_b64 s[4:5], exec, -1
; %bb.7467:
	s_or_b64 exec, exec, s[8:9]
	s_and_b64 s[4:5], s[4:5], exec
	s_or_saveexec_b64 s[6:7], s[6:7]
	v_mov_b32_e32 v12, s10
	s_xor_b64 exec, exec, s[6:7]
	s_cbranch_execnz .LBB1_7468
; %bb.15651:
	s_getpc_b64 s[14:15]
.Lpost_getpc3729:
	s_add_u32 s14, s14, (.LBB1_3370-.Lpost_getpc3729)&4294967295
	s_addc_u32 s15, s15, (.LBB1_3370-.Lpost_getpc3729)>>32
	s_setpc_b64 s[14:15]
.LBB1_7468:
	v_mov_b32_e32 v12, 0
	v_cmp_ne_u16_sdwa s[8:9], v16, v12 src0_sel:BYTE_0 src1_sel:DWORD
	s_andn2_b64 s[4:5], s[4:5], exec
	s_and_b64 s[8:9], s[8:9], exec
	s_or_b64 s[4:5], s[4:5], s[8:9]
	s_or_b64 exec, exec, s[6:7]
	s_and_saveexec_b64 s[6:7], s[4:5]
	s_cbranch_execz .LBB1_9877
; %bb.15653:
	s_getpc_b64 s[14:15]
.Lpost_getpc3730:
	s_add_u32 s14, s14, (.LBB1_3371-.Lpost_getpc3730)&4294967295
	s_addc_u32 s15, s15, (.LBB1_3371-.Lpost_getpc3730)>>32
	s_setpc_b64 s[14:15]
.LBB1_9877:
	s_getpc_b64 s[14:15]
.Lpost_getpc842:
	s_add_u32 s14, s14, (.LBB1_3372-.Lpost_getpc842)&4294967295
	s_addc_u32 s15, s15, (.LBB1_3372-.Lpost_getpc842)>>32
	s_setpc_b64 s[14:15]
.LBB1_7469:
	s_movk_i32 s4, 0x80
	v_cmp_eq_u16_sdwa s[12:13], v16, s4 src0_sel:BYTE_0 src1_sel:DWORD
	s_mov_b64 s[4:5], -1
                                        ; implicit-def: $sgpr10
	s_and_saveexec_b64 s[8:9], s[12:13]
; %bb.7470:
	s_mov_b32 s10, 0x7f800001
	s_xor_b64 s[4:5], exec, -1
; %bb.7471:
	s_or_b64 exec, exec, s[8:9]
	s_and_b64 s[4:5], s[4:5], exec
	s_or_saveexec_b64 s[6:7], s[6:7]
	v_mov_b32_e32 v21, s10
	s_xor_b64 exec, exec, s[6:7]
	s_cbranch_execnz .LBB1_7472
; %bb.15655:
	s_getpc_b64 s[14:15]
.Lpost_getpc3731:
	s_add_u32 s14, s14, (.LBB1_3374-.Lpost_getpc3731)&4294967295
	s_addc_u32 s15, s15, (.LBB1_3374-.Lpost_getpc3731)>>32
	s_setpc_b64 s[14:15]
.LBB1_7472:
	v_mov_b32_e32 v21, 0
	v_cmp_ne_u16_sdwa s[8:9], v16, v21 src0_sel:BYTE_0 src1_sel:DWORD
	s_andn2_b64 s[4:5], s[4:5], exec
	s_and_b64 s[8:9], s[8:9], exec
	s_or_b64 s[4:5], s[4:5], s[8:9]
	s_or_b64 exec, exec, s[6:7]
	s_and_saveexec_b64 s[6:7], s[4:5]
	s_cbranch_execz .LBB1_9879
; %bb.15657:
	s_getpc_b64 s[14:15]
.Lpost_getpc3732:
	s_add_u32 s14, s14, (.LBB1_3375-.Lpost_getpc3732)&4294967295
	s_addc_u32 s15, s15, (.LBB1_3375-.Lpost_getpc3732)>>32
	s_setpc_b64 s[14:15]
.LBB1_9879:
	s_getpc_b64 s[14:15]
.Lpost_getpc843:
	s_add_u32 s14, s14, (.LBB1_3376-.Lpost_getpc843)&4294967295
	s_addc_u32 s15, s15, (.LBB1_3376-.Lpost_getpc843)>>32
	s_setpc_b64 s[14:15]
.LBB1_7473:
	s_movk_i32 s4, 0x80
	v_cmp_eq_u16_e32 vcc, s4, v16
	s_mov_b64 s[4:5], -1
                                        ; implicit-def: $sgpr10
	s_and_saveexec_b64 s[8:9], vcc
; %bb.7474:
	s_mov_b32 s10, 0x7f800001
	s_xor_b64 s[4:5], exec, -1
; %bb.7475:
	s_or_b64 exec, exec, s[8:9]
	s_and_b64 s[4:5], s[4:5], exec
                                        ; implicit-def: $vgpr16
	s_or_saveexec_b64 s[6:7], s[6:7]
	v_mov_b32_e32 v12, s10
	s_xor_b64 exec, exec, s[6:7]
	s_cbranch_execnz .LBB1_7476
; %bb.15659:
	s_getpc_b64 s[14:15]
.Lpost_getpc3733:
	s_add_u32 s14, s14, (.LBB1_3378-.Lpost_getpc3733)&4294967295
	s_addc_u32 s15, s15, (.LBB1_3378-.Lpost_getpc3733)>>32
	s_setpc_b64 s[14:15]
.LBB1_7476:
	v_cmp_ne_u16_e32 vcc, 0, v16
	s_andn2_b64 s[4:5], s[4:5], exec
	s_and_b64 s[8:9], vcc, exec
	v_mov_b32_e32 v12, 0
	s_or_b64 s[4:5], s[4:5], s[8:9]
	s_or_b64 exec, exec, s[6:7]
	s_and_saveexec_b64 s[6:7], s[4:5]
	s_cbranch_execz .LBB1_9881
; %bb.15661:
	s_getpc_b64 s[14:15]
.Lpost_getpc3734:
	s_add_u32 s14, s14, (.LBB1_3379-.Lpost_getpc3734)&4294967295
	s_addc_u32 s15, s15, (.LBB1_3379-.Lpost_getpc3734)>>32
	s_setpc_b64 s[14:15]
.LBB1_9881:
	s_getpc_b64 s[14:15]
.Lpost_getpc844:
	s_add_u32 s14, s14, (.LBB1_3380-.Lpost_getpc844)&4294967295
	s_addc_u32 s15, s15, (.LBB1_3380-.Lpost_getpc844)>>32
	s_setpc_b64 s[14:15]
.LBB1_7477:
	s_movk_i32 s4, 0x80
	v_cmp_eq_u16_e32 vcc, s4, v16
	s_mov_b64 s[4:5], -1
                                        ; implicit-def: $sgpr10
	s_and_saveexec_b64 s[8:9], vcc
; %bb.7478:
	s_mov_b32 s10, 0x7f800001
	s_xor_b64 s[4:5], exec, -1
; %bb.7479:
	s_or_b64 exec, exec, s[8:9]
	s_and_b64 s[4:5], s[4:5], exec
                                        ; implicit-def: $vgpr16
	s_or_saveexec_b64 s[6:7], s[6:7]
	v_mov_b32_e32 v21, s10
	s_xor_b64 exec, exec, s[6:7]
	s_cbranch_execnz .LBB1_7480
; %bb.15663:
	s_getpc_b64 s[14:15]
.Lpost_getpc3735:
	s_add_u32 s14, s14, (.LBB1_3382-.Lpost_getpc3735)&4294967295
	s_addc_u32 s15, s15, (.LBB1_3382-.Lpost_getpc3735)>>32
	s_setpc_b64 s[14:15]
.LBB1_7480:
	v_cmp_ne_u16_e32 vcc, 0, v16
	s_andn2_b64 s[4:5], s[4:5], exec
	s_and_b64 s[8:9], vcc, exec
	v_mov_b32_e32 v21, 0
	s_or_b64 s[4:5], s[4:5], s[8:9]
	s_or_b64 exec, exec, s[6:7]
	s_and_saveexec_b64 s[6:7], s[4:5]
	s_cbranch_execz .LBB1_9883
; %bb.15665:
	s_getpc_b64 s[14:15]
.Lpost_getpc3736:
	s_add_u32 s14, s14, (.LBB1_3383-.Lpost_getpc3736)&4294967295
	s_addc_u32 s15, s15, (.LBB1_3383-.Lpost_getpc3736)>>32
	s_setpc_b64 s[14:15]
.LBB1_9883:
	s_getpc_b64 s[14:15]
.Lpost_getpc845:
	s_add_u32 s14, s14, (.LBB1_3384-.Lpost_getpc845)&4294967295
	s_addc_u32 s15, s15, (.LBB1_3384-.Lpost_getpc845)>>32
	s_setpc_b64 s[14:15]
.LBB1_7481:
	s_movk_i32 s4, 0x80
	v_cmp_eq_u16_sdwa s[12:13], v17, s4 src0_sel:BYTE_3 src1_sel:DWORD
	s_mov_b64 s[4:5], -1
                                        ; implicit-def: $sgpr10
	s_and_saveexec_b64 s[8:9], s[12:13]
; %bb.7482:
	s_mov_b32 s10, 0x7f800001
	s_xor_b64 s[4:5], exec, -1
; %bb.7483:
	s_or_b64 exec, exec, s[8:9]
	s_and_b64 s[4:5], s[4:5], exec
	s_or_saveexec_b64 s[6:7], s[6:7]
	v_mov_b32_e32 v12, s10
	s_xor_b64 exec, exec, s[6:7]
	s_cbranch_execnz .LBB1_7484
; %bb.15667:
	s_getpc_b64 s[14:15]
.Lpost_getpc3737:
	s_add_u32 s14, s14, (.LBB1_3386-.Lpost_getpc3737)&4294967295
	s_addc_u32 s15, s15, (.LBB1_3386-.Lpost_getpc3737)>>32
	s_setpc_b64 s[14:15]
.LBB1_7484:
	v_mov_b32_e32 v12, 0
	v_cmp_ne_u16_sdwa s[8:9], v17, v12 src0_sel:BYTE_3 src1_sel:DWORD
	s_andn2_b64 s[4:5], s[4:5], exec
	s_and_b64 s[8:9], s[8:9], exec
	s_or_b64 s[4:5], s[4:5], s[8:9]
	s_or_b64 exec, exec, s[6:7]
	s_and_saveexec_b64 s[6:7], s[4:5]
	s_cbranch_execz .LBB1_9885
; %bb.15669:
	s_getpc_b64 s[14:15]
.Lpost_getpc3738:
	s_add_u32 s14, s14, (.LBB1_3387-.Lpost_getpc3738)&4294967295
	s_addc_u32 s15, s15, (.LBB1_3387-.Lpost_getpc3738)>>32
	s_setpc_b64 s[14:15]
.LBB1_9885:
	s_getpc_b64 s[14:15]
.Lpost_getpc846:
	s_add_u32 s14, s14, (.LBB1_3388-.Lpost_getpc846)&4294967295
	s_addc_u32 s15, s15, (.LBB1_3388-.Lpost_getpc846)>>32
	s_setpc_b64 s[14:15]
.LBB1_7485:
	s_movk_i32 s4, 0x80
	v_cmp_eq_u16_sdwa s[12:13], v13, s4 src0_sel:BYTE_3 src1_sel:DWORD
	s_mov_b64 s[4:5], -1
                                        ; implicit-def: $sgpr10
	s_and_saveexec_b64 s[8:9], s[12:13]
; %bb.7486:
	s_mov_b32 s10, 0x7f800001
	s_xor_b64 s[4:5], exec, -1
; %bb.7487:
	s_or_b64 exec, exec, s[8:9]
	s_and_b64 s[4:5], s[4:5], exec
	s_or_saveexec_b64 s[6:7], s[6:7]
	v_mov_b32_e32 v16, s10
	s_xor_b64 exec, exec, s[6:7]
	s_cbranch_execnz .LBB1_7488
; %bb.15671:
	s_getpc_b64 s[14:15]
.Lpost_getpc3739:
	s_add_u32 s14, s14, (.LBB1_3390-.Lpost_getpc3739)&4294967295
	s_addc_u32 s15, s15, (.LBB1_3390-.Lpost_getpc3739)>>32
	s_setpc_b64 s[14:15]
.LBB1_7488:
	v_mov_b32_e32 v16, 0
	v_cmp_ne_u16_sdwa s[8:9], v13, v16 src0_sel:BYTE_3 src1_sel:DWORD
	s_andn2_b64 s[4:5], s[4:5], exec
	s_and_b64 s[8:9], s[8:9], exec
	s_or_b64 s[4:5], s[4:5], s[8:9]
	s_or_b64 exec, exec, s[6:7]
	s_and_saveexec_b64 s[6:7], s[4:5]
	s_cbranch_execz .LBB1_9887
; %bb.15673:
	s_getpc_b64 s[14:15]
.Lpost_getpc3740:
	s_add_u32 s14, s14, (.LBB1_3391-.Lpost_getpc3740)&4294967295
	s_addc_u32 s15, s15, (.LBB1_3391-.Lpost_getpc3740)>>32
	s_setpc_b64 s[14:15]
.LBB1_9887:
	s_getpc_b64 s[14:15]
.Lpost_getpc847:
	s_add_u32 s14, s14, (.LBB1_3392-.Lpost_getpc847)&4294967295
	s_addc_u32 s15, s15, (.LBB1_3392-.Lpost_getpc847)>>32
	s_setpc_b64 s[14:15]
.LBB1_7489:
	s_movk_i32 s4, 0x80
	v_cmp_eq_u16_sdwa s[12:13], v18, s4 src0_sel:BYTE_0 src1_sel:DWORD
	s_mov_b64 s[4:5], -1
                                        ; implicit-def: $sgpr10
	s_and_saveexec_b64 s[8:9], s[12:13]
; %bb.7490:
	s_mov_b32 s10, 0x7f800001
	s_xor_b64 s[4:5], exec, -1
; %bb.7491:
	s_or_b64 exec, exec, s[8:9]
	s_and_b64 s[4:5], s[4:5], exec
	s_or_saveexec_b64 s[6:7], s[6:7]
	v_mov_b32_e32 v13, s10
	s_xor_b64 exec, exec, s[6:7]
	s_cbranch_execnz .LBB1_7492
; %bb.15675:
	s_getpc_b64 s[14:15]
.Lpost_getpc3741:
	s_add_u32 s14, s14, (.LBB1_3394-.Lpost_getpc3741)&4294967295
	s_addc_u32 s15, s15, (.LBB1_3394-.Lpost_getpc3741)>>32
	s_setpc_b64 s[14:15]
.LBB1_7492:
	v_mov_b32_e32 v13, 0
	v_cmp_ne_u16_sdwa s[8:9], v18, v13 src0_sel:BYTE_0 src1_sel:DWORD
	s_andn2_b64 s[4:5], s[4:5], exec
	s_and_b64 s[8:9], s[8:9], exec
	s_or_b64 s[4:5], s[4:5], s[8:9]
	s_or_b64 exec, exec, s[6:7]
	s_and_saveexec_b64 s[6:7], s[4:5]
	s_cbranch_execz .LBB1_9889
; %bb.15677:
	s_getpc_b64 s[14:15]
.Lpost_getpc3742:
	s_add_u32 s14, s14, (.LBB1_3395-.Lpost_getpc3742)&4294967295
	s_addc_u32 s15, s15, (.LBB1_3395-.Lpost_getpc3742)>>32
	s_setpc_b64 s[14:15]
.LBB1_9889:
	s_getpc_b64 s[14:15]
.Lpost_getpc848:
	s_add_u32 s14, s14, (.LBB1_3396-.Lpost_getpc848)&4294967295
	s_addc_u32 s15, s15, (.LBB1_3396-.Lpost_getpc848)>>32
	s_setpc_b64 s[14:15]
.LBB1_7493:
	s_movk_i32 s4, 0x80
	v_cmp_eq_u16_sdwa s[12:13], v16, s4 src0_sel:BYTE_0 src1_sel:DWORD
	s_mov_b64 s[4:5], -1
                                        ; implicit-def: $sgpr10
	s_and_saveexec_b64 s[8:9], s[12:13]
; %bb.7494:
	s_mov_b32 s10, 0x7f800001
	s_xor_b64 s[4:5], exec, -1
; %bb.7495:
	s_or_b64 exec, exec, s[8:9]
	s_and_b64 s[4:5], s[4:5], exec
	s_or_saveexec_b64 s[6:7], s[6:7]
	v_mov_b32_e32 v14, s10
	s_xor_b64 exec, exec, s[6:7]
	s_cbranch_execnz .LBB1_7496
; %bb.15679:
	s_getpc_b64 s[14:15]
.Lpost_getpc3743:
	s_add_u32 s14, s14, (.LBB1_3398-.Lpost_getpc3743)&4294967295
	s_addc_u32 s15, s15, (.LBB1_3398-.Lpost_getpc3743)>>32
	s_setpc_b64 s[14:15]
.LBB1_7496:
	v_mov_b32_e32 v14, 0
	v_cmp_ne_u16_sdwa s[8:9], v16, v14 src0_sel:BYTE_0 src1_sel:DWORD
	s_andn2_b64 s[4:5], s[4:5], exec
	s_and_b64 s[8:9], s[8:9], exec
	s_or_b64 s[4:5], s[4:5], s[8:9]
	s_or_b64 exec, exec, s[6:7]
	v_or_b32_sdwa v12, v16, v12 dst_sel:DWORD dst_unused:UNUSED_PAD src0_sel:WORD_0 src1_sel:DWORD
	s_and_saveexec_b64 s[6:7], s[4:5]
	s_cbranch_execz .LBB1_9891
; %bb.15681:
	s_getpc_b64 s[14:15]
.Lpost_getpc3744:
	s_add_u32 s14, s14, (.LBB1_3399-.Lpost_getpc3744)&4294967295
	s_addc_u32 s15, s15, (.LBB1_3399-.Lpost_getpc3744)>>32
	s_setpc_b64 s[14:15]
.LBB1_9891:
	s_getpc_b64 s[14:15]
.Lpost_getpc849:
	s_add_u32 s14, s14, (.LBB1_3400-.Lpost_getpc849)&4294967295
	s_addc_u32 s15, s15, (.LBB1_3400-.Lpost_getpc849)>>32
	s_setpc_b64 s[14:15]
.LBB1_7497:
	s_movk_i32 s4, 0x80
	v_cmp_eq_u16_sdwa s[12:13], v14, s4 src0_sel:BYTE_0 src1_sel:DWORD
	s_mov_b64 s[4:5], -1
                                        ; implicit-def: $sgpr10
	s_and_saveexec_b64 s[8:9], s[12:13]
; %bb.7498:
	s_mov_b32 s10, 0x7f800001
	s_xor_b64 s[4:5], exec, -1
; %bb.7499:
	s_or_b64 exec, exec, s[8:9]
	s_and_b64 s[4:5], s[4:5], exec
	s_or_saveexec_b64 s[6:7], s[6:7]
	v_mov_b32_e32 v13, s10
	s_xor_b64 exec, exec, s[6:7]
	s_cbranch_execnz .LBB1_7500
; %bb.15683:
	s_getpc_b64 s[14:15]
.Lpost_getpc3745:
	s_add_u32 s14, s14, (.LBB1_3402-.Lpost_getpc3745)&4294967295
	s_addc_u32 s15, s15, (.LBB1_3402-.Lpost_getpc3745)>>32
	s_setpc_b64 s[14:15]
.LBB1_7500:
	v_mov_b32_e32 v13, 0
	v_cmp_ne_u16_sdwa s[8:9], v14, v13 src0_sel:BYTE_0 src1_sel:DWORD
	s_andn2_b64 s[4:5], s[4:5], exec
	s_and_b64 s[8:9], s[8:9], exec
	s_or_b64 s[4:5], s[4:5], s[8:9]
	s_or_b64 exec, exec, s[6:7]
	s_and_saveexec_b64 s[6:7], s[4:5]
	s_cbranch_execz .LBB1_9893
; %bb.15685:
	s_getpc_b64 s[14:15]
.Lpost_getpc3746:
	s_add_u32 s14, s14, (.LBB1_3403-.Lpost_getpc3746)&4294967295
	s_addc_u32 s15, s15, (.LBB1_3403-.Lpost_getpc3746)>>32
	s_setpc_b64 s[14:15]
.LBB1_9893:
	s_getpc_b64 s[14:15]
.Lpost_getpc850:
	s_add_u32 s14, s14, (.LBB1_3404-.Lpost_getpc850)&4294967295
	s_addc_u32 s15, s15, (.LBB1_3404-.Lpost_getpc850)>>32
	s_setpc_b64 s[14:15]
.LBB1_7501:
	s_movk_i32 s4, 0x80
	v_cmp_eq_u16_sdwa s[12:13], v14, s4 src0_sel:BYTE_0 src1_sel:DWORD
	s_mov_b64 s[4:5], -1
                                        ; implicit-def: $sgpr10
	s_and_saveexec_b64 s[8:9], s[12:13]
; %bb.7502:
	s_mov_b32 s10, 0x7f800001
	s_xor_b64 s[4:5], exec, -1
; %bb.7503:
	s_or_b64 exec, exec, s[8:9]
	s_and_b64 s[4:5], s[4:5], exec
	s_or_saveexec_b64 s[6:7], s[6:7]
	v_mov_b32_e32 v16, s10
	s_xor_b64 exec, exec, s[6:7]
	s_cbranch_execnz .LBB1_7504
; %bb.15687:
	s_getpc_b64 s[14:15]
.Lpost_getpc3747:
	s_add_u32 s14, s14, (.LBB1_3406-.Lpost_getpc3747)&4294967295
	s_addc_u32 s15, s15, (.LBB1_3406-.Lpost_getpc3747)>>32
	s_setpc_b64 s[14:15]
.LBB1_7504:
	v_mov_b32_e32 v16, 0
	v_cmp_ne_u16_sdwa s[8:9], v14, v16 src0_sel:BYTE_0 src1_sel:DWORD
	s_andn2_b64 s[4:5], s[4:5], exec
	s_and_b64 s[8:9], s[8:9], exec
	s_or_b64 s[4:5], s[4:5], s[8:9]
	s_or_b64 exec, exec, s[6:7]
	s_and_saveexec_b64 s[6:7], s[4:5]
	s_cbranch_execz .LBB1_9895
; %bb.15689:
	s_getpc_b64 s[14:15]
.Lpost_getpc3748:
	s_add_u32 s14, s14, (.LBB1_3407-.Lpost_getpc3748)&4294967295
	s_addc_u32 s15, s15, (.LBB1_3407-.Lpost_getpc3748)>>32
	s_setpc_b64 s[14:15]
.LBB1_9895:
	s_getpc_b64 s[14:15]
.Lpost_getpc851:
	s_add_u32 s14, s14, (.LBB1_3408-.Lpost_getpc851)&4294967295
	s_addc_u32 s15, s15, (.LBB1_3408-.Lpost_getpc851)>>32
	s_setpc_b64 s[14:15]
.LBB1_7505:
	s_movk_i32 s4, 0x80
	v_cmp_eq_u16_e32 vcc, s4, v14
	s_mov_b64 s[4:5], -1
                                        ; implicit-def: $sgpr10
	s_and_saveexec_b64 s[8:9], vcc
; %bb.7506:
	s_mov_b32 s10, 0x7f800001
	s_xor_b64 s[4:5], exec, -1
; %bb.7507:
	s_or_b64 exec, exec, s[8:9]
	s_and_b64 s[4:5], s[4:5], exec
                                        ; implicit-def: $vgpr14
	s_or_saveexec_b64 s[6:7], s[6:7]
	v_mov_b32_e32 v13, s10
	s_xor_b64 exec, exec, s[6:7]
	s_cbranch_execnz .LBB1_7508
; %bb.15691:
	s_getpc_b64 s[14:15]
.Lpost_getpc3749:
	s_add_u32 s14, s14, (.LBB1_3410-.Lpost_getpc3749)&4294967295
	s_addc_u32 s15, s15, (.LBB1_3410-.Lpost_getpc3749)>>32
	s_setpc_b64 s[14:15]
.LBB1_7508:
	v_cmp_ne_u16_e32 vcc, 0, v14
	s_andn2_b64 s[4:5], s[4:5], exec
	s_and_b64 s[8:9], vcc, exec
	v_mov_b32_e32 v13, 0
	s_or_b64 s[4:5], s[4:5], s[8:9]
	s_or_b64 exec, exec, s[6:7]
	s_and_saveexec_b64 s[6:7], s[4:5]
	s_cbranch_execz .LBB1_9897
; %bb.15693:
	s_getpc_b64 s[14:15]
.Lpost_getpc3750:
	s_add_u32 s14, s14, (.LBB1_3411-.Lpost_getpc3750)&4294967295
	s_addc_u32 s15, s15, (.LBB1_3411-.Lpost_getpc3750)>>32
	s_setpc_b64 s[14:15]
.LBB1_9897:
	s_getpc_b64 s[14:15]
.Lpost_getpc852:
	s_add_u32 s14, s14, (.LBB1_3412-.Lpost_getpc852)&4294967295
	s_addc_u32 s15, s15, (.LBB1_3412-.Lpost_getpc852)>>32
	s_setpc_b64 s[14:15]
.LBB1_7509:
	s_movk_i32 s4, 0x80
	v_cmp_eq_u16_e32 vcc, s4, v14
	s_mov_b64 s[4:5], -1
                                        ; implicit-def: $sgpr10
	s_and_saveexec_b64 s[8:9], vcc
; %bb.7510:
	s_mov_b32 s10, 0x7f800001
	s_xor_b64 s[4:5], exec, -1
; %bb.7511:
	s_or_b64 exec, exec, s[8:9]
	s_and_b64 s[4:5], s[4:5], exec
                                        ; implicit-def: $vgpr14
	s_or_saveexec_b64 s[6:7], s[6:7]
	v_mov_b32_e32 v16, s10
	s_xor_b64 exec, exec, s[6:7]
	s_cbranch_execnz .LBB1_7512
; %bb.15695:
	s_getpc_b64 s[14:15]
.Lpost_getpc3751:
	s_add_u32 s14, s14, (.LBB1_3414-.Lpost_getpc3751)&4294967295
	s_addc_u32 s15, s15, (.LBB1_3414-.Lpost_getpc3751)>>32
	s_setpc_b64 s[14:15]
.LBB1_7512:
	v_cmp_ne_u16_e32 vcc, 0, v14
	s_andn2_b64 s[4:5], s[4:5], exec
	s_and_b64 s[8:9], vcc, exec
	v_mov_b32_e32 v16, 0
	s_or_b64 s[4:5], s[4:5], s[8:9]
	s_or_b64 exec, exec, s[6:7]
	s_and_saveexec_b64 s[6:7], s[4:5]
	s_cbranch_execz .LBB1_9899
; %bb.15697:
	s_getpc_b64 s[14:15]
.Lpost_getpc3752:
	s_add_u32 s14, s14, (.LBB1_3415-.Lpost_getpc3752)&4294967295
	s_addc_u32 s15, s15, (.LBB1_3415-.Lpost_getpc3752)>>32
	s_setpc_b64 s[14:15]
.LBB1_9899:
	s_getpc_b64 s[14:15]
.Lpost_getpc853:
	s_add_u32 s14, s14, (.LBB1_3416-.Lpost_getpc853)&4294967295
	s_addc_u32 s15, s15, (.LBB1_3416-.Lpost_getpc853)>>32
	s_setpc_b64 s[14:15]
.LBB1_7513:
	s_movk_i32 s4, 0x80
	v_cmp_eq_u16_sdwa s[12:13], v18, s4 src0_sel:BYTE_3 src1_sel:DWORD
	s_mov_b64 s[4:5], -1
                                        ; implicit-def: $sgpr10
	s_and_saveexec_b64 s[8:9], s[12:13]
; %bb.7514:
	s_mov_b32 s10, 0x7f800001
	s_xor_b64 s[4:5], exec, -1
; %bb.7515:
	s_or_b64 exec, exec, s[8:9]
	s_and_b64 s[4:5], s[4:5], exec
	s_or_saveexec_b64 s[6:7], s[6:7]
	v_mov_b32_e32 v13, s10
	s_xor_b64 exec, exec, s[6:7]
	s_cbranch_execnz .LBB1_7516
; %bb.15699:
	s_getpc_b64 s[14:15]
.Lpost_getpc3753:
	s_add_u32 s14, s14, (.LBB1_3418-.Lpost_getpc3753)&4294967295
	s_addc_u32 s15, s15, (.LBB1_3418-.Lpost_getpc3753)>>32
	s_setpc_b64 s[14:15]
.LBB1_7516:
	v_mov_b32_e32 v13, 0
	v_cmp_ne_u16_sdwa s[8:9], v18, v13 src0_sel:BYTE_3 src1_sel:DWORD
	s_andn2_b64 s[4:5], s[4:5], exec
	s_and_b64 s[8:9], s[8:9], exec
	s_or_b64 s[4:5], s[4:5], s[8:9]
	s_or_b64 exec, exec, s[6:7]
	s_and_saveexec_b64 s[6:7], s[4:5]
	s_cbranch_execz .LBB1_9901
; %bb.15701:
	s_getpc_b64 s[14:15]
.Lpost_getpc3754:
	s_add_u32 s14, s14, (.LBB1_3419-.Lpost_getpc3754)&4294967295
	s_addc_u32 s15, s15, (.LBB1_3419-.Lpost_getpc3754)>>32
	s_setpc_b64 s[14:15]
.LBB1_9901:
	s_getpc_b64 s[14:15]
.Lpost_getpc854:
	s_add_u32 s14, s14, (.LBB1_3420-.Lpost_getpc854)&4294967295
	s_addc_u32 s15, s15, (.LBB1_3420-.Lpost_getpc854)>>32
	s_setpc_b64 s[14:15]
.LBB1_7517:
	s_movk_i32 s4, 0x80
	v_cmp_eq_u16_sdwa s[12:13], v12, s4 src0_sel:BYTE_3 src1_sel:DWORD
	s_mov_b64 s[4:5], -1
                                        ; implicit-def: $sgpr10
	s_and_saveexec_b64 s[8:9], s[12:13]
; %bb.7518:
	s_mov_b32 s10, 0x7f800001
	s_xor_b64 s[4:5], exec, -1
; %bb.7519:
	s_or_b64 exec, exec, s[8:9]
	s_and_b64 s[4:5], s[4:5], exec
	s_or_saveexec_b64 s[6:7], s[6:7]
	v_mov_b32_e32 v14, s10
	s_xor_b64 exec, exec, s[6:7]
	s_cbranch_execnz .LBB1_7520
; %bb.15703:
	s_getpc_b64 s[14:15]
.Lpost_getpc3755:
	s_add_u32 s14, s14, (.LBB1_3422-.Lpost_getpc3755)&4294967295
	s_addc_u32 s15, s15, (.LBB1_3422-.Lpost_getpc3755)>>32
	s_setpc_b64 s[14:15]
.LBB1_7520:
	v_mov_b32_e32 v14, 0
	v_cmp_ne_u16_sdwa s[8:9], v12, v14 src0_sel:BYTE_3 src1_sel:DWORD
	s_andn2_b64 s[4:5], s[4:5], exec
	s_and_b64 s[8:9], s[8:9], exec
	s_or_b64 s[4:5], s[4:5], s[8:9]
	s_or_b64 exec, exec, s[6:7]
	s_and_saveexec_b64 s[6:7], s[4:5]
	s_cbranch_execz .LBB1_9903
; %bb.15705:
	s_getpc_b64 s[14:15]
.Lpost_getpc3756:
	s_add_u32 s14, s14, (.LBB1_3423-.Lpost_getpc3756)&4294967295
	s_addc_u32 s15, s15, (.LBB1_3423-.Lpost_getpc3756)>>32
	s_setpc_b64 s[14:15]
.LBB1_9903:
	s_getpc_b64 s[14:15]
.Lpost_getpc855:
	s_add_u32 s14, s14, (.LBB1_3424-.Lpost_getpc855)&4294967295
	s_addc_u32 s15, s15, (.LBB1_3424-.Lpost_getpc855)>>32
	s_setpc_b64 s[14:15]
.LBB1_7521:
	s_movk_i32 s4, 0x80
	v_cmp_eq_u16_sdwa s[12:13], v19, s4 src0_sel:BYTE_0 src1_sel:DWORD
	s_mov_b64 s[4:5], -1
                                        ; implicit-def: $sgpr10
	s_and_saveexec_b64 s[8:9], s[12:13]
; %bb.7522:
	s_mov_b32 s10, 0x7f800001
	s_xor_b64 s[4:5], exec, -1
; %bb.7523:
	s_or_b64 exec, exec, s[8:9]
	s_and_b64 s[4:5], s[4:5], exec
	s_or_saveexec_b64 s[6:7], s[6:7]
	v_mov_b32_e32 v12, s10
	s_xor_b64 exec, exec, s[6:7]
	s_cbranch_execnz .LBB1_7524
; %bb.15707:
	s_getpc_b64 s[14:15]
.Lpost_getpc3757:
	s_add_u32 s14, s14, (.LBB1_3426-.Lpost_getpc3757)&4294967295
	s_addc_u32 s15, s15, (.LBB1_3426-.Lpost_getpc3757)>>32
	s_setpc_b64 s[14:15]
.LBB1_7524:
	v_mov_b32_e32 v12, 0
	v_cmp_ne_u16_sdwa s[8:9], v19, v12 src0_sel:BYTE_0 src1_sel:DWORD
	s_andn2_b64 s[4:5], s[4:5], exec
	s_and_b64 s[8:9], s[8:9], exec
	s_or_b64 s[4:5], s[4:5], s[8:9]
	s_or_b64 exec, exec, s[6:7]
	s_and_saveexec_b64 s[6:7], s[4:5]
	s_cbranch_execz .LBB1_9905
; %bb.15709:
	s_getpc_b64 s[14:15]
.Lpost_getpc3758:
	s_add_u32 s14, s14, (.LBB1_3427-.Lpost_getpc3758)&4294967295
	s_addc_u32 s15, s15, (.LBB1_3427-.Lpost_getpc3758)>>32
	s_setpc_b64 s[14:15]
.LBB1_9905:
	s_getpc_b64 s[14:15]
.Lpost_getpc856:
	s_add_u32 s14, s14, (.LBB1_3428-.Lpost_getpc856)&4294967295
	s_addc_u32 s15, s15, (.LBB1_3428-.Lpost_getpc856)>>32
	s_setpc_b64 s[14:15]
.LBB1_7525:
	s_movk_i32 s4, 0x80
	v_cmp_eq_u16_sdwa s[12:13], v15, s4 src0_sel:BYTE_0 src1_sel:DWORD
	s_mov_b64 s[4:5], -1
                                        ; implicit-def: $sgpr10
	s_and_saveexec_b64 s[8:9], s[12:13]
; %bb.7526:
	s_mov_b32 s10, 0x7f800001
	s_xor_b64 s[4:5], exec, -1
; %bb.7527:
	s_or_b64 exec, exec, s[8:9]
	s_and_b64 s[4:5], s[4:5], exec
	s_or_saveexec_b64 s[6:7], s[6:7]
	v_mov_b32_e32 v13, s10
	s_xor_b64 exec, exec, s[6:7]
	s_cbranch_execnz .LBB1_7528
; %bb.15711:
	s_getpc_b64 s[14:15]
.Lpost_getpc3759:
	s_add_u32 s14, s14, (.LBB1_3430-.Lpost_getpc3759)&4294967295
	s_addc_u32 s15, s15, (.LBB1_3430-.Lpost_getpc3759)>>32
	s_setpc_b64 s[14:15]
.LBB1_7528:
	v_mov_b32_e32 v13, 0
	v_cmp_ne_u16_sdwa s[8:9], v15, v13 src0_sel:BYTE_0 src1_sel:DWORD
	s_andn2_b64 s[4:5], s[4:5], exec
	s_and_b64 s[8:9], s[8:9], exec
	s_or_b64 s[4:5], s[4:5], s[8:9]
	s_or_b64 exec, exec, s[6:7]
	s_and_saveexec_b64 s[6:7], s[4:5]
	s_cbranch_execz .LBB1_9907
; %bb.15713:
	s_getpc_b64 s[14:15]
.Lpost_getpc3760:
	s_add_u32 s14, s14, (.LBB1_3431-.Lpost_getpc3760)&4294967295
	s_addc_u32 s15, s15, (.LBB1_3431-.Lpost_getpc3760)>>32
	s_setpc_b64 s[14:15]
.LBB1_9907:
	s_getpc_b64 s[14:15]
.Lpost_getpc857:
	s_add_u32 s14, s14, (.LBB1_3432-.Lpost_getpc857)&4294967295
	s_addc_u32 s15, s15, (.LBB1_3432-.Lpost_getpc857)>>32
	s_setpc_b64 s[14:15]
.LBB1_7529:
	s_movk_i32 s4, 0x80
	v_cmp_eq_u16_sdwa s[12:13], v13, s4 src0_sel:BYTE_0 src1_sel:DWORD
	s_mov_b64 s[4:5], -1
                                        ; implicit-def: $sgpr10
	s_and_saveexec_b64 s[8:9], s[12:13]
; %bb.7530:
	s_mov_b32 s10, 0x7f800001
	s_xor_b64 s[4:5], exec, -1
; %bb.7531:
	s_or_b64 exec, exec, s[8:9]
	s_and_b64 s[4:5], s[4:5], exec
	s_or_saveexec_b64 s[6:7], s[6:7]
	v_mov_b32_e32 v12, s10
	s_xor_b64 exec, exec, s[6:7]
	s_cbranch_execnz .LBB1_7532
; %bb.15715:
	s_getpc_b64 s[14:15]
.Lpost_getpc3761:
	s_add_u32 s14, s14, (.LBB1_3434-.Lpost_getpc3761)&4294967295
	s_addc_u32 s15, s15, (.LBB1_3434-.Lpost_getpc3761)>>32
	s_setpc_b64 s[14:15]
.LBB1_7532:
	v_mov_b32_e32 v12, 0
	v_cmp_ne_u16_sdwa s[8:9], v13, v12 src0_sel:BYTE_0 src1_sel:DWORD
	s_andn2_b64 s[4:5], s[4:5], exec
	s_and_b64 s[8:9], s[8:9], exec
	s_or_b64 s[4:5], s[4:5], s[8:9]
	s_or_b64 exec, exec, s[6:7]
	s_and_saveexec_b64 s[6:7], s[4:5]
	s_cbranch_execz .LBB1_9909
; %bb.15717:
	s_getpc_b64 s[14:15]
.Lpost_getpc3762:
	s_add_u32 s14, s14, (.LBB1_3435-.Lpost_getpc3762)&4294967295
	s_addc_u32 s15, s15, (.LBB1_3435-.Lpost_getpc3762)>>32
	s_setpc_b64 s[14:15]
.LBB1_9909:
	s_getpc_b64 s[14:15]
.Lpost_getpc858:
	s_add_u32 s14, s14, (.LBB1_3436-.Lpost_getpc858)&4294967295
	s_addc_u32 s15, s15, (.LBB1_3436-.Lpost_getpc858)>>32
	s_setpc_b64 s[14:15]
.LBB1_7533:
	s_movk_i32 s4, 0x80
	v_cmp_eq_u16_sdwa s[12:13], v13, s4 src0_sel:BYTE_0 src1_sel:DWORD
	s_mov_b64 s[4:5], -1
                                        ; implicit-def: $sgpr10
	s_and_saveexec_b64 s[8:9], s[12:13]
; %bb.7534:
	s_mov_b32 s10, 0x7f800001
	s_xor_b64 s[4:5], exec, -1
; %bb.7535:
	s_or_b64 exec, exec, s[8:9]
	s_and_b64 s[4:5], s[4:5], exec
	s_or_saveexec_b64 s[6:7], s[6:7]
	v_mov_b32_e32 v14, s10
	s_xor_b64 exec, exec, s[6:7]
	s_cbranch_execnz .LBB1_7536
; %bb.15719:
	s_getpc_b64 s[14:15]
.Lpost_getpc3763:
	s_add_u32 s14, s14, (.LBB1_3438-.Lpost_getpc3763)&4294967295
	s_addc_u32 s15, s15, (.LBB1_3438-.Lpost_getpc3763)>>32
	s_setpc_b64 s[14:15]
.LBB1_7536:
	v_mov_b32_e32 v14, 0
	v_cmp_ne_u16_sdwa s[8:9], v13, v14 src0_sel:BYTE_0 src1_sel:DWORD
	s_andn2_b64 s[4:5], s[4:5], exec
	s_and_b64 s[8:9], s[8:9], exec
	s_or_b64 s[4:5], s[4:5], s[8:9]
	s_or_b64 exec, exec, s[6:7]
	s_and_saveexec_b64 s[6:7], s[4:5]
	s_cbranch_execz .LBB1_9911
; %bb.15721:
	s_getpc_b64 s[14:15]
.Lpost_getpc3764:
	s_add_u32 s14, s14, (.LBB1_3439-.Lpost_getpc3764)&4294967295
	s_addc_u32 s15, s15, (.LBB1_3439-.Lpost_getpc3764)>>32
	s_setpc_b64 s[14:15]
.LBB1_9911:
	s_getpc_b64 s[14:15]
.Lpost_getpc859:
	s_add_u32 s14, s14, (.LBB1_3440-.Lpost_getpc859)&4294967295
	s_addc_u32 s15, s15, (.LBB1_3440-.Lpost_getpc859)>>32
	s_setpc_b64 s[14:15]
.LBB1_7537:
	s_movk_i32 s4, 0x80
	v_cmp_eq_u16_e32 vcc, s4, v13
	s_mov_b64 s[4:5], -1
                                        ; implicit-def: $sgpr10
	s_and_saveexec_b64 s[8:9], vcc
; %bb.7538:
	s_mov_b32 s10, 0x7f800001
	s_xor_b64 s[4:5], exec, -1
; %bb.7539:
	s_or_b64 exec, exec, s[8:9]
	s_and_b64 s[4:5], s[4:5], exec
                                        ; implicit-def: $vgpr13
	s_or_saveexec_b64 s[6:7], s[6:7]
	v_mov_b32_e32 v12, s10
	s_xor_b64 exec, exec, s[6:7]
	s_cbranch_execnz .LBB1_7540
; %bb.15723:
	s_getpc_b64 s[14:15]
.Lpost_getpc3765:
	s_add_u32 s14, s14, (.LBB1_3442-.Lpost_getpc3765)&4294967295
	s_addc_u32 s15, s15, (.LBB1_3442-.Lpost_getpc3765)>>32
	s_setpc_b64 s[14:15]
.LBB1_7540:
	v_cmp_ne_u16_e32 vcc, 0, v13
	s_andn2_b64 s[4:5], s[4:5], exec
	s_and_b64 s[8:9], vcc, exec
	v_mov_b32_e32 v12, 0
	s_or_b64 s[4:5], s[4:5], s[8:9]
	s_or_b64 exec, exec, s[6:7]
	s_and_saveexec_b64 s[6:7], s[4:5]
	s_cbranch_execz .LBB1_9913
; %bb.15725:
	s_getpc_b64 s[14:15]
.Lpost_getpc3766:
	s_add_u32 s14, s14, (.LBB1_3443-.Lpost_getpc3766)&4294967295
	s_addc_u32 s15, s15, (.LBB1_3443-.Lpost_getpc3766)>>32
	s_setpc_b64 s[14:15]
.LBB1_9913:
	s_getpc_b64 s[14:15]
.Lpost_getpc860:
	s_add_u32 s14, s14, (.LBB1_3444-.Lpost_getpc860)&4294967295
	s_addc_u32 s15, s15, (.LBB1_3444-.Lpost_getpc860)>>32
	s_setpc_b64 s[14:15]
.LBB1_7541:
	s_movk_i32 s4, 0x80
	v_cmp_eq_u16_e32 vcc, s4, v13
	s_mov_b64 s[4:5], -1
                                        ; implicit-def: $sgpr10
	s_and_saveexec_b64 s[8:9], vcc
; %bb.7542:
	s_mov_b32 s10, 0x7f800001
	s_xor_b64 s[4:5], exec, -1
; %bb.7543:
	s_or_b64 exec, exec, s[8:9]
	s_and_b64 s[4:5], s[4:5], exec
                                        ; implicit-def: $vgpr13
	s_or_saveexec_b64 s[6:7], s[6:7]
	v_mov_b32_e32 v14, s10
	s_xor_b64 exec, exec, s[6:7]
	s_cbranch_execnz .LBB1_7544
; %bb.15727:
	s_getpc_b64 s[14:15]
.Lpost_getpc3767:
	s_add_u32 s14, s14, (.LBB1_3446-.Lpost_getpc3767)&4294967295
	s_addc_u32 s15, s15, (.LBB1_3446-.Lpost_getpc3767)>>32
	s_setpc_b64 s[14:15]
.LBB1_7544:
	v_cmp_ne_u16_e32 vcc, 0, v13
	s_andn2_b64 s[4:5], s[4:5], exec
	s_and_b64 s[8:9], vcc, exec
	v_mov_b32_e32 v14, 0
	s_or_b64 s[4:5], s[4:5], s[8:9]
	s_or_b64 exec, exec, s[6:7]
	s_and_saveexec_b64 s[6:7], s[4:5]
	s_cbranch_execz .LBB1_9915
; %bb.15729:
	s_getpc_b64 s[14:15]
.Lpost_getpc3768:
	s_add_u32 s14, s14, (.LBB1_3447-.Lpost_getpc3768)&4294967295
	s_addc_u32 s15, s15, (.LBB1_3447-.Lpost_getpc3768)>>32
	s_setpc_b64 s[14:15]
.LBB1_9915:
	s_getpc_b64 s[14:15]
.Lpost_getpc861:
	s_add_u32 s14, s14, (.LBB1_3448-.Lpost_getpc861)&4294967295
	s_addc_u32 s15, s15, (.LBB1_3448-.Lpost_getpc861)>>32
	s_setpc_b64 s[14:15]
.LBB1_7545:
	s_movk_i32 s4, 0x80
	v_cmp_eq_u16_sdwa s[12:13], v19, s4 src0_sel:BYTE_3 src1_sel:DWORD
	s_mov_b64 s[4:5], -1
                                        ; implicit-def: $sgpr10
	s_and_saveexec_b64 s[8:9], s[12:13]
; %bb.7546:
	s_mov_b32 s10, 0x7f800001
	s_xor_b64 s[4:5], exec, -1
; %bb.7547:
	s_or_b64 exec, exec, s[8:9]
	s_and_b64 s[4:5], s[4:5], exec
	s_or_saveexec_b64 s[6:7], s[6:7]
	v_mov_b32_e32 v12, s10
	s_xor_b64 exec, exec, s[6:7]
	s_cbranch_execnz .LBB1_7548
; %bb.15731:
	s_getpc_b64 s[14:15]
.Lpost_getpc3769:
	s_add_u32 s14, s14, (.LBB1_3450-.Lpost_getpc3769)&4294967295
	s_addc_u32 s15, s15, (.LBB1_3450-.Lpost_getpc3769)>>32
	s_setpc_b64 s[14:15]
.LBB1_7548:
	v_mov_b32_e32 v12, 0
	v_cmp_ne_u16_sdwa s[8:9], v19, v12 src0_sel:BYTE_3 src1_sel:DWORD
	s_andn2_b64 s[4:5], s[4:5], exec
	s_and_b64 s[8:9], s[8:9], exec
	s_or_b64 s[4:5], s[4:5], s[8:9]
	s_or_b64 exec, exec, s[6:7]
	s_and_saveexec_b64 s[6:7], s[4:5]
	s_cbranch_execz .LBB1_9917
; %bb.15733:
	s_getpc_b64 s[14:15]
.Lpost_getpc3770:
	s_add_u32 s14, s14, (.LBB1_3451-.Lpost_getpc3770)&4294967295
	s_addc_u32 s15, s15, (.LBB1_3451-.Lpost_getpc3770)>>32
	s_setpc_b64 s[14:15]
.LBB1_9917:
	s_getpc_b64 s[14:15]
.Lpost_getpc862:
	s_add_u32 s14, s14, (.LBB1_3452-.Lpost_getpc862)&4294967295
	s_addc_u32 s15, s15, (.LBB1_3452-.Lpost_getpc862)>>32
	s_setpc_b64 s[14:15]
.LBB1_7549:
	s_movk_i32 s4, 0x80
	v_cmp_eq_u16_sdwa s[12:13], v15, s4 src0_sel:BYTE_3 src1_sel:DWORD
	s_mov_b64 s[4:5], -1
                                        ; implicit-def: $sgpr10
	s_and_saveexec_b64 s[8:9], s[12:13]
; %bb.7550:
	s_mov_b32 s10, 0x7f800001
	s_xor_b64 s[4:5], exec, -1
; %bb.7551:
	s_or_b64 exec, exec, s[8:9]
	s_and_b64 s[4:5], s[4:5], exec
	s_or_saveexec_b64 s[6:7], s[6:7]
	v_mov_b32_e32 v13, s10
	s_xor_b64 exec, exec, s[6:7]
	s_cbranch_execnz .LBB1_7552
; %bb.15735:
	s_getpc_b64 s[14:15]
.Lpost_getpc3771:
	s_add_u32 s14, s14, (.LBB1_3454-.Lpost_getpc3771)&4294967295
	s_addc_u32 s15, s15, (.LBB1_3454-.Lpost_getpc3771)>>32
	s_setpc_b64 s[14:15]
.LBB1_7552:
	v_mov_b32_e32 v13, 0
	v_cmp_ne_u16_sdwa s[8:9], v15, v13 src0_sel:BYTE_3 src1_sel:DWORD
	s_andn2_b64 s[4:5], s[4:5], exec
	s_and_b64 s[8:9], s[8:9], exec
	s_or_b64 s[4:5], s[4:5], s[8:9]
	s_or_b64 exec, exec, s[6:7]
	s_and_saveexec_b64 s[6:7], s[4:5]
	s_cbranch_execz .LBB1_9919
; %bb.15737:
	s_getpc_b64 s[14:15]
.Lpost_getpc3772:
	s_add_u32 s14, s14, (.LBB1_3455-.Lpost_getpc3772)&4294967295
	s_addc_u32 s15, s15, (.LBB1_3455-.Lpost_getpc3772)>>32
	s_setpc_b64 s[14:15]
.LBB1_9919:
	s_getpc_b64 s[14:15]
.Lpost_getpc863:
	s_add_u32 s14, s14, (.LBB1_3456-.Lpost_getpc863)&4294967295
	s_addc_u32 s15, s15, (.LBB1_3456-.Lpost_getpc863)>>32
	s_setpc_b64 s[14:15]
.LBB1_7553:
	s_movk_i32 s4, 0x80
	v_cmp_eq_u16_sdwa s[12:13], v16, s4 src0_sel:BYTE_0 src1_sel:DWORD
	s_mov_b64 s[4:5], -1
                                        ; implicit-def: $sgpr10
	s_and_saveexec_b64 s[8:9], s[12:13]
; %bb.7554:
	s_mov_b32 s10, 0x7f800001
	s_xor_b64 s[4:5], exec, -1
; %bb.7555:
	s_or_b64 exec, exec, s[8:9]
	s_and_b64 s[4:5], s[4:5], exec
	s_or_saveexec_b64 s[6:7], s[6:7]
	v_mov_b32_e32 v21, s10
	s_xor_b64 exec, exec, s[6:7]
	s_cbranch_execnz .LBB1_7556
; %bb.15739:
	s_getpc_b64 s[14:15]
.Lpost_getpc3773:
	s_add_u32 s14, s14, (.LBB1_3458-.Lpost_getpc3773)&4294967295
	s_addc_u32 s15, s15, (.LBB1_3458-.Lpost_getpc3773)>>32
	s_setpc_b64 s[14:15]
.LBB1_7556:
	v_mov_b32_e32 v21, 0
	v_cmp_ne_u16_sdwa s[8:9], v16, v21 src0_sel:BYTE_0 src1_sel:DWORD
	s_andn2_b64 s[4:5], s[4:5], exec
	s_and_b64 s[8:9], s[8:9], exec
	s_or_b64 s[4:5], s[4:5], s[8:9]
	s_or_b64 exec, exec, s[6:7]
	s_and_saveexec_b64 s[6:7], s[4:5]
	s_cbranch_execz .LBB1_9921
; %bb.15741:
	s_getpc_b64 s[14:15]
.Lpost_getpc3774:
	s_add_u32 s14, s14, (.LBB1_3459-.Lpost_getpc3774)&4294967295
	s_addc_u32 s15, s15, (.LBB1_3459-.Lpost_getpc3774)>>32
	s_setpc_b64 s[14:15]
.LBB1_9921:
	s_getpc_b64 s[14:15]
.Lpost_getpc864:
	s_add_u32 s14, s14, (.LBB1_3460-.Lpost_getpc864)&4294967295
	s_addc_u32 s15, s15, (.LBB1_3460-.Lpost_getpc864)>>32
	s_setpc_b64 s[14:15]
.LBB1_7557:
	s_movk_i32 s4, 0x80
	v_cmp_eq_u16_sdwa s[12:13], v12, s4 src0_sel:BYTE_0 src1_sel:DWORD
	s_mov_b64 s[4:5], -1
                                        ; implicit-def: $sgpr10
	s_and_saveexec_b64 s[8:9], s[12:13]
; %bb.7558:
	s_mov_b32 s10, 0x7f800001
	s_xor_b64 s[4:5], exec, -1
; %bb.7559:
	s_or_b64 exec, exec, s[8:9]
	s_and_b64 s[4:5], s[4:5], exec
	s_or_saveexec_b64 s[6:7], s[6:7]
	v_mov_b32_e32 v22, s10
	s_xor_b64 exec, exec, s[6:7]
	s_cbranch_execnz .LBB1_7560
; %bb.15743:
	s_getpc_b64 s[14:15]
.Lpost_getpc3775:
	s_add_u32 s14, s14, (.LBB1_3462-.Lpost_getpc3775)&4294967295
	s_addc_u32 s15, s15, (.LBB1_3462-.Lpost_getpc3775)>>32
	s_setpc_b64 s[14:15]
.LBB1_7560:
	v_mov_b32_e32 v22, 0
	v_cmp_ne_u16_sdwa s[8:9], v12, v22 src0_sel:BYTE_0 src1_sel:DWORD
	s_andn2_b64 s[4:5], s[4:5], exec
	s_and_b64 s[8:9], s[8:9], exec
	s_or_b64 s[4:5], s[4:5], s[8:9]
	s_or_b64 exec, exec, s[6:7]
	s_and_saveexec_b64 s[6:7], s[4:5]
	s_cbranch_execz .LBB1_9923
; %bb.15745:
	s_getpc_b64 s[14:15]
.Lpost_getpc3776:
	s_add_u32 s14, s14, (.LBB1_3463-.Lpost_getpc3776)&4294967295
	s_addc_u32 s15, s15, (.LBB1_3463-.Lpost_getpc3776)>>32
	s_setpc_b64 s[14:15]
.LBB1_9923:
	s_getpc_b64 s[14:15]
.Lpost_getpc865:
	s_add_u32 s14, s14, (.LBB1_3464-.Lpost_getpc865)&4294967295
	s_addc_u32 s15, s15, (.LBB1_3464-.Lpost_getpc865)>>32
	s_setpc_b64 s[14:15]
.LBB1_7561:
	s_movk_i32 s4, 0x80
	v_cmp_eq_u16_sdwa s[12:13], v22, s4 src0_sel:BYTE_0 src1_sel:DWORD
	s_mov_b64 s[4:5], -1
                                        ; implicit-def: $sgpr10
	s_and_saveexec_b64 s[8:9], s[12:13]
; %bb.7562:
	s_mov_b32 s10, 0x7f800001
	s_xor_b64 s[4:5], exec, -1
; %bb.7563:
	s_or_b64 exec, exec, s[8:9]
	s_and_b64 s[4:5], s[4:5], exec
	s_or_saveexec_b64 s[6:7], s[6:7]
	v_mov_b32_e32 v21, s10
	s_xor_b64 exec, exec, s[6:7]
	s_cbranch_execnz .LBB1_7564
; %bb.15747:
	s_getpc_b64 s[14:15]
.Lpost_getpc3777:
	s_add_u32 s14, s14, (.LBB1_3466-.Lpost_getpc3777)&4294967295
	s_addc_u32 s15, s15, (.LBB1_3466-.Lpost_getpc3777)>>32
	s_setpc_b64 s[14:15]
.LBB1_7564:
	v_mov_b32_e32 v21, 0
	v_cmp_ne_u16_sdwa s[8:9], v22, v21 src0_sel:BYTE_0 src1_sel:DWORD
	s_andn2_b64 s[4:5], s[4:5], exec
	s_and_b64 s[8:9], s[8:9], exec
	s_or_b64 s[4:5], s[4:5], s[8:9]
	s_or_b64 exec, exec, s[6:7]
	s_and_saveexec_b64 s[6:7], s[4:5]
	s_cbranch_execz .LBB1_9925
; %bb.15749:
	s_getpc_b64 s[14:15]
.Lpost_getpc3778:
	s_add_u32 s14, s14, (.LBB1_3467-.Lpost_getpc3778)&4294967295
	s_addc_u32 s15, s15, (.LBB1_3467-.Lpost_getpc3778)>>32
	s_setpc_b64 s[14:15]
.LBB1_9925:
	s_getpc_b64 s[14:15]
.Lpost_getpc866:
	s_add_u32 s14, s14, (.LBB1_3468-.Lpost_getpc866)&4294967295
	s_addc_u32 s15, s15, (.LBB1_3468-.Lpost_getpc866)>>32
	s_setpc_b64 s[14:15]
.LBB1_7565:
	s_movk_i32 s4, 0x80
	v_cmp_eq_u16_sdwa s[12:13], v22, s4 src0_sel:BYTE_0 src1_sel:DWORD
	s_mov_b64 s[4:5], -1
                                        ; implicit-def: $sgpr10
	s_and_saveexec_b64 s[8:9], s[12:13]
; %bb.7566:
	s_mov_b32 s10, 0x7f800001
	s_xor_b64 s[4:5], exec, -1
; %bb.7567:
	s_or_b64 exec, exec, s[8:9]
	s_and_b64 s[4:5], s[4:5], exec
	s_or_saveexec_b64 s[6:7], s[6:7]
	v_mov_b32_e32 v23, s10
	s_xor_b64 exec, exec, s[6:7]
	s_cbranch_execnz .LBB1_7568
; %bb.15751:
	s_getpc_b64 s[14:15]
.Lpost_getpc3779:
	s_add_u32 s14, s14, (.LBB1_3470-.Lpost_getpc3779)&4294967295
	s_addc_u32 s15, s15, (.LBB1_3470-.Lpost_getpc3779)>>32
	s_setpc_b64 s[14:15]
.LBB1_7568:
	v_mov_b32_e32 v23, 0
	v_cmp_ne_u16_sdwa s[8:9], v22, v23 src0_sel:BYTE_0 src1_sel:DWORD
	s_andn2_b64 s[4:5], s[4:5], exec
	s_and_b64 s[8:9], s[8:9], exec
	s_or_b64 s[4:5], s[4:5], s[8:9]
	s_or_b64 exec, exec, s[6:7]
	s_and_saveexec_b64 s[6:7], s[4:5]
	s_cbranch_execz .LBB1_9927
; %bb.15753:
	s_getpc_b64 s[14:15]
.Lpost_getpc3780:
	s_add_u32 s14, s14, (.LBB1_3471-.Lpost_getpc3780)&4294967295
	s_addc_u32 s15, s15, (.LBB1_3471-.Lpost_getpc3780)>>32
	s_setpc_b64 s[14:15]
.LBB1_9927:
	s_getpc_b64 s[14:15]
.Lpost_getpc867:
	s_add_u32 s14, s14, (.LBB1_3472-.Lpost_getpc867)&4294967295
	s_addc_u32 s15, s15, (.LBB1_3472-.Lpost_getpc867)>>32
	s_setpc_b64 s[14:15]
.LBB1_7569:
	s_movk_i32 s4, 0x80
	v_cmp_eq_u16_e32 vcc, s4, v22
	s_mov_b64 s[4:5], -1
                                        ; implicit-def: $sgpr10
	s_and_saveexec_b64 s[8:9], vcc
; %bb.7570:
	s_mov_b32 s10, 0x7f800001
	s_xor_b64 s[4:5], exec, -1
; %bb.7571:
	s_or_b64 exec, exec, s[8:9]
	s_and_b64 s[4:5], s[4:5], exec
                                        ; implicit-def: $vgpr22
	s_or_saveexec_b64 s[6:7], s[6:7]
	v_mov_b32_e32 v21, s10
	s_xor_b64 exec, exec, s[6:7]
	s_cbranch_execnz .LBB1_7572
; %bb.15755:
	s_getpc_b64 s[14:15]
.Lpost_getpc3781:
	s_add_u32 s14, s14, (.LBB1_3474-.Lpost_getpc3781)&4294967295
	s_addc_u32 s15, s15, (.LBB1_3474-.Lpost_getpc3781)>>32
	s_setpc_b64 s[14:15]
.LBB1_7572:
	v_cmp_ne_u16_e32 vcc, 0, v22
	s_andn2_b64 s[4:5], s[4:5], exec
	s_and_b64 s[8:9], vcc, exec
	v_mov_b32_e32 v21, 0
	s_or_b64 s[4:5], s[4:5], s[8:9]
	s_or_b64 exec, exec, s[6:7]
	s_and_saveexec_b64 s[6:7], s[4:5]
	s_cbranch_execz .LBB1_9929
; %bb.15757:
	s_getpc_b64 s[14:15]
.Lpost_getpc3782:
	s_add_u32 s14, s14, (.LBB1_3475-.Lpost_getpc3782)&4294967295
	s_addc_u32 s15, s15, (.LBB1_3475-.Lpost_getpc3782)>>32
	s_setpc_b64 s[14:15]
.LBB1_9929:
	s_getpc_b64 s[14:15]
.Lpost_getpc868:
	s_add_u32 s14, s14, (.LBB1_3476-.Lpost_getpc868)&4294967295
	s_addc_u32 s15, s15, (.LBB1_3476-.Lpost_getpc868)>>32
	s_setpc_b64 s[14:15]
.LBB1_7573:
	s_movk_i32 s4, 0x80
	v_cmp_eq_u16_e32 vcc, s4, v22
	s_mov_b64 s[4:5], -1
                                        ; implicit-def: $sgpr10
	s_and_saveexec_b64 s[8:9], vcc
; %bb.7574:
	s_mov_b32 s10, 0x7f800001
	s_xor_b64 s[4:5], exec, -1
; %bb.7575:
	s_or_b64 exec, exec, s[8:9]
	s_and_b64 s[4:5], s[4:5], exec
                                        ; implicit-def: $vgpr22
	s_or_saveexec_b64 s[6:7], s[6:7]
	v_mov_b32_e32 v23, s10
	s_xor_b64 exec, exec, s[6:7]
	s_cbranch_execnz .LBB1_7576
; %bb.15759:
	s_getpc_b64 s[14:15]
.Lpost_getpc3783:
	s_add_u32 s14, s14, (.LBB1_3478-.Lpost_getpc3783)&4294967295
	s_addc_u32 s15, s15, (.LBB1_3478-.Lpost_getpc3783)>>32
	s_setpc_b64 s[14:15]
.LBB1_7576:
	v_cmp_ne_u16_e32 vcc, 0, v22
	s_andn2_b64 s[4:5], s[4:5], exec
	s_and_b64 s[8:9], vcc, exec
	v_mov_b32_e32 v23, 0
	s_or_b64 s[4:5], s[4:5], s[8:9]
	s_or_b64 exec, exec, s[6:7]
	s_and_saveexec_b64 s[6:7], s[4:5]
	s_cbranch_execz .LBB1_9931
; %bb.15761:
	s_getpc_b64 s[14:15]
.Lpost_getpc3784:
	s_add_u32 s14, s14, (.LBB1_3479-.Lpost_getpc3784)&4294967295
	s_addc_u32 s15, s15, (.LBB1_3479-.Lpost_getpc3784)>>32
	s_setpc_b64 s[14:15]
.LBB1_9931:
	s_getpc_b64 s[14:15]
.Lpost_getpc869:
	s_add_u32 s14, s14, (.LBB1_3480-.Lpost_getpc869)&4294967295
	s_addc_u32 s15, s15, (.LBB1_3480-.Lpost_getpc869)>>32
	s_setpc_b64 s[14:15]
.LBB1_7577:
	s_movk_i32 s4, 0x80
	v_cmp_eq_u16_sdwa s[12:13], v16, s4 src0_sel:BYTE_3 src1_sel:DWORD
	s_mov_b64 s[4:5], -1
                                        ; implicit-def: $sgpr10
	s_and_saveexec_b64 s[8:9], s[12:13]
; %bb.7578:
	s_mov_b32 s10, 0x7f800001
	s_xor_b64 s[4:5], exec, -1
; %bb.7579:
	s_or_b64 exec, exec, s[8:9]
	s_and_b64 s[4:5], s[4:5], exec
	s_or_saveexec_b64 s[6:7], s[6:7]
	v_mov_b32_e32 v21, s10
	s_xor_b64 exec, exec, s[6:7]
	s_cbranch_execnz .LBB1_7580
; %bb.15763:
	s_getpc_b64 s[14:15]
.Lpost_getpc3785:
	s_add_u32 s14, s14, (.LBB1_3482-.Lpost_getpc3785)&4294967295
	s_addc_u32 s15, s15, (.LBB1_3482-.Lpost_getpc3785)>>32
	s_setpc_b64 s[14:15]
.LBB1_7580:
	v_mov_b32_e32 v21, 0
	v_cmp_ne_u16_sdwa s[8:9], v16, v21 src0_sel:BYTE_3 src1_sel:DWORD
	s_andn2_b64 s[4:5], s[4:5], exec
	s_and_b64 s[8:9], s[8:9], exec
	s_or_b64 s[4:5], s[4:5], s[8:9]
	s_or_b64 exec, exec, s[6:7]
	s_and_saveexec_b64 s[6:7], s[4:5]
	s_cbranch_execz .LBB1_9933
; %bb.15765:
	s_getpc_b64 s[14:15]
.Lpost_getpc3786:
	s_add_u32 s14, s14, (.LBB1_3483-.Lpost_getpc3786)&4294967295
	s_addc_u32 s15, s15, (.LBB1_3483-.Lpost_getpc3786)>>32
	s_setpc_b64 s[14:15]
.LBB1_9933:
	s_getpc_b64 s[14:15]
.Lpost_getpc870:
	s_add_u32 s14, s14, (.LBB1_3484-.Lpost_getpc870)&4294967295
	s_addc_u32 s15, s15, (.LBB1_3484-.Lpost_getpc870)>>32
	s_setpc_b64 s[14:15]
.LBB1_7581:
	s_movk_i32 s4, 0x80
	v_cmp_eq_u16_sdwa s[12:13], v12, s4 src0_sel:BYTE_3 src1_sel:DWORD
	s_mov_b64 s[4:5], -1
                                        ; implicit-def: $sgpr10
	s_and_saveexec_b64 s[8:9], s[12:13]
; %bb.7582:
	s_mov_b32 s10, 0x7f800001
	s_xor_b64 s[4:5], exec, -1
; %bb.7583:
	s_or_b64 exec, exec, s[8:9]
	s_and_b64 s[4:5], s[4:5], exec
	s_or_saveexec_b64 s[6:7], s[6:7]
	v_mov_b32_e32 v16, s10
	s_xor_b64 exec, exec, s[6:7]
	s_cbranch_execnz .LBB1_7584
; %bb.15767:
	s_getpc_b64 s[14:15]
.Lpost_getpc3787:
	s_add_u32 s14, s14, (.LBB1_3486-.Lpost_getpc3787)&4294967295
	s_addc_u32 s15, s15, (.LBB1_3486-.Lpost_getpc3787)>>32
	s_setpc_b64 s[14:15]
.LBB1_7584:
	v_mov_b32_e32 v16, 0
	v_cmp_ne_u16_sdwa s[8:9], v12, v16 src0_sel:BYTE_3 src1_sel:DWORD
	s_andn2_b64 s[4:5], s[4:5], exec
	s_and_b64 s[8:9], s[8:9], exec
	s_or_b64 s[4:5], s[4:5], s[8:9]
	s_or_b64 exec, exec, s[6:7]
	s_and_saveexec_b64 s[6:7], s[4:5]
	s_cbranch_execz .LBB1_9935
; %bb.15769:
	s_getpc_b64 s[14:15]
.Lpost_getpc3788:
	s_add_u32 s14, s14, (.LBB1_3487-.Lpost_getpc3788)&4294967295
	s_addc_u32 s15, s15, (.LBB1_3487-.Lpost_getpc3788)>>32
	s_setpc_b64 s[14:15]
.LBB1_9935:
	s_getpc_b64 s[14:15]
.Lpost_getpc871:
	s_add_u32 s14, s14, (.LBB1_3488-.Lpost_getpc871)&4294967295
	s_addc_u32 s15, s15, (.LBB1_3488-.Lpost_getpc871)>>32
	s_setpc_b64 s[14:15]
.LBB1_7585:
	s_movk_i32 s4, 0x80
	v_cmp_eq_u16_sdwa s[12:13], v17, s4 src0_sel:BYTE_0 src1_sel:DWORD
	s_mov_b64 s[4:5], -1
                                        ; implicit-def: $sgpr10
	s_and_saveexec_b64 s[8:9], s[12:13]
; %bb.7586:
	s_mov_b32 s10, 0x7f800001
	s_xor_b64 s[4:5], exec, -1
; %bb.7587:
	s_or_b64 exec, exec, s[8:9]
	s_and_b64 s[4:5], s[4:5], exec
	s_or_saveexec_b64 s[6:7], s[6:7]
	v_mov_b32_e32 v12, s10
	s_xor_b64 exec, exec, s[6:7]
	s_cbranch_execnz .LBB1_7588
; %bb.15771:
	s_getpc_b64 s[14:15]
.Lpost_getpc3789:
	s_add_u32 s14, s14, (.LBB1_3490-.Lpost_getpc3789)&4294967295
	s_addc_u32 s15, s15, (.LBB1_3490-.Lpost_getpc3789)>>32
	s_setpc_b64 s[14:15]
.LBB1_7588:
	v_mov_b32_e32 v12, 0
	v_cmp_ne_u16_sdwa s[8:9], v17, v12 src0_sel:BYTE_0 src1_sel:DWORD
	s_andn2_b64 s[4:5], s[4:5], exec
	s_and_b64 s[8:9], s[8:9], exec
	s_or_b64 s[4:5], s[4:5], s[8:9]
	s_or_b64 exec, exec, s[6:7]
	s_and_saveexec_b64 s[6:7], s[4:5]
	s_cbranch_execz .LBB1_9937
; %bb.15773:
	s_getpc_b64 s[14:15]
.Lpost_getpc3790:
	s_add_u32 s14, s14, (.LBB1_3491-.Lpost_getpc3790)&4294967295
	s_addc_u32 s15, s15, (.LBB1_3491-.Lpost_getpc3790)>>32
	s_setpc_b64 s[14:15]
.LBB1_9937:
	s_getpc_b64 s[14:15]
.Lpost_getpc872:
	s_add_u32 s14, s14, (.LBB1_3492-.Lpost_getpc872)&4294967295
	s_addc_u32 s15, s15, (.LBB1_3492-.Lpost_getpc872)>>32
	s_setpc_b64 s[14:15]
.LBB1_7589:
	s_movk_i32 s4, 0x80
	v_cmp_eq_u16_sdwa s[12:13], v13, s4 src0_sel:BYTE_0 src1_sel:DWORD
	s_mov_b64 s[4:5], -1
                                        ; implicit-def: $sgpr10
	s_and_saveexec_b64 s[8:9], s[12:13]
; %bb.7590:
	s_mov_b32 s10, 0x7f800001
	s_xor_b64 s[4:5], exec, -1
; %bb.7591:
	s_or_b64 exec, exec, s[8:9]
	s_and_b64 s[4:5], s[4:5], exec
	s_or_saveexec_b64 s[6:7], s[6:7]
	v_mov_b32_e32 v16, s10
	s_xor_b64 exec, exec, s[6:7]
	s_cbranch_execnz .LBB1_7592
; %bb.15775:
	s_getpc_b64 s[14:15]
.Lpost_getpc3791:
	s_add_u32 s14, s14, (.LBB1_3494-.Lpost_getpc3791)&4294967295
	s_addc_u32 s15, s15, (.LBB1_3494-.Lpost_getpc3791)>>32
	s_setpc_b64 s[14:15]
.LBB1_7592:
	v_mov_b32_e32 v16, 0
	v_cmp_ne_u16_sdwa s[8:9], v13, v16 src0_sel:BYTE_0 src1_sel:DWORD
	s_andn2_b64 s[4:5], s[4:5], exec
	s_and_b64 s[8:9], s[8:9], exec
	s_or_b64 s[4:5], s[4:5], s[8:9]
	s_or_b64 exec, exec, s[6:7]
	s_and_saveexec_b64 s[6:7], s[4:5]
	s_cbranch_execz .LBB1_9939
; %bb.15777:
	s_getpc_b64 s[14:15]
.Lpost_getpc3792:
	s_add_u32 s14, s14, (.LBB1_3495-.Lpost_getpc3792)&4294967295
	s_addc_u32 s15, s15, (.LBB1_3495-.Lpost_getpc3792)>>32
	s_setpc_b64 s[14:15]
.LBB1_9939:
	s_getpc_b64 s[14:15]
.Lpost_getpc873:
	s_add_u32 s14, s14, (.LBB1_3496-.Lpost_getpc873)&4294967295
	s_addc_u32 s15, s15, (.LBB1_3496-.Lpost_getpc873)>>32
	s_setpc_b64 s[14:15]
.LBB1_7593:
	s_movk_i32 s4, 0x80
	v_cmp_eq_u16_sdwa s[12:13], v16, s4 src0_sel:BYTE_0 src1_sel:DWORD
	s_mov_b64 s[4:5], -1
                                        ; implicit-def: $sgpr10
	s_and_saveexec_b64 s[8:9], s[12:13]
; %bb.7594:
	s_mov_b32 s10, 0x7f800001
	s_xor_b64 s[4:5], exec, -1
; %bb.7595:
	s_or_b64 exec, exec, s[8:9]
	s_and_b64 s[4:5], s[4:5], exec
	s_or_saveexec_b64 s[6:7], s[6:7]
	v_mov_b32_e32 v12, s10
	s_xor_b64 exec, exec, s[6:7]
	s_cbranch_execnz .LBB1_7596
; %bb.15779:
	s_getpc_b64 s[14:15]
.Lpost_getpc3793:
	s_add_u32 s14, s14, (.LBB1_3498-.Lpost_getpc3793)&4294967295
	s_addc_u32 s15, s15, (.LBB1_3498-.Lpost_getpc3793)>>32
	s_setpc_b64 s[14:15]
.LBB1_7596:
	v_mov_b32_e32 v12, 0
	v_cmp_ne_u16_sdwa s[8:9], v16, v12 src0_sel:BYTE_0 src1_sel:DWORD
	s_andn2_b64 s[4:5], s[4:5], exec
	s_and_b64 s[8:9], s[8:9], exec
	s_or_b64 s[4:5], s[4:5], s[8:9]
	s_or_b64 exec, exec, s[6:7]
	s_and_saveexec_b64 s[6:7], s[4:5]
	s_cbranch_execz .LBB1_9941
; %bb.15781:
	s_getpc_b64 s[14:15]
.Lpost_getpc3794:
	s_add_u32 s14, s14, (.LBB1_3499-.Lpost_getpc3794)&4294967295
	s_addc_u32 s15, s15, (.LBB1_3499-.Lpost_getpc3794)>>32
	s_setpc_b64 s[14:15]
.LBB1_9941:
	s_getpc_b64 s[14:15]
.Lpost_getpc874:
	s_add_u32 s14, s14, (.LBB1_3500-.Lpost_getpc874)&4294967295
	s_addc_u32 s15, s15, (.LBB1_3500-.Lpost_getpc874)>>32
	s_setpc_b64 s[14:15]
.LBB1_7597:
	s_movk_i32 s4, 0x80
	v_cmp_eq_u16_sdwa s[12:13], v16, s4 src0_sel:BYTE_0 src1_sel:DWORD
	s_mov_b64 s[4:5], -1
                                        ; implicit-def: $sgpr10
	s_and_saveexec_b64 s[8:9], s[12:13]
; %bb.7598:
	s_mov_b32 s10, 0x7f800001
	s_xor_b64 s[4:5], exec, -1
; %bb.7599:
	s_or_b64 exec, exec, s[8:9]
	s_and_b64 s[4:5], s[4:5], exec
	s_or_saveexec_b64 s[6:7], s[6:7]
	v_mov_b32_e32 v21, s10
	s_xor_b64 exec, exec, s[6:7]
	s_cbranch_execnz .LBB1_7600
; %bb.15783:
	s_getpc_b64 s[14:15]
.Lpost_getpc3795:
	s_add_u32 s14, s14, (.LBB1_3502-.Lpost_getpc3795)&4294967295
	s_addc_u32 s15, s15, (.LBB1_3502-.Lpost_getpc3795)>>32
	s_setpc_b64 s[14:15]
.LBB1_7600:
	v_mov_b32_e32 v21, 0
	v_cmp_ne_u16_sdwa s[8:9], v16, v21 src0_sel:BYTE_0 src1_sel:DWORD
	s_andn2_b64 s[4:5], s[4:5], exec
	s_and_b64 s[8:9], s[8:9], exec
	s_or_b64 s[4:5], s[4:5], s[8:9]
	s_or_b64 exec, exec, s[6:7]
	s_and_saveexec_b64 s[6:7], s[4:5]
	s_cbranch_execz .LBB1_9943
; %bb.15785:
	s_getpc_b64 s[14:15]
.Lpost_getpc3796:
	s_add_u32 s14, s14, (.LBB1_3503-.Lpost_getpc3796)&4294967295
	s_addc_u32 s15, s15, (.LBB1_3503-.Lpost_getpc3796)>>32
	s_setpc_b64 s[14:15]
.LBB1_9943:
	s_getpc_b64 s[14:15]
.Lpost_getpc875:
	s_add_u32 s14, s14, (.LBB1_3504-.Lpost_getpc875)&4294967295
	s_addc_u32 s15, s15, (.LBB1_3504-.Lpost_getpc875)>>32
	s_setpc_b64 s[14:15]
.LBB1_7601:
	s_movk_i32 s4, 0x80
	v_cmp_eq_u16_e32 vcc, s4, v16
	s_mov_b64 s[4:5], -1
                                        ; implicit-def: $sgpr10
	s_and_saveexec_b64 s[8:9], vcc
; %bb.7602:
	s_mov_b32 s10, 0x7f800001
	s_xor_b64 s[4:5], exec, -1
; %bb.7603:
	s_or_b64 exec, exec, s[8:9]
	s_and_b64 s[4:5], s[4:5], exec
                                        ; implicit-def: $vgpr16
	s_or_saveexec_b64 s[6:7], s[6:7]
	v_mov_b32_e32 v12, s10
	s_xor_b64 exec, exec, s[6:7]
	s_cbranch_execnz .LBB1_7604
; %bb.15787:
	s_getpc_b64 s[14:15]
.Lpost_getpc3797:
	s_add_u32 s14, s14, (.LBB1_3506-.Lpost_getpc3797)&4294967295
	s_addc_u32 s15, s15, (.LBB1_3506-.Lpost_getpc3797)>>32
	s_setpc_b64 s[14:15]
.LBB1_7604:
	v_cmp_ne_u16_e32 vcc, 0, v16
	s_andn2_b64 s[4:5], s[4:5], exec
	s_and_b64 s[8:9], vcc, exec
	v_mov_b32_e32 v12, 0
	s_or_b64 s[4:5], s[4:5], s[8:9]
	s_or_b64 exec, exec, s[6:7]
	s_and_saveexec_b64 s[6:7], s[4:5]
	s_cbranch_execz .LBB1_9945
; %bb.15789:
	s_getpc_b64 s[14:15]
.Lpost_getpc3798:
	s_add_u32 s14, s14, (.LBB1_3507-.Lpost_getpc3798)&4294967295
	s_addc_u32 s15, s15, (.LBB1_3507-.Lpost_getpc3798)>>32
	s_setpc_b64 s[14:15]
.LBB1_9945:
	s_getpc_b64 s[14:15]
.Lpost_getpc876:
	s_add_u32 s14, s14, (.LBB1_3508-.Lpost_getpc876)&4294967295
	s_addc_u32 s15, s15, (.LBB1_3508-.Lpost_getpc876)>>32
	s_setpc_b64 s[14:15]
.LBB1_7605:
	s_movk_i32 s4, 0x80
	v_cmp_eq_u16_e32 vcc, s4, v16
	s_mov_b64 s[4:5], -1
                                        ; implicit-def: $sgpr10
	s_and_saveexec_b64 s[8:9], vcc
; %bb.7606:
	s_mov_b32 s10, 0x7f800001
	s_xor_b64 s[4:5], exec, -1
; %bb.7607:
	s_or_b64 exec, exec, s[8:9]
	s_and_b64 s[4:5], s[4:5], exec
                                        ; implicit-def: $vgpr16
	s_or_saveexec_b64 s[6:7], s[6:7]
	v_mov_b32_e32 v21, s10
	s_xor_b64 exec, exec, s[6:7]
	s_cbranch_execnz .LBB1_7608
; %bb.15791:
	s_getpc_b64 s[14:15]
.Lpost_getpc3799:
	s_add_u32 s14, s14, (.LBB1_3510-.Lpost_getpc3799)&4294967295
	s_addc_u32 s15, s15, (.LBB1_3510-.Lpost_getpc3799)>>32
	s_setpc_b64 s[14:15]
.LBB1_7608:
	v_cmp_ne_u16_e32 vcc, 0, v16
	s_andn2_b64 s[4:5], s[4:5], exec
	s_and_b64 s[8:9], vcc, exec
	v_mov_b32_e32 v21, 0
	s_or_b64 s[4:5], s[4:5], s[8:9]
	s_or_b64 exec, exec, s[6:7]
	s_and_saveexec_b64 s[6:7], s[4:5]
	s_cbranch_execz .LBB1_9947
; %bb.15793:
	s_getpc_b64 s[14:15]
.Lpost_getpc3800:
	s_add_u32 s14, s14, (.LBB1_3511-.Lpost_getpc3800)&4294967295
	s_addc_u32 s15, s15, (.LBB1_3511-.Lpost_getpc3800)>>32
	s_setpc_b64 s[14:15]
.LBB1_9947:
	s_getpc_b64 s[14:15]
.Lpost_getpc877:
	s_add_u32 s14, s14, (.LBB1_3512-.Lpost_getpc877)&4294967295
	s_addc_u32 s15, s15, (.LBB1_3512-.Lpost_getpc877)>>32
	s_setpc_b64 s[14:15]
.LBB1_7609:
	s_movk_i32 s4, 0x80
	v_cmp_eq_u16_sdwa s[12:13], v17, s4 src0_sel:BYTE_3 src1_sel:DWORD
	s_mov_b64 s[4:5], -1
                                        ; implicit-def: $sgpr10
	s_and_saveexec_b64 s[8:9], s[12:13]
; %bb.7610:
	s_mov_b32 s10, 0x7f800001
	s_xor_b64 s[4:5], exec, -1
; %bb.7611:
	s_or_b64 exec, exec, s[8:9]
	s_and_b64 s[4:5], s[4:5], exec
	s_or_saveexec_b64 s[6:7], s[6:7]
	v_mov_b32_e32 v12, s10
	s_xor_b64 exec, exec, s[6:7]
	s_cbranch_execnz .LBB1_7612
; %bb.15795:
	s_getpc_b64 s[14:15]
.Lpost_getpc3801:
	s_add_u32 s14, s14, (.LBB1_3514-.Lpost_getpc3801)&4294967295
	s_addc_u32 s15, s15, (.LBB1_3514-.Lpost_getpc3801)>>32
	s_setpc_b64 s[14:15]
.LBB1_7612:
	v_mov_b32_e32 v12, 0
	v_cmp_ne_u16_sdwa s[8:9], v17, v12 src0_sel:BYTE_3 src1_sel:DWORD
	s_andn2_b64 s[4:5], s[4:5], exec
	s_and_b64 s[8:9], s[8:9], exec
	s_or_b64 s[4:5], s[4:5], s[8:9]
	s_or_b64 exec, exec, s[6:7]
	s_and_saveexec_b64 s[6:7], s[4:5]
	s_cbranch_execz .LBB1_9949
; %bb.15797:
	s_getpc_b64 s[14:15]
.Lpost_getpc3802:
	s_add_u32 s14, s14, (.LBB1_3515-.Lpost_getpc3802)&4294967295
	s_addc_u32 s15, s15, (.LBB1_3515-.Lpost_getpc3802)>>32
	s_setpc_b64 s[14:15]
.LBB1_9949:
	s_getpc_b64 s[14:15]
.Lpost_getpc878:
	s_add_u32 s14, s14, (.LBB1_3516-.Lpost_getpc878)&4294967295
	s_addc_u32 s15, s15, (.LBB1_3516-.Lpost_getpc878)>>32
	s_setpc_b64 s[14:15]
.LBB1_7613:
	s_movk_i32 s4, 0x80
	v_cmp_eq_u16_sdwa s[12:13], v13, s4 src0_sel:BYTE_3 src1_sel:DWORD
	s_mov_b64 s[4:5], -1
                                        ; implicit-def: $sgpr10
	s_and_saveexec_b64 s[8:9], s[12:13]
; %bb.7614:
	s_mov_b32 s10, 0x7f800001
	s_xor_b64 s[4:5], exec, -1
; %bb.7615:
	s_or_b64 exec, exec, s[8:9]
	s_and_b64 s[4:5], s[4:5], exec
	s_or_saveexec_b64 s[6:7], s[6:7]
	v_mov_b32_e32 v16, s10
	s_xor_b64 exec, exec, s[6:7]
	s_cbranch_execnz .LBB1_7616
; %bb.15799:
	s_getpc_b64 s[14:15]
.Lpost_getpc3803:
	s_add_u32 s14, s14, (.LBB1_3518-.Lpost_getpc3803)&4294967295
	s_addc_u32 s15, s15, (.LBB1_3518-.Lpost_getpc3803)>>32
	s_setpc_b64 s[14:15]
.LBB1_7616:
	v_mov_b32_e32 v16, 0
	v_cmp_ne_u16_sdwa s[8:9], v13, v16 src0_sel:BYTE_3 src1_sel:DWORD
	s_andn2_b64 s[4:5], s[4:5], exec
	s_and_b64 s[8:9], s[8:9], exec
	s_or_b64 s[4:5], s[4:5], s[8:9]
	s_or_b64 exec, exec, s[6:7]
	s_and_saveexec_b64 s[6:7], s[4:5]
	s_cbranch_execz .LBB1_9951
; %bb.15801:
	s_getpc_b64 s[14:15]
.Lpost_getpc3804:
	s_add_u32 s14, s14, (.LBB1_3519-.Lpost_getpc3804)&4294967295
	s_addc_u32 s15, s15, (.LBB1_3519-.Lpost_getpc3804)>>32
	s_setpc_b64 s[14:15]
.LBB1_9951:
	s_getpc_b64 s[14:15]
.Lpost_getpc879:
	s_add_u32 s14, s14, (.LBB1_3520-.Lpost_getpc879)&4294967295
	s_addc_u32 s15, s15, (.LBB1_3520-.Lpost_getpc879)>>32
	s_setpc_b64 s[14:15]
.LBB1_7617:
	s_movk_i32 s4, 0x80
	v_cmp_eq_u16_sdwa s[12:13], v18, s4 src0_sel:BYTE_0 src1_sel:DWORD
	s_mov_b64 s[4:5], -1
                                        ; implicit-def: $sgpr10
	s_and_saveexec_b64 s[8:9], s[12:13]
; %bb.7618:
	s_mov_b32 s10, 0x7f800001
	s_xor_b64 s[4:5], exec, -1
; %bb.7619:
	s_or_b64 exec, exec, s[8:9]
	s_and_b64 s[4:5], s[4:5], exec
	s_or_saveexec_b64 s[6:7], s[6:7]
	v_mov_b32_e32 v13, s10
	s_xor_b64 exec, exec, s[6:7]
	s_cbranch_execnz .LBB1_7620
; %bb.15803:
	s_getpc_b64 s[14:15]
.Lpost_getpc3805:
	s_add_u32 s14, s14, (.LBB1_3522-.Lpost_getpc3805)&4294967295
	s_addc_u32 s15, s15, (.LBB1_3522-.Lpost_getpc3805)>>32
	s_setpc_b64 s[14:15]
.LBB1_7620:
	v_mov_b32_e32 v13, 0
	v_cmp_ne_u16_sdwa s[8:9], v18, v13 src0_sel:BYTE_0 src1_sel:DWORD
	s_andn2_b64 s[4:5], s[4:5], exec
	s_and_b64 s[8:9], s[8:9], exec
	s_or_b64 s[4:5], s[4:5], s[8:9]
	s_or_b64 exec, exec, s[6:7]
	s_and_saveexec_b64 s[6:7], s[4:5]
	s_cbranch_execz .LBB1_9953
; %bb.15805:
	s_getpc_b64 s[14:15]
.Lpost_getpc3806:
	s_add_u32 s14, s14, (.LBB1_3523-.Lpost_getpc3806)&4294967295
	s_addc_u32 s15, s15, (.LBB1_3523-.Lpost_getpc3806)>>32
	s_setpc_b64 s[14:15]
.LBB1_9953:
	s_getpc_b64 s[14:15]
.Lpost_getpc880:
	s_add_u32 s14, s14, (.LBB1_3524-.Lpost_getpc880)&4294967295
	s_addc_u32 s15, s15, (.LBB1_3524-.Lpost_getpc880)>>32
	s_setpc_b64 s[14:15]
.LBB1_7621:
	s_movk_i32 s4, 0x80
	v_cmp_eq_u16_sdwa s[12:13], v16, s4 src0_sel:BYTE_0 src1_sel:DWORD
	s_mov_b64 s[4:5], -1
                                        ; implicit-def: $sgpr10
	s_and_saveexec_b64 s[8:9], s[12:13]
; %bb.7622:
	s_mov_b32 s10, 0x7f800001
	s_xor_b64 s[4:5], exec, -1
; %bb.7623:
	s_or_b64 exec, exec, s[8:9]
	s_and_b64 s[4:5], s[4:5], exec
	s_or_saveexec_b64 s[6:7], s[6:7]
	v_mov_b32_e32 v14, s10
	s_xor_b64 exec, exec, s[6:7]
	s_cbranch_execnz .LBB1_7624
; %bb.15807:
	s_getpc_b64 s[14:15]
.Lpost_getpc3807:
	s_add_u32 s14, s14, (.LBB1_3526-.Lpost_getpc3807)&4294967295
	s_addc_u32 s15, s15, (.LBB1_3526-.Lpost_getpc3807)>>32
	s_setpc_b64 s[14:15]
.LBB1_7624:
	v_mov_b32_e32 v14, 0
	v_cmp_ne_u16_sdwa s[8:9], v16, v14 src0_sel:BYTE_0 src1_sel:DWORD
	s_andn2_b64 s[4:5], s[4:5], exec
	s_and_b64 s[8:9], s[8:9], exec
	s_or_b64 s[4:5], s[4:5], s[8:9]
	s_or_b64 exec, exec, s[6:7]
	v_or_b32_sdwa v12, v16, v12 dst_sel:DWORD dst_unused:UNUSED_PAD src0_sel:WORD_0 src1_sel:DWORD
	s_and_saveexec_b64 s[6:7], s[4:5]
	s_cbranch_execz .LBB1_9955
; %bb.15809:
	s_getpc_b64 s[14:15]
.Lpost_getpc3808:
	s_add_u32 s14, s14, (.LBB1_3527-.Lpost_getpc3808)&4294967295
	s_addc_u32 s15, s15, (.LBB1_3527-.Lpost_getpc3808)>>32
	s_setpc_b64 s[14:15]
.LBB1_9955:
	s_getpc_b64 s[14:15]
.Lpost_getpc881:
	s_add_u32 s14, s14, (.LBB1_3528-.Lpost_getpc881)&4294967295
	s_addc_u32 s15, s15, (.LBB1_3528-.Lpost_getpc881)>>32
	s_setpc_b64 s[14:15]
.LBB1_7625:
	s_movk_i32 s4, 0x80
	v_cmp_eq_u16_sdwa s[12:13], v14, s4 src0_sel:BYTE_0 src1_sel:DWORD
	s_mov_b64 s[4:5], -1
                                        ; implicit-def: $sgpr10
	s_and_saveexec_b64 s[8:9], s[12:13]
; %bb.7626:
	s_mov_b32 s10, 0x7f800001
	s_xor_b64 s[4:5], exec, -1
; %bb.7627:
	s_or_b64 exec, exec, s[8:9]
	s_and_b64 s[4:5], s[4:5], exec
	s_or_saveexec_b64 s[6:7], s[6:7]
	v_mov_b32_e32 v13, s10
	s_xor_b64 exec, exec, s[6:7]
	s_cbranch_execnz .LBB1_7628
; %bb.15811:
	s_getpc_b64 s[14:15]
.Lpost_getpc3809:
	s_add_u32 s14, s14, (.LBB1_3530-.Lpost_getpc3809)&4294967295
	s_addc_u32 s15, s15, (.LBB1_3530-.Lpost_getpc3809)>>32
	s_setpc_b64 s[14:15]
.LBB1_7628:
	v_mov_b32_e32 v13, 0
	v_cmp_ne_u16_sdwa s[8:9], v14, v13 src0_sel:BYTE_0 src1_sel:DWORD
	s_andn2_b64 s[4:5], s[4:5], exec
	s_and_b64 s[8:9], s[8:9], exec
	s_or_b64 s[4:5], s[4:5], s[8:9]
	s_or_b64 exec, exec, s[6:7]
	s_and_saveexec_b64 s[6:7], s[4:5]
	s_cbranch_execz .LBB1_9957
; %bb.15813:
	s_getpc_b64 s[14:15]
.Lpost_getpc3810:
	s_add_u32 s14, s14, (.LBB1_3531-.Lpost_getpc3810)&4294967295
	s_addc_u32 s15, s15, (.LBB1_3531-.Lpost_getpc3810)>>32
	s_setpc_b64 s[14:15]
.LBB1_9957:
	s_getpc_b64 s[14:15]
.Lpost_getpc882:
	s_add_u32 s14, s14, (.LBB1_3532-.Lpost_getpc882)&4294967295
	s_addc_u32 s15, s15, (.LBB1_3532-.Lpost_getpc882)>>32
	s_setpc_b64 s[14:15]
.LBB1_7629:
	s_movk_i32 s4, 0x80
	v_cmp_eq_u16_sdwa s[12:13], v14, s4 src0_sel:BYTE_0 src1_sel:DWORD
	s_mov_b64 s[4:5], -1
                                        ; implicit-def: $sgpr10
	s_and_saveexec_b64 s[8:9], s[12:13]
; %bb.7630:
	s_mov_b32 s10, 0x7f800001
	s_xor_b64 s[4:5], exec, -1
; %bb.7631:
	s_or_b64 exec, exec, s[8:9]
	s_and_b64 s[4:5], s[4:5], exec
	s_or_saveexec_b64 s[6:7], s[6:7]
	v_mov_b32_e32 v16, s10
	s_xor_b64 exec, exec, s[6:7]
	s_cbranch_execnz .LBB1_7632
; %bb.15815:
	s_getpc_b64 s[14:15]
.Lpost_getpc3811:
	s_add_u32 s14, s14, (.LBB1_3534-.Lpost_getpc3811)&4294967295
	s_addc_u32 s15, s15, (.LBB1_3534-.Lpost_getpc3811)>>32
	s_setpc_b64 s[14:15]
.LBB1_7632:
	v_mov_b32_e32 v16, 0
	v_cmp_ne_u16_sdwa s[8:9], v14, v16 src0_sel:BYTE_0 src1_sel:DWORD
	s_andn2_b64 s[4:5], s[4:5], exec
	s_and_b64 s[8:9], s[8:9], exec
	s_or_b64 s[4:5], s[4:5], s[8:9]
	s_or_b64 exec, exec, s[6:7]
	s_and_saveexec_b64 s[6:7], s[4:5]
	s_cbranch_execz .LBB1_9959
; %bb.15817:
	s_getpc_b64 s[14:15]
.Lpost_getpc3812:
	s_add_u32 s14, s14, (.LBB1_3535-.Lpost_getpc3812)&4294967295
	s_addc_u32 s15, s15, (.LBB1_3535-.Lpost_getpc3812)>>32
	s_setpc_b64 s[14:15]
.LBB1_9959:
	s_getpc_b64 s[14:15]
.Lpost_getpc883:
	s_add_u32 s14, s14, (.LBB1_3536-.Lpost_getpc883)&4294967295
	s_addc_u32 s15, s15, (.LBB1_3536-.Lpost_getpc883)>>32
	s_setpc_b64 s[14:15]
.LBB1_7633:
	s_movk_i32 s4, 0x80
	v_cmp_eq_u16_e32 vcc, s4, v14
	s_mov_b64 s[4:5], -1
                                        ; implicit-def: $sgpr10
	s_and_saveexec_b64 s[8:9], vcc
; %bb.7634:
	s_mov_b32 s10, 0x7f800001
	s_xor_b64 s[4:5], exec, -1
; %bb.7635:
	s_or_b64 exec, exec, s[8:9]
	s_and_b64 s[4:5], s[4:5], exec
                                        ; implicit-def: $vgpr14
	s_or_saveexec_b64 s[6:7], s[6:7]
	v_mov_b32_e32 v13, s10
	s_xor_b64 exec, exec, s[6:7]
	s_cbranch_execnz .LBB1_7636
; %bb.15819:
	s_getpc_b64 s[14:15]
.Lpost_getpc3813:
	s_add_u32 s14, s14, (.LBB1_3538-.Lpost_getpc3813)&4294967295
	s_addc_u32 s15, s15, (.LBB1_3538-.Lpost_getpc3813)>>32
	s_setpc_b64 s[14:15]
.LBB1_7636:
	v_cmp_ne_u16_e32 vcc, 0, v14
	s_andn2_b64 s[4:5], s[4:5], exec
	s_and_b64 s[8:9], vcc, exec
	v_mov_b32_e32 v13, 0
	s_or_b64 s[4:5], s[4:5], s[8:9]
	s_or_b64 exec, exec, s[6:7]
	s_and_saveexec_b64 s[6:7], s[4:5]
	s_cbranch_execz .LBB1_9961
; %bb.15821:
	s_getpc_b64 s[14:15]
.Lpost_getpc3814:
	s_add_u32 s14, s14, (.LBB1_3539-.Lpost_getpc3814)&4294967295
	s_addc_u32 s15, s15, (.LBB1_3539-.Lpost_getpc3814)>>32
	s_setpc_b64 s[14:15]
.LBB1_9961:
	s_getpc_b64 s[14:15]
.Lpost_getpc884:
	s_add_u32 s14, s14, (.LBB1_3540-.Lpost_getpc884)&4294967295
	s_addc_u32 s15, s15, (.LBB1_3540-.Lpost_getpc884)>>32
	s_setpc_b64 s[14:15]
.LBB1_7637:
	s_movk_i32 s4, 0x80
	v_cmp_eq_u16_e32 vcc, s4, v14
	s_mov_b64 s[4:5], -1
                                        ; implicit-def: $sgpr10
	s_and_saveexec_b64 s[8:9], vcc
; %bb.7638:
	s_mov_b32 s10, 0x7f800001
	s_xor_b64 s[4:5], exec, -1
; %bb.7639:
	s_or_b64 exec, exec, s[8:9]
	s_and_b64 s[4:5], s[4:5], exec
                                        ; implicit-def: $vgpr14
	s_or_saveexec_b64 s[6:7], s[6:7]
	v_mov_b32_e32 v16, s10
	s_xor_b64 exec, exec, s[6:7]
	s_cbranch_execnz .LBB1_7640
; %bb.15823:
	s_getpc_b64 s[14:15]
.Lpost_getpc3815:
	s_add_u32 s14, s14, (.LBB1_3542-.Lpost_getpc3815)&4294967295
	s_addc_u32 s15, s15, (.LBB1_3542-.Lpost_getpc3815)>>32
	s_setpc_b64 s[14:15]
.LBB1_7640:
	v_cmp_ne_u16_e32 vcc, 0, v14
	s_andn2_b64 s[4:5], s[4:5], exec
	s_and_b64 s[8:9], vcc, exec
	v_mov_b32_e32 v16, 0
	s_or_b64 s[4:5], s[4:5], s[8:9]
	s_or_b64 exec, exec, s[6:7]
	s_and_saveexec_b64 s[6:7], s[4:5]
	s_cbranch_execz .LBB1_9963
; %bb.15825:
	s_getpc_b64 s[14:15]
.Lpost_getpc3816:
	s_add_u32 s14, s14, (.LBB1_3543-.Lpost_getpc3816)&4294967295
	s_addc_u32 s15, s15, (.LBB1_3543-.Lpost_getpc3816)>>32
	s_setpc_b64 s[14:15]
.LBB1_9963:
	s_getpc_b64 s[14:15]
.Lpost_getpc885:
	s_add_u32 s14, s14, (.LBB1_3544-.Lpost_getpc885)&4294967295
	s_addc_u32 s15, s15, (.LBB1_3544-.Lpost_getpc885)>>32
	s_setpc_b64 s[14:15]
.LBB1_7641:
	s_movk_i32 s4, 0x80
	v_cmp_eq_u16_sdwa s[12:13], v18, s4 src0_sel:BYTE_3 src1_sel:DWORD
	s_mov_b64 s[4:5], -1
                                        ; implicit-def: $sgpr10
	s_and_saveexec_b64 s[8:9], s[12:13]
; %bb.7642:
	s_mov_b32 s10, 0x7f800001
	s_xor_b64 s[4:5], exec, -1
; %bb.7643:
	s_or_b64 exec, exec, s[8:9]
	s_and_b64 s[4:5], s[4:5], exec
	s_or_saveexec_b64 s[6:7], s[6:7]
	v_mov_b32_e32 v13, s10
	s_xor_b64 exec, exec, s[6:7]
	s_cbranch_execnz .LBB1_7644
; %bb.15827:
	s_getpc_b64 s[14:15]
.Lpost_getpc3817:
	s_add_u32 s14, s14, (.LBB1_3546-.Lpost_getpc3817)&4294967295
	s_addc_u32 s15, s15, (.LBB1_3546-.Lpost_getpc3817)>>32
	s_setpc_b64 s[14:15]
.LBB1_7644:
	v_mov_b32_e32 v13, 0
	v_cmp_ne_u16_sdwa s[8:9], v18, v13 src0_sel:BYTE_3 src1_sel:DWORD
	s_andn2_b64 s[4:5], s[4:5], exec
	s_and_b64 s[8:9], s[8:9], exec
	s_or_b64 s[4:5], s[4:5], s[8:9]
	s_or_b64 exec, exec, s[6:7]
	s_and_saveexec_b64 s[6:7], s[4:5]
	s_cbranch_execz .LBB1_9965
; %bb.15829:
	s_getpc_b64 s[14:15]
.Lpost_getpc3818:
	s_add_u32 s14, s14, (.LBB1_3547-.Lpost_getpc3818)&4294967295
	s_addc_u32 s15, s15, (.LBB1_3547-.Lpost_getpc3818)>>32
	s_setpc_b64 s[14:15]
.LBB1_9965:
	s_getpc_b64 s[14:15]
.Lpost_getpc886:
	s_add_u32 s14, s14, (.LBB1_3548-.Lpost_getpc886)&4294967295
	s_addc_u32 s15, s15, (.LBB1_3548-.Lpost_getpc886)>>32
	s_setpc_b64 s[14:15]
.LBB1_7645:
	s_movk_i32 s4, 0x80
	v_cmp_eq_u16_sdwa s[12:13], v12, s4 src0_sel:BYTE_3 src1_sel:DWORD
	s_mov_b64 s[4:5], -1
                                        ; implicit-def: $sgpr10
	s_and_saveexec_b64 s[8:9], s[12:13]
; %bb.7646:
	s_mov_b32 s10, 0x7f800001
	s_xor_b64 s[4:5], exec, -1
; %bb.7647:
	s_or_b64 exec, exec, s[8:9]
	s_and_b64 s[4:5], s[4:5], exec
	s_or_saveexec_b64 s[6:7], s[6:7]
	v_mov_b32_e32 v14, s10
	s_xor_b64 exec, exec, s[6:7]
	s_cbranch_execnz .LBB1_7648
; %bb.15831:
	s_getpc_b64 s[14:15]
.Lpost_getpc3819:
	s_add_u32 s14, s14, (.LBB1_3550-.Lpost_getpc3819)&4294967295
	s_addc_u32 s15, s15, (.LBB1_3550-.Lpost_getpc3819)>>32
	s_setpc_b64 s[14:15]
.LBB1_7648:
	v_mov_b32_e32 v14, 0
	v_cmp_ne_u16_sdwa s[8:9], v12, v14 src0_sel:BYTE_3 src1_sel:DWORD
	s_andn2_b64 s[4:5], s[4:5], exec
	s_and_b64 s[8:9], s[8:9], exec
	s_or_b64 s[4:5], s[4:5], s[8:9]
	s_or_b64 exec, exec, s[6:7]
	s_and_saveexec_b64 s[6:7], s[4:5]
	s_cbranch_execz .LBB1_9967
; %bb.15833:
	s_getpc_b64 s[14:15]
.Lpost_getpc3820:
	s_add_u32 s14, s14, (.LBB1_3551-.Lpost_getpc3820)&4294967295
	s_addc_u32 s15, s15, (.LBB1_3551-.Lpost_getpc3820)>>32
	s_setpc_b64 s[14:15]
.LBB1_9967:
	s_getpc_b64 s[14:15]
.Lpost_getpc887:
	s_add_u32 s14, s14, (.LBB1_3552-.Lpost_getpc887)&4294967295
	s_addc_u32 s15, s15, (.LBB1_3552-.Lpost_getpc887)>>32
	s_setpc_b64 s[14:15]
.LBB1_7649:
	s_movk_i32 s4, 0x80
	v_cmp_eq_u16_sdwa s[12:13], v19, s4 src0_sel:BYTE_0 src1_sel:DWORD
	s_mov_b64 s[4:5], -1
                                        ; implicit-def: $sgpr10
	s_and_saveexec_b64 s[8:9], s[12:13]
; %bb.7650:
	s_mov_b32 s10, 0x7f800001
	s_xor_b64 s[4:5], exec, -1
; %bb.7651:
	s_or_b64 exec, exec, s[8:9]
	s_and_b64 s[4:5], s[4:5], exec
	s_or_saveexec_b64 s[6:7], s[6:7]
	v_mov_b32_e32 v12, s10
	s_xor_b64 exec, exec, s[6:7]
	s_cbranch_execnz .LBB1_7652
; %bb.15835:
	s_getpc_b64 s[14:15]
.Lpost_getpc3821:
	s_add_u32 s14, s14, (.LBB1_3554-.Lpost_getpc3821)&4294967295
	s_addc_u32 s15, s15, (.LBB1_3554-.Lpost_getpc3821)>>32
	s_setpc_b64 s[14:15]
.LBB1_7652:
	v_mov_b32_e32 v12, 0
	v_cmp_ne_u16_sdwa s[8:9], v19, v12 src0_sel:BYTE_0 src1_sel:DWORD
	s_andn2_b64 s[4:5], s[4:5], exec
	s_and_b64 s[8:9], s[8:9], exec
	s_or_b64 s[4:5], s[4:5], s[8:9]
	s_or_b64 exec, exec, s[6:7]
	s_and_saveexec_b64 s[6:7], s[4:5]
	s_cbranch_execz .LBB1_9969
; %bb.15837:
	s_getpc_b64 s[14:15]
.Lpost_getpc3822:
	s_add_u32 s14, s14, (.LBB1_3555-.Lpost_getpc3822)&4294967295
	s_addc_u32 s15, s15, (.LBB1_3555-.Lpost_getpc3822)>>32
	s_setpc_b64 s[14:15]
.LBB1_9969:
	s_getpc_b64 s[14:15]
.Lpost_getpc888:
	s_add_u32 s14, s14, (.LBB1_3556-.Lpost_getpc888)&4294967295
	s_addc_u32 s15, s15, (.LBB1_3556-.Lpost_getpc888)>>32
	s_setpc_b64 s[14:15]
.LBB1_7653:
	s_movk_i32 s4, 0x80
	v_cmp_eq_u16_sdwa s[12:13], v15, s4 src0_sel:BYTE_0 src1_sel:DWORD
	s_mov_b64 s[4:5], -1
                                        ; implicit-def: $sgpr10
	s_and_saveexec_b64 s[8:9], s[12:13]
; %bb.7654:
	s_mov_b32 s10, 0x7f800001
	s_xor_b64 s[4:5], exec, -1
; %bb.7655:
	s_or_b64 exec, exec, s[8:9]
	s_and_b64 s[4:5], s[4:5], exec
	s_or_saveexec_b64 s[6:7], s[6:7]
	v_mov_b32_e32 v13, s10
	s_xor_b64 exec, exec, s[6:7]
	s_cbranch_execnz .LBB1_7656
; %bb.15839:
	s_getpc_b64 s[14:15]
.Lpost_getpc3823:
	s_add_u32 s14, s14, (.LBB1_3558-.Lpost_getpc3823)&4294967295
	s_addc_u32 s15, s15, (.LBB1_3558-.Lpost_getpc3823)>>32
	s_setpc_b64 s[14:15]
.LBB1_7656:
	v_mov_b32_e32 v13, 0
	v_cmp_ne_u16_sdwa s[8:9], v15, v13 src0_sel:BYTE_0 src1_sel:DWORD
	s_andn2_b64 s[4:5], s[4:5], exec
	s_and_b64 s[8:9], s[8:9], exec
	s_or_b64 s[4:5], s[4:5], s[8:9]
	s_or_b64 exec, exec, s[6:7]
	s_and_saveexec_b64 s[6:7], s[4:5]
	s_cbranch_execz .LBB1_9971
; %bb.15841:
	s_getpc_b64 s[14:15]
.Lpost_getpc3824:
	s_add_u32 s14, s14, (.LBB1_3559-.Lpost_getpc3824)&4294967295
	s_addc_u32 s15, s15, (.LBB1_3559-.Lpost_getpc3824)>>32
	s_setpc_b64 s[14:15]
.LBB1_9971:
	s_getpc_b64 s[14:15]
.Lpost_getpc889:
	s_add_u32 s14, s14, (.LBB1_3560-.Lpost_getpc889)&4294967295
	s_addc_u32 s15, s15, (.LBB1_3560-.Lpost_getpc889)>>32
	s_setpc_b64 s[14:15]
.LBB1_7657:
	s_movk_i32 s4, 0x80
	v_cmp_eq_u16_sdwa s[12:13], v13, s4 src0_sel:BYTE_0 src1_sel:DWORD
	s_mov_b64 s[4:5], -1
                                        ; implicit-def: $sgpr10
	s_and_saveexec_b64 s[8:9], s[12:13]
; %bb.7658:
	s_mov_b32 s10, 0x7f800001
	s_xor_b64 s[4:5], exec, -1
; %bb.7659:
	s_or_b64 exec, exec, s[8:9]
	s_and_b64 s[4:5], s[4:5], exec
	s_or_saveexec_b64 s[6:7], s[6:7]
	v_mov_b32_e32 v12, s10
	s_xor_b64 exec, exec, s[6:7]
	s_cbranch_execnz .LBB1_7660
; %bb.15843:
	s_getpc_b64 s[14:15]
.Lpost_getpc3825:
	s_add_u32 s14, s14, (.LBB1_3562-.Lpost_getpc3825)&4294967295
	s_addc_u32 s15, s15, (.LBB1_3562-.Lpost_getpc3825)>>32
	s_setpc_b64 s[14:15]
.LBB1_7660:
	v_mov_b32_e32 v12, 0
	v_cmp_ne_u16_sdwa s[8:9], v13, v12 src0_sel:BYTE_0 src1_sel:DWORD
	s_andn2_b64 s[4:5], s[4:5], exec
	s_and_b64 s[8:9], s[8:9], exec
	s_or_b64 s[4:5], s[4:5], s[8:9]
	s_or_b64 exec, exec, s[6:7]
	s_and_saveexec_b64 s[6:7], s[4:5]
	s_cbranch_execz .LBB1_9973
; %bb.15845:
	s_getpc_b64 s[14:15]
.Lpost_getpc3826:
	s_add_u32 s14, s14, (.LBB1_3563-.Lpost_getpc3826)&4294967295
	s_addc_u32 s15, s15, (.LBB1_3563-.Lpost_getpc3826)>>32
	s_setpc_b64 s[14:15]
.LBB1_9973:
	s_getpc_b64 s[14:15]
.Lpost_getpc890:
	s_add_u32 s14, s14, (.LBB1_3564-.Lpost_getpc890)&4294967295
	s_addc_u32 s15, s15, (.LBB1_3564-.Lpost_getpc890)>>32
	s_setpc_b64 s[14:15]
.LBB1_7661:
	s_movk_i32 s4, 0x80
	v_cmp_eq_u16_sdwa s[12:13], v13, s4 src0_sel:BYTE_0 src1_sel:DWORD
	s_mov_b64 s[4:5], -1
                                        ; implicit-def: $sgpr10
	s_and_saveexec_b64 s[8:9], s[12:13]
; %bb.7662:
	s_mov_b32 s10, 0x7f800001
	s_xor_b64 s[4:5], exec, -1
; %bb.7663:
	s_or_b64 exec, exec, s[8:9]
	s_and_b64 s[4:5], s[4:5], exec
	s_or_saveexec_b64 s[6:7], s[6:7]
	v_mov_b32_e32 v14, s10
	s_xor_b64 exec, exec, s[6:7]
	s_cbranch_execnz .LBB1_7664
; %bb.15847:
	s_getpc_b64 s[14:15]
.Lpost_getpc3827:
	s_add_u32 s14, s14, (.LBB1_3566-.Lpost_getpc3827)&4294967295
	s_addc_u32 s15, s15, (.LBB1_3566-.Lpost_getpc3827)>>32
	s_setpc_b64 s[14:15]
.LBB1_7664:
	v_mov_b32_e32 v14, 0
	v_cmp_ne_u16_sdwa s[8:9], v13, v14 src0_sel:BYTE_0 src1_sel:DWORD
	s_andn2_b64 s[4:5], s[4:5], exec
	s_and_b64 s[8:9], s[8:9], exec
	s_or_b64 s[4:5], s[4:5], s[8:9]
	s_or_b64 exec, exec, s[6:7]
	s_and_saveexec_b64 s[6:7], s[4:5]
	s_cbranch_execz .LBB1_9975
; %bb.15849:
	s_getpc_b64 s[14:15]
.Lpost_getpc3828:
	s_add_u32 s14, s14, (.LBB1_3567-.Lpost_getpc3828)&4294967295
	s_addc_u32 s15, s15, (.LBB1_3567-.Lpost_getpc3828)>>32
	s_setpc_b64 s[14:15]
.LBB1_9975:
	s_getpc_b64 s[14:15]
.Lpost_getpc891:
	s_add_u32 s14, s14, (.LBB1_3568-.Lpost_getpc891)&4294967295
	s_addc_u32 s15, s15, (.LBB1_3568-.Lpost_getpc891)>>32
	s_setpc_b64 s[14:15]
.LBB1_7665:
	s_movk_i32 s4, 0x80
	v_cmp_eq_u16_e32 vcc, s4, v13
	s_mov_b64 s[4:5], -1
                                        ; implicit-def: $sgpr10
	s_and_saveexec_b64 s[8:9], vcc
; %bb.7666:
	s_mov_b32 s10, 0x7f800001
	s_xor_b64 s[4:5], exec, -1
; %bb.7667:
	s_or_b64 exec, exec, s[8:9]
	s_and_b64 s[4:5], s[4:5], exec
                                        ; implicit-def: $vgpr13
	s_or_saveexec_b64 s[6:7], s[6:7]
	v_mov_b32_e32 v12, s10
	s_xor_b64 exec, exec, s[6:7]
	s_cbranch_execnz .LBB1_7668
; %bb.15851:
	s_getpc_b64 s[14:15]
.Lpost_getpc3829:
	s_add_u32 s14, s14, (.LBB1_3570-.Lpost_getpc3829)&4294967295
	s_addc_u32 s15, s15, (.LBB1_3570-.Lpost_getpc3829)>>32
	s_setpc_b64 s[14:15]
.LBB1_7668:
	v_cmp_ne_u16_e32 vcc, 0, v13
	s_andn2_b64 s[4:5], s[4:5], exec
	s_and_b64 s[8:9], vcc, exec
	v_mov_b32_e32 v12, 0
	s_or_b64 s[4:5], s[4:5], s[8:9]
	s_or_b64 exec, exec, s[6:7]
	s_and_saveexec_b64 s[6:7], s[4:5]
	s_cbranch_execz .LBB1_9977
; %bb.15853:
	s_getpc_b64 s[14:15]
.Lpost_getpc3830:
	s_add_u32 s14, s14, (.LBB1_3571-.Lpost_getpc3830)&4294967295
	s_addc_u32 s15, s15, (.LBB1_3571-.Lpost_getpc3830)>>32
	s_setpc_b64 s[14:15]
.LBB1_9977:
	s_getpc_b64 s[14:15]
.Lpost_getpc892:
	s_add_u32 s14, s14, (.LBB1_3572-.Lpost_getpc892)&4294967295
	s_addc_u32 s15, s15, (.LBB1_3572-.Lpost_getpc892)>>32
	s_setpc_b64 s[14:15]
.LBB1_7669:
	s_movk_i32 s4, 0x80
	v_cmp_eq_u16_e32 vcc, s4, v13
	s_mov_b64 s[4:5], -1
                                        ; implicit-def: $sgpr10
	s_and_saveexec_b64 s[8:9], vcc
; %bb.7670:
	s_mov_b32 s10, 0x7f800001
	s_xor_b64 s[4:5], exec, -1
; %bb.7671:
	s_or_b64 exec, exec, s[8:9]
	s_and_b64 s[4:5], s[4:5], exec
                                        ; implicit-def: $vgpr13
	s_or_saveexec_b64 s[6:7], s[6:7]
	v_mov_b32_e32 v14, s10
	s_xor_b64 exec, exec, s[6:7]
	s_cbranch_execnz .LBB1_7672
; %bb.15855:
	s_getpc_b64 s[14:15]
.Lpost_getpc3831:
	s_add_u32 s14, s14, (.LBB1_3574-.Lpost_getpc3831)&4294967295
	s_addc_u32 s15, s15, (.LBB1_3574-.Lpost_getpc3831)>>32
	s_setpc_b64 s[14:15]
.LBB1_7672:
	v_cmp_ne_u16_e32 vcc, 0, v13
	s_andn2_b64 s[4:5], s[4:5], exec
	s_and_b64 s[8:9], vcc, exec
	v_mov_b32_e32 v14, 0
	s_or_b64 s[4:5], s[4:5], s[8:9]
	s_or_b64 exec, exec, s[6:7]
	s_and_saveexec_b64 s[6:7], s[4:5]
	s_cbranch_execz .LBB1_9979
; %bb.15857:
	s_getpc_b64 s[14:15]
.Lpost_getpc3832:
	s_add_u32 s14, s14, (.LBB1_3575-.Lpost_getpc3832)&4294967295
	s_addc_u32 s15, s15, (.LBB1_3575-.Lpost_getpc3832)>>32
	s_setpc_b64 s[14:15]
.LBB1_9979:
	s_getpc_b64 s[14:15]
.Lpost_getpc893:
	s_add_u32 s14, s14, (.LBB1_3576-.Lpost_getpc893)&4294967295
	s_addc_u32 s15, s15, (.LBB1_3576-.Lpost_getpc893)>>32
	s_setpc_b64 s[14:15]
.LBB1_7673:
	s_movk_i32 s4, 0x80
	v_cmp_eq_u16_sdwa s[12:13], v19, s4 src0_sel:BYTE_3 src1_sel:DWORD
	s_mov_b64 s[4:5], -1
                                        ; implicit-def: $sgpr10
	s_and_saveexec_b64 s[8:9], s[12:13]
; %bb.7674:
	s_mov_b32 s10, 0x7f800001
	s_xor_b64 s[4:5], exec, -1
; %bb.7675:
	s_or_b64 exec, exec, s[8:9]
	s_and_b64 s[4:5], s[4:5], exec
	s_or_saveexec_b64 s[6:7], s[6:7]
	v_mov_b32_e32 v12, s10
	s_xor_b64 exec, exec, s[6:7]
	s_cbranch_execnz .LBB1_7676
; %bb.15859:
	s_getpc_b64 s[14:15]
.Lpost_getpc3833:
	s_add_u32 s14, s14, (.LBB1_3578-.Lpost_getpc3833)&4294967295
	s_addc_u32 s15, s15, (.LBB1_3578-.Lpost_getpc3833)>>32
	s_setpc_b64 s[14:15]
.LBB1_7676:
	v_mov_b32_e32 v12, 0
	v_cmp_ne_u16_sdwa s[8:9], v19, v12 src0_sel:BYTE_3 src1_sel:DWORD
	s_andn2_b64 s[4:5], s[4:5], exec
	s_and_b64 s[8:9], s[8:9], exec
	s_or_b64 s[4:5], s[4:5], s[8:9]
	s_or_b64 exec, exec, s[6:7]
	s_and_saveexec_b64 s[6:7], s[4:5]
	s_cbranch_execz .LBB1_9981
; %bb.15861:
	s_getpc_b64 s[14:15]
.Lpost_getpc3834:
	s_add_u32 s14, s14, (.LBB1_3579-.Lpost_getpc3834)&4294967295
	s_addc_u32 s15, s15, (.LBB1_3579-.Lpost_getpc3834)>>32
	s_setpc_b64 s[14:15]
.LBB1_9981:
	s_getpc_b64 s[14:15]
.Lpost_getpc894:
	s_add_u32 s14, s14, (.LBB1_3580-.Lpost_getpc894)&4294967295
	s_addc_u32 s15, s15, (.LBB1_3580-.Lpost_getpc894)>>32
	s_setpc_b64 s[14:15]
.LBB1_7677:
	s_movk_i32 s4, 0x80
	v_cmp_eq_u16_sdwa s[12:13], v15, s4 src0_sel:BYTE_3 src1_sel:DWORD
	s_mov_b64 s[4:5], -1
                                        ; implicit-def: $sgpr10
	s_and_saveexec_b64 s[8:9], s[12:13]
; %bb.7678:
	s_mov_b32 s10, 0x7f800001
	s_xor_b64 s[4:5], exec, -1
; %bb.7679:
	s_or_b64 exec, exec, s[8:9]
	s_and_b64 s[4:5], s[4:5], exec
	s_or_saveexec_b64 s[6:7], s[6:7]
	v_mov_b32_e32 v13, s10
	s_xor_b64 exec, exec, s[6:7]
	s_cbranch_execnz .LBB1_7680
; %bb.15863:
	s_getpc_b64 s[14:15]
.Lpost_getpc3835:
	s_add_u32 s14, s14, (.LBB1_3582-.Lpost_getpc3835)&4294967295
	s_addc_u32 s15, s15, (.LBB1_3582-.Lpost_getpc3835)>>32
	s_setpc_b64 s[14:15]
.LBB1_7680:
	v_mov_b32_e32 v13, 0
	v_cmp_ne_u16_sdwa s[8:9], v15, v13 src0_sel:BYTE_3 src1_sel:DWORD
	s_andn2_b64 s[4:5], s[4:5], exec
	s_and_b64 s[8:9], s[8:9], exec
	s_or_b64 s[4:5], s[4:5], s[8:9]
	s_or_b64 exec, exec, s[6:7]
	s_and_saveexec_b64 s[6:7], s[4:5]
	s_cbranch_execz .LBB1_9983
; %bb.15865:
	s_getpc_b64 s[14:15]
.Lpost_getpc3836:
	s_add_u32 s14, s14, (.LBB1_3583-.Lpost_getpc3836)&4294967295
	s_addc_u32 s15, s15, (.LBB1_3583-.Lpost_getpc3836)>>32
	s_setpc_b64 s[14:15]
.LBB1_9983:
	s_getpc_b64 s[14:15]
.Lpost_getpc895:
	s_add_u32 s14, s14, (.LBB1_3584-.Lpost_getpc895)&4294967295
	s_addc_u32 s15, s15, (.LBB1_3584-.Lpost_getpc895)>>32
	s_setpc_b64 s[14:15]
.LBB1_7681:
	s_movk_i32 s4, 0x80
	v_cmp_eq_u16_sdwa s[12:13], v16, s4 src0_sel:BYTE_0 src1_sel:DWORD
	s_mov_b64 s[4:5], -1
                                        ; implicit-def: $sgpr10
	s_and_saveexec_b64 s[8:9], s[12:13]
; %bb.7682:
	s_mov_b32 s10, 0x7f800001
	s_xor_b64 s[4:5], exec, -1
; %bb.7683:
	s_or_b64 exec, exec, s[8:9]
	s_and_b64 s[4:5], s[4:5], exec
	s_or_saveexec_b64 s[6:7], s[6:7]
	v_mov_b32_e32 v3, s10
	s_xor_b64 exec, exec, s[6:7]
	s_cbranch_execnz .LBB1_7684
; %bb.15867:
	s_getpc_b64 s[14:15]
.Lpost_getpc3837:
	s_add_u32 s14, s14, (.LBB1_3586-.Lpost_getpc3837)&4294967295
	s_addc_u32 s15, s15, (.LBB1_3586-.Lpost_getpc3837)>>32
	s_setpc_b64 s[14:15]
.LBB1_7684:
	v_mov_b32_e32 v3, 0
	v_cmp_ne_u16_sdwa s[8:9], v16, v3 src0_sel:BYTE_0 src1_sel:DWORD
	s_andn2_b64 s[4:5], s[4:5], exec
	s_and_b64 s[8:9], s[8:9], exec
	s_or_b64 s[4:5], s[4:5], s[8:9]
	s_or_b64 exec, exec, s[6:7]
	s_and_saveexec_b64 s[6:7], s[4:5]
	s_cbranch_execz .LBB1_9985
; %bb.15869:
	s_getpc_b64 s[14:15]
.Lpost_getpc3838:
	s_add_u32 s14, s14, (.LBB1_3587-.Lpost_getpc3838)&4294967295
	s_addc_u32 s15, s15, (.LBB1_3587-.Lpost_getpc3838)>>32
	s_setpc_b64 s[14:15]
.LBB1_9985:
	s_getpc_b64 s[14:15]
.Lpost_getpc896:
	s_add_u32 s14, s14, (.LBB1_3588-.Lpost_getpc896)&4294967295
	s_addc_u32 s15, s15, (.LBB1_3588-.Lpost_getpc896)>>32
	s_setpc_b64 s[14:15]
.LBB1_7685:
	s_movk_i32 s4, 0x80
	v_cmp_eq_u16_sdwa s[12:13], v12, s4 src0_sel:BYTE_0 src1_sel:DWORD
	s_mov_b64 s[4:5], -1
                                        ; implicit-def: $sgpr10
	s_and_saveexec_b64 s[8:9], s[12:13]
; %bb.7686:
	s_mov_b32 s10, 0x7f800001
	s_xor_b64 s[4:5], exec, -1
; %bb.7687:
	s_or_b64 exec, exec, s[8:9]
	s_and_b64 s[4:5], s[4:5], exec
	s_or_saveexec_b64 s[6:7], s[6:7]
	v_mov_b32_e32 v20, s10
	s_xor_b64 exec, exec, s[6:7]
	s_cbranch_execnz .LBB1_7688
; %bb.15871:
	s_getpc_b64 s[14:15]
.Lpost_getpc3839:
	s_add_u32 s14, s14, (.LBB1_3590-.Lpost_getpc3839)&4294967295
	s_addc_u32 s15, s15, (.LBB1_3590-.Lpost_getpc3839)>>32
	s_setpc_b64 s[14:15]
.LBB1_7688:
	v_mov_b32_e32 v20, 0
	v_cmp_ne_u16_sdwa s[8:9], v12, v20 src0_sel:BYTE_0 src1_sel:DWORD
	s_andn2_b64 s[4:5], s[4:5], exec
	s_and_b64 s[8:9], s[8:9], exec
	s_or_b64 s[4:5], s[4:5], s[8:9]
	s_or_b64 exec, exec, s[6:7]
	s_and_saveexec_b64 s[6:7], s[4:5]
	s_cbranch_execz .LBB1_9987
; %bb.15873:
	s_getpc_b64 s[14:15]
.Lpost_getpc3840:
	s_add_u32 s14, s14, (.LBB1_3591-.Lpost_getpc3840)&4294967295
	s_addc_u32 s15, s15, (.LBB1_3591-.Lpost_getpc3840)>>32
	s_setpc_b64 s[14:15]
.LBB1_9987:
	s_getpc_b64 s[14:15]
.Lpost_getpc897:
	s_add_u32 s14, s14, (.LBB1_3592-.Lpost_getpc897)&4294967295
	s_addc_u32 s15, s15, (.LBB1_3592-.Lpost_getpc897)>>32
	s_setpc_b64 s[14:15]
.LBB1_7689:
	s_movk_i32 s4, 0x80
	v_cmp_eq_u16_sdwa s[12:13], v20, s4 src0_sel:BYTE_0 src1_sel:DWORD
	s_mov_b64 s[4:5], -1
                                        ; implicit-def: $sgpr10
	s_and_saveexec_b64 s[8:9], s[12:13]
; %bb.7690:
	s_mov_b32 s10, 0x7f800001
	s_xor_b64 s[4:5], exec, -1
; %bb.7691:
	s_or_b64 exec, exec, s[8:9]
	s_and_b64 s[4:5], s[4:5], exec
	s_or_saveexec_b64 s[6:7], s[6:7]
	v_mov_b32_e32 v3, s10
	s_xor_b64 exec, exec, s[6:7]
	s_cbranch_execnz .LBB1_7692
; %bb.15875:
	s_getpc_b64 s[14:15]
.Lpost_getpc3841:
	s_add_u32 s14, s14, (.LBB1_3594-.Lpost_getpc3841)&4294967295
	s_addc_u32 s15, s15, (.LBB1_3594-.Lpost_getpc3841)>>32
	s_setpc_b64 s[14:15]
.LBB1_7692:
	v_mov_b32_e32 v3, 0
	v_cmp_ne_u16_sdwa s[8:9], v20, v3 src0_sel:BYTE_0 src1_sel:DWORD
	s_andn2_b64 s[4:5], s[4:5], exec
	s_and_b64 s[8:9], s[8:9], exec
	s_or_b64 s[4:5], s[4:5], s[8:9]
	s_or_b64 exec, exec, s[6:7]
	s_and_saveexec_b64 s[6:7], s[4:5]
	s_cbranch_execz .LBB1_9989
; %bb.15877:
	s_getpc_b64 s[14:15]
.Lpost_getpc3842:
	s_add_u32 s14, s14, (.LBB1_3595-.Lpost_getpc3842)&4294967295
	s_addc_u32 s15, s15, (.LBB1_3595-.Lpost_getpc3842)>>32
	s_setpc_b64 s[14:15]
.LBB1_9989:
	s_getpc_b64 s[14:15]
.Lpost_getpc898:
	s_add_u32 s14, s14, (.LBB1_3596-.Lpost_getpc898)&4294967295
	s_addc_u32 s15, s15, (.LBB1_3596-.Lpost_getpc898)>>32
	s_setpc_b64 s[14:15]
.LBB1_7693:
	s_movk_i32 s4, 0x80
	v_cmp_eq_u16_sdwa s[12:13], v20, s4 src0_sel:BYTE_0 src1_sel:DWORD
	s_mov_b64 s[4:5], -1
                                        ; implicit-def: $sgpr10
	s_and_saveexec_b64 s[8:9], s[12:13]
; %bb.7694:
	s_mov_b32 s10, 0x7f800001
	s_xor_b64 s[4:5], exec, -1
; %bb.7695:
	s_or_b64 exec, exec, s[8:9]
	s_and_b64 s[4:5], s[4:5], exec
	s_or_saveexec_b64 s[6:7], s[6:7]
	v_mov_b32_e32 v21, s10
	s_xor_b64 exec, exec, s[6:7]
	s_cbranch_execnz .LBB1_7696
; %bb.15879:
	s_getpc_b64 s[14:15]
.Lpost_getpc3843:
	s_add_u32 s14, s14, (.LBB1_3598-.Lpost_getpc3843)&4294967295
	s_addc_u32 s15, s15, (.LBB1_3598-.Lpost_getpc3843)>>32
	s_setpc_b64 s[14:15]
.LBB1_7696:
	v_mov_b32_e32 v21, 0
	v_cmp_ne_u16_sdwa s[8:9], v20, v21 src0_sel:BYTE_0 src1_sel:DWORD
	s_andn2_b64 s[4:5], s[4:5], exec
	s_and_b64 s[8:9], s[8:9], exec
	s_or_b64 s[4:5], s[4:5], s[8:9]
	s_or_b64 exec, exec, s[6:7]
	s_and_saveexec_b64 s[6:7], s[4:5]
	s_cbranch_execz .LBB1_9991
; %bb.15881:
	s_getpc_b64 s[14:15]
.Lpost_getpc3844:
	s_add_u32 s14, s14, (.LBB1_3599-.Lpost_getpc3844)&4294967295
	s_addc_u32 s15, s15, (.LBB1_3599-.Lpost_getpc3844)>>32
	s_setpc_b64 s[14:15]
.LBB1_9991:
	s_getpc_b64 s[14:15]
.Lpost_getpc899:
	s_add_u32 s14, s14, (.LBB1_3600-.Lpost_getpc899)&4294967295
	s_addc_u32 s15, s15, (.LBB1_3600-.Lpost_getpc899)>>32
	s_setpc_b64 s[14:15]
.LBB1_7697:
	s_movk_i32 s4, 0x80
	v_cmp_eq_u16_e32 vcc, s4, v20
	s_mov_b64 s[4:5], -1
                                        ; implicit-def: $sgpr10
	s_and_saveexec_b64 s[8:9], vcc
; %bb.7698:
	s_mov_b32 s10, 0x7f800001
	s_xor_b64 s[4:5], exec, -1
; %bb.7699:
	s_or_b64 exec, exec, s[8:9]
	s_and_b64 s[4:5], s[4:5], exec
                                        ; implicit-def: $vgpr20
	s_or_saveexec_b64 s[6:7], s[6:7]
	v_mov_b32_e32 v3, s10
	s_xor_b64 exec, exec, s[6:7]
	s_cbranch_execnz .LBB1_7700
; %bb.15883:
	s_getpc_b64 s[14:15]
.Lpost_getpc3845:
	s_add_u32 s14, s14, (.LBB1_3602-.Lpost_getpc3845)&4294967295
	s_addc_u32 s15, s15, (.LBB1_3602-.Lpost_getpc3845)>>32
	s_setpc_b64 s[14:15]
.LBB1_7700:
	v_cmp_ne_u16_e32 vcc, 0, v20
	s_andn2_b64 s[4:5], s[4:5], exec
	s_and_b64 s[8:9], vcc, exec
	v_mov_b32_e32 v3, 0
	s_or_b64 s[4:5], s[4:5], s[8:9]
	s_or_b64 exec, exec, s[6:7]
	s_and_saveexec_b64 s[6:7], s[4:5]
	s_cbranch_execnz .LBB1_15885
; %bb.17447:
	s_getpc_b64 s[14:15]
.Lpost_getpc4627:
	s_add_u32 s14, s14, (.LBB1_3604-.Lpost_getpc4627)&4294967295
	s_addc_u32 s15, s15, (.LBB1_3604-.Lpost_getpc4627)>>32
	s_setpc_b64 s[14:15]
.LBB1_15885:
	s_getpc_b64 s[14:15]
.Lpost_getpc3846:
	s_add_u32 s14, s14, (.LBB1_3603-.Lpost_getpc3846)&4294967295
	s_addc_u32 s15, s15, (.LBB1_3603-.Lpost_getpc3846)>>32
	s_setpc_b64 s[14:15]
.LBB1_7701:
	s_movk_i32 s4, 0x80
	v_cmp_eq_u16_e32 vcc, s4, v20
	s_mov_b64 s[4:5], -1
                                        ; implicit-def: $sgpr10
	s_and_saveexec_b64 s[8:9], vcc
; %bb.7702:
	s_mov_b32 s10, 0x7f800001
	s_xor_b64 s[4:5], exec, -1
; %bb.7703:
	s_or_b64 exec, exec, s[8:9]
	s_and_b64 s[4:5], s[4:5], exec
                                        ; implicit-def: $vgpr20
	s_or_saveexec_b64 s[6:7], s[6:7]
	v_mov_b32_e32 v21, s10
	s_xor_b64 exec, exec, s[6:7]
	s_cbranch_execnz .LBB1_7704
; %bb.17449:
	s_getpc_b64 s[14:15]
.Lpost_getpc4628:
	s_add_u32 s14, s14, (.LBB1_3606-.Lpost_getpc4628)&4294967295
	s_addc_u32 s15, s15, (.LBB1_3606-.Lpost_getpc4628)>>32
	s_setpc_b64 s[14:15]
.LBB1_7704:
	v_cmp_ne_u16_e32 vcc, 0, v20
	s_andn2_b64 s[4:5], s[4:5], exec
	s_and_b64 s[8:9], vcc, exec
	v_mov_b32_e32 v21, 0
	s_or_b64 s[4:5], s[4:5], s[8:9]
	s_or_b64 exec, exec, s[6:7]
	s_and_saveexec_b64 s[6:7], s[4:5]
	s_cbranch_execz .LBB1_15887
; %bb.17451:
	s_getpc_b64 s[14:15]
.Lpost_getpc4629:
	s_add_u32 s14, s14, (.LBB1_3607-.Lpost_getpc4629)&4294967295
	s_addc_u32 s15, s15, (.LBB1_3607-.Lpost_getpc4629)>>32
	s_setpc_b64 s[14:15]
.LBB1_15887:
	s_getpc_b64 s[14:15]
.Lpost_getpc3847:
	s_add_u32 s14, s14, (.LBB1_3608-.Lpost_getpc3847)&4294967295
	s_addc_u32 s15, s15, (.LBB1_3608-.Lpost_getpc3847)>>32
	s_setpc_b64 s[14:15]
.LBB1_7705:
	s_movk_i32 s4, 0x80
	v_cmp_eq_u16_sdwa s[12:13], v16, s4 src0_sel:BYTE_3 src1_sel:DWORD
	s_mov_b64 s[4:5], -1
                                        ; implicit-def: $sgpr10
	s_and_saveexec_b64 s[8:9], s[12:13]
; %bb.7706:
	s_mov_b32 s10, 0x7f800001
	s_xor_b64 s[4:5], exec, -1
; %bb.7707:
	s_or_b64 exec, exec, s[8:9]
	s_and_b64 s[4:5], s[4:5], exec
	s_or_saveexec_b64 s[6:7], s[6:7]
	v_mov_b32_e32 v3, s10
	s_xor_b64 exec, exec, s[6:7]
	s_cbranch_execnz .LBB1_7708
; %bb.17453:
	s_getpc_b64 s[14:15]
.Lpost_getpc4630:
	s_add_u32 s14, s14, (.LBB1_3610-.Lpost_getpc4630)&4294967295
	s_addc_u32 s15, s15, (.LBB1_3610-.Lpost_getpc4630)>>32
	s_setpc_b64 s[14:15]
.LBB1_7708:
	v_mov_b32_e32 v3, 0
	v_cmp_ne_u16_sdwa s[8:9], v16, v3 src0_sel:BYTE_3 src1_sel:DWORD
	s_andn2_b64 s[4:5], s[4:5], exec
	s_and_b64 s[8:9], s[8:9], exec
	s_or_b64 s[4:5], s[4:5], s[8:9]
	s_or_b64 exec, exec, s[6:7]
	s_and_saveexec_b64 s[6:7], s[4:5]
	s_cbranch_execz .LBB1_15889
; %bb.17455:
	s_getpc_b64 s[14:15]
.Lpost_getpc4631:
	s_add_u32 s14, s14, (.LBB1_3611-.Lpost_getpc4631)&4294967295
	s_addc_u32 s15, s15, (.LBB1_3611-.Lpost_getpc4631)>>32
	s_setpc_b64 s[14:15]
.LBB1_15889:
	s_getpc_b64 s[14:15]
.Lpost_getpc3848:
	s_add_u32 s14, s14, (.LBB1_3612-.Lpost_getpc3848)&4294967295
	s_addc_u32 s15, s15, (.LBB1_3612-.Lpost_getpc3848)>>32
	s_setpc_b64 s[14:15]
.LBB1_7709:
	s_movk_i32 s4, 0x80
	v_cmp_eq_u16_sdwa s[12:13], v12, s4 src0_sel:BYTE_3 src1_sel:DWORD
	s_mov_b64 s[4:5], -1
                                        ; implicit-def: $sgpr10
	s_and_saveexec_b64 s[8:9], s[12:13]
; %bb.7710:
	s_mov_b32 s10, 0x7f800001
	s_xor_b64 s[4:5], exec, -1
; %bb.7711:
	s_or_b64 exec, exec, s[8:9]
	s_and_b64 s[4:5], s[4:5], exec
	s_or_saveexec_b64 s[6:7], s[6:7]
	v_mov_b32_e32 v16, s10
	s_xor_b64 exec, exec, s[6:7]
	s_cbranch_execnz .LBB1_7712
; %bb.17457:
	s_getpc_b64 s[14:15]
.Lpost_getpc4632:
	s_add_u32 s14, s14, (.LBB1_3614-.Lpost_getpc4632)&4294967295
	s_addc_u32 s15, s15, (.LBB1_3614-.Lpost_getpc4632)>>32
	s_setpc_b64 s[14:15]
.LBB1_7712:
	v_mov_b32_e32 v16, 0
	v_cmp_ne_u16_sdwa s[8:9], v12, v16 src0_sel:BYTE_3 src1_sel:DWORD
	s_andn2_b64 s[4:5], s[4:5], exec
	s_and_b64 s[8:9], s[8:9], exec
	s_or_b64 s[4:5], s[4:5], s[8:9]
	s_or_b64 exec, exec, s[6:7]
	s_and_saveexec_b64 s[6:7], s[4:5]
	s_cbranch_execz .LBB1_15891
; %bb.17459:
	s_getpc_b64 s[14:15]
.Lpost_getpc4633:
	s_add_u32 s14, s14, (.LBB1_3615-.Lpost_getpc4633)&4294967295
	s_addc_u32 s15, s15, (.LBB1_3615-.Lpost_getpc4633)>>32
	s_setpc_b64 s[14:15]
.LBB1_15891:
	s_getpc_b64 s[14:15]
.Lpost_getpc3849:
	s_add_u32 s14, s14, (.LBB1_3616-.Lpost_getpc3849)&4294967295
	s_addc_u32 s15, s15, (.LBB1_3616-.Lpost_getpc3849)>>32
	s_setpc_b64 s[14:15]
.LBB1_7713:
	s_movk_i32 s4, 0x80
	v_cmp_eq_u16_sdwa s[12:13], v17, s4 src0_sel:BYTE_0 src1_sel:DWORD
	s_mov_b64 s[4:5], -1
                                        ; implicit-def: $sgpr10
	s_and_saveexec_b64 s[8:9], s[12:13]
; %bb.7714:
	s_mov_b32 s10, 0x7f800001
	s_xor_b64 s[4:5], exec, -1
; %bb.7715:
	s_or_b64 exec, exec, s[8:9]
	s_and_b64 s[4:5], s[4:5], exec
	s_or_saveexec_b64 s[6:7], s[6:7]
	v_mov_b32_e32 v3, s10
	s_xor_b64 exec, exec, s[6:7]
	s_cbranch_execnz .LBB1_7716
; %bb.17461:
	s_getpc_b64 s[14:15]
.Lpost_getpc4634:
	s_add_u32 s14, s14, (.LBB1_3618-.Lpost_getpc4634)&4294967295
	s_addc_u32 s15, s15, (.LBB1_3618-.Lpost_getpc4634)>>32
	s_setpc_b64 s[14:15]
.LBB1_7716:
	v_mov_b32_e32 v3, 0
	v_cmp_ne_u16_sdwa s[8:9], v17, v3 src0_sel:BYTE_0 src1_sel:DWORD
	s_andn2_b64 s[4:5], s[4:5], exec
	s_and_b64 s[8:9], s[8:9], exec
	s_or_b64 s[4:5], s[4:5], s[8:9]
	s_or_b64 exec, exec, s[6:7]
	s_and_saveexec_b64 s[6:7], s[4:5]
	s_cbranch_execz .LBB1_15893
; %bb.17463:
	s_getpc_b64 s[14:15]
.Lpost_getpc4635:
	s_add_u32 s14, s14, (.LBB1_3619-.Lpost_getpc4635)&4294967295
	s_addc_u32 s15, s15, (.LBB1_3619-.Lpost_getpc4635)>>32
	s_setpc_b64 s[14:15]
.LBB1_15893:
	s_getpc_b64 s[14:15]
.Lpost_getpc3850:
	s_add_u32 s14, s14, (.LBB1_3620-.Lpost_getpc3850)&4294967295
	s_addc_u32 s15, s15, (.LBB1_3620-.Lpost_getpc3850)>>32
	s_setpc_b64 s[14:15]
.LBB1_7717:
	s_movk_i32 s4, 0x80
	v_cmp_eq_u16_sdwa s[12:13], v13, s4 src0_sel:BYTE_0 src1_sel:DWORD
	s_mov_b64 s[4:5], -1
                                        ; implicit-def: $sgpr10
	s_and_saveexec_b64 s[8:9], s[12:13]
; %bb.7718:
	s_mov_b32 s10, 0x7f800001
	s_xor_b64 s[4:5], exec, -1
; %bb.7719:
	s_or_b64 exec, exec, s[8:9]
	s_and_b64 s[4:5], s[4:5], exec
	s_or_saveexec_b64 s[6:7], s[6:7]
	v_mov_b32_e32 v12, s10
	s_xor_b64 exec, exec, s[6:7]
	s_cbranch_execnz .LBB1_7720
; %bb.17465:
	s_getpc_b64 s[14:15]
.Lpost_getpc4636:
	s_add_u32 s14, s14, (.LBB1_3622-.Lpost_getpc4636)&4294967295
	s_addc_u32 s15, s15, (.LBB1_3622-.Lpost_getpc4636)>>32
	s_setpc_b64 s[14:15]
.LBB1_7720:
	v_mov_b32_e32 v12, 0
	v_cmp_ne_u16_sdwa s[8:9], v13, v12 src0_sel:BYTE_0 src1_sel:DWORD
	s_andn2_b64 s[4:5], s[4:5], exec
	s_and_b64 s[8:9], s[8:9], exec
	s_or_b64 s[4:5], s[4:5], s[8:9]
	s_or_b64 exec, exec, s[6:7]
	s_and_saveexec_b64 s[6:7], s[4:5]
	s_cbranch_execz .LBB1_15895
; %bb.17467:
	s_getpc_b64 s[14:15]
.Lpost_getpc4637:
	s_add_u32 s14, s14, (.LBB1_3623-.Lpost_getpc4637)&4294967295
	s_addc_u32 s15, s15, (.LBB1_3623-.Lpost_getpc4637)>>32
	s_setpc_b64 s[14:15]
.LBB1_15895:
	s_getpc_b64 s[14:15]
.Lpost_getpc3851:
	s_add_u32 s14, s14, (.LBB1_3624-.Lpost_getpc3851)&4294967295
	s_addc_u32 s15, s15, (.LBB1_3624-.Lpost_getpc3851)>>32
	s_setpc_b64 s[14:15]
.LBB1_7721:
	s_movk_i32 s4, 0x80
	v_cmp_eq_u16_sdwa s[12:13], v12, s4 src0_sel:BYTE_0 src1_sel:DWORD
	s_mov_b64 s[4:5], -1
                                        ; implicit-def: $sgpr10
	s_and_saveexec_b64 s[8:9], s[12:13]
; %bb.7722:
	s_mov_b32 s10, 0x7f800001
	s_xor_b64 s[4:5], exec, -1
; %bb.7723:
	s_or_b64 exec, exec, s[8:9]
	s_and_b64 s[4:5], s[4:5], exec
	s_or_saveexec_b64 s[6:7], s[6:7]
	v_mov_b32_e32 v3, s10
	s_xor_b64 exec, exec, s[6:7]
	s_cbranch_execnz .LBB1_7724
; %bb.17469:
	s_getpc_b64 s[14:15]
.Lpost_getpc4638:
	s_add_u32 s14, s14, (.LBB1_3626-.Lpost_getpc4638)&4294967295
	s_addc_u32 s15, s15, (.LBB1_3626-.Lpost_getpc4638)>>32
	s_setpc_b64 s[14:15]
.LBB1_7724:
	v_mov_b32_e32 v3, 0
	v_cmp_ne_u16_sdwa s[8:9], v12, v3 src0_sel:BYTE_0 src1_sel:DWORD
	s_andn2_b64 s[4:5], s[4:5], exec
	s_and_b64 s[8:9], s[8:9], exec
	s_or_b64 s[4:5], s[4:5], s[8:9]
	s_or_b64 exec, exec, s[6:7]
	s_and_saveexec_b64 s[6:7], s[4:5]
	s_cbranch_execz .LBB1_15897
; %bb.17471:
	s_getpc_b64 s[14:15]
.Lpost_getpc4639:
	s_add_u32 s14, s14, (.LBB1_3627-.Lpost_getpc4639)&4294967295
	s_addc_u32 s15, s15, (.LBB1_3627-.Lpost_getpc4639)>>32
	s_setpc_b64 s[14:15]
.LBB1_15897:
	s_getpc_b64 s[14:15]
.Lpost_getpc3852:
	s_add_u32 s14, s14, (.LBB1_3628-.Lpost_getpc3852)&4294967295
	s_addc_u32 s15, s15, (.LBB1_3628-.Lpost_getpc3852)>>32
	s_setpc_b64 s[14:15]
.LBB1_7725:
	s_movk_i32 s4, 0x80
	v_cmp_eq_u16_sdwa s[12:13], v12, s4 src0_sel:BYTE_0 src1_sel:DWORD
	s_mov_b64 s[4:5], -1
                                        ; implicit-def: $sgpr10
	s_and_saveexec_b64 s[8:9], s[12:13]
; %bb.7726:
	s_mov_b32 s10, 0x7f800001
	s_xor_b64 s[4:5], exec, -1
; %bb.7727:
	s_or_b64 exec, exec, s[8:9]
	s_and_b64 s[4:5], s[4:5], exec
	s_or_saveexec_b64 s[6:7], s[6:7]
	v_mov_b32_e32 v16, s10
	s_xor_b64 exec, exec, s[6:7]
	s_cbranch_execnz .LBB1_7728
; %bb.17473:
	s_getpc_b64 s[14:15]
.Lpost_getpc4640:
	s_add_u32 s14, s14, (.LBB1_3630-.Lpost_getpc4640)&4294967295
	s_addc_u32 s15, s15, (.LBB1_3630-.Lpost_getpc4640)>>32
	s_setpc_b64 s[14:15]
.LBB1_7728:
	v_mov_b32_e32 v16, 0
	v_cmp_ne_u16_sdwa s[8:9], v12, v16 src0_sel:BYTE_0 src1_sel:DWORD
	s_andn2_b64 s[4:5], s[4:5], exec
	s_and_b64 s[8:9], s[8:9], exec
	s_or_b64 s[4:5], s[4:5], s[8:9]
	s_or_b64 exec, exec, s[6:7]
	s_and_saveexec_b64 s[6:7], s[4:5]
	s_cbranch_execz .LBB1_15899
; %bb.17475:
	s_getpc_b64 s[14:15]
.Lpost_getpc4641:
	s_add_u32 s14, s14, (.LBB1_3631-.Lpost_getpc4641)&4294967295
	s_addc_u32 s15, s15, (.LBB1_3631-.Lpost_getpc4641)>>32
	s_setpc_b64 s[14:15]
.LBB1_15899:
	s_getpc_b64 s[14:15]
.Lpost_getpc3853:
	s_add_u32 s14, s14, (.LBB1_3632-.Lpost_getpc3853)&4294967295
	s_addc_u32 s15, s15, (.LBB1_3632-.Lpost_getpc3853)>>32
	s_setpc_b64 s[14:15]
.LBB1_7729:
	s_movk_i32 s4, 0x80
	v_cmp_eq_u16_e32 vcc, s4, v12
	s_mov_b64 s[4:5], -1
                                        ; implicit-def: $sgpr10
	s_and_saveexec_b64 s[8:9], vcc
; %bb.7730:
	s_mov_b32 s10, 0x7f800001
	s_xor_b64 s[4:5], exec, -1
; %bb.7731:
	s_or_b64 exec, exec, s[8:9]
	s_and_b64 s[4:5], s[4:5], exec
                                        ; implicit-def: $vgpr12
	s_or_saveexec_b64 s[6:7], s[6:7]
	v_mov_b32_e32 v3, s10
	s_xor_b64 exec, exec, s[6:7]
	s_cbranch_execnz .LBB1_7732
; %bb.17477:
	s_getpc_b64 s[14:15]
.Lpost_getpc4642:
	s_add_u32 s14, s14, (.LBB1_3634-.Lpost_getpc4642)&4294967295
	s_addc_u32 s15, s15, (.LBB1_3634-.Lpost_getpc4642)>>32
	s_setpc_b64 s[14:15]
.LBB1_7732:
	v_cmp_ne_u16_e32 vcc, 0, v12
	s_andn2_b64 s[4:5], s[4:5], exec
	s_and_b64 s[8:9], vcc, exec
	v_mov_b32_e32 v3, 0
	s_or_b64 s[4:5], s[4:5], s[8:9]
	s_or_b64 exec, exec, s[6:7]
	s_and_saveexec_b64 s[6:7], s[4:5]
	s_cbranch_execz .LBB1_15901
; %bb.17479:
	s_getpc_b64 s[14:15]
.Lpost_getpc4643:
	s_add_u32 s14, s14, (.LBB1_3635-.Lpost_getpc4643)&4294967295
	s_addc_u32 s15, s15, (.LBB1_3635-.Lpost_getpc4643)>>32
	s_setpc_b64 s[14:15]
.LBB1_15901:
	s_getpc_b64 s[14:15]
.Lpost_getpc3854:
	s_add_u32 s14, s14, (.LBB1_3636-.Lpost_getpc3854)&4294967295
	s_addc_u32 s15, s15, (.LBB1_3636-.Lpost_getpc3854)>>32
	s_setpc_b64 s[14:15]
.LBB1_7733:
	s_movk_i32 s4, 0x80
	v_cmp_eq_u16_e32 vcc, s4, v12
	s_mov_b64 s[4:5], -1
                                        ; implicit-def: $sgpr10
	s_and_saveexec_b64 s[8:9], vcc
; %bb.7734:
	s_mov_b32 s10, 0x7f800001
	s_xor_b64 s[4:5], exec, -1
; %bb.7735:
	s_or_b64 exec, exec, s[8:9]
	s_and_b64 s[4:5], s[4:5], exec
                                        ; implicit-def: $vgpr12
	s_or_saveexec_b64 s[6:7], s[6:7]
	v_mov_b32_e32 v16, s10
	s_xor_b64 exec, exec, s[6:7]
	s_cbranch_execnz .LBB1_7736
; %bb.17481:
	s_getpc_b64 s[14:15]
.Lpost_getpc4644:
	s_add_u32 s14, s14, (.LBB1_3638-.Lpost_getpc4644)&4294967295
	s_addc_u32 s15, s15, (.LBB1_3638-.Lpost_getpc4644)>>32
	s_setpc_b64 s[14:15]
.LBB1_7736:
	v_cmp_ne_u16_e32 vcc, 0, v12
	s_andn2_b64 s[4:5], s[4:5], exec
	s_and_b64 s[8:9], vcc, exec
	v_mov_b32_e32 v16, 0
	s_or_b64 s[4:5], s[4:5], s[8:9]
	s_or_b64 exec, exec, s[6:7]
	s_and_saveexec_b64 s[6:7], s[4:5]
	s_cbranch_execz .LBB1_15903
; %bb.17483:
	s_getpc_b64 s[14:15]
.Lpost_getpc4645:
	s_add_u32 s14, s14, (.LBB1_3639-.Lpost_getpc4645)&4294967295
	s_addc_u32 s15, s15, (.LBB1_3639-.Lpost_getpc4645)>>32
	s_setpc_b64 s[14:15]
.LBB1_15903:
	s_getpc_b64 s[14:15]
.Lpost_getpc3855:
	s_add_u32 s14, s14, (.LBB1_3640-.Lpost_getpc3855)&4294967295
	s_addc_u32 s15, s15, (.LBB1_3640-.Lpost_getpc3855)>>32
	s_setpc_b64 s[14:15]
.LBB1_7737:
	s_movk_i32 s4, 0x80
	v_cmp_eq_u16_sdwa s[12:13], v17, s4 src0_sel:BYTE_3 src1_sel:DWORD
	s_mov_b64 s[4:5], -1
                                        ; implicit-def: $sgpr10
	s_and_saveexec_b64 s[8:9], s[12:13]
; %bb.7738:
	s_mov_b32 s10, 0x7f800001
	s_xor_b64 s[4:5], exec, -1
; %bb.7739:
	s_or_b64 exec, exec, s[8:9]
	s_and_b64 s[4:5], s[4:5], exec
	s_or_saveexec_b64 s[6:7], s[6:7]
	v_mov_b32_e32 v3, s10
	s_xor_b64 exec, exec, s[6:7]
	s_cbranch_execnz .LBB1_7740
; %bb.17485:
	s_getpc_b64 s[14:15]
.Lpost_getpc4646:
	s_add_u32 s14, s14, (.LBB1_3642-.Lpost_getpc4646)&4294967295
	s_addc_u32 s15, s15, (.LBB1_3642-.Lpost_getpc4646)>>32
	s_setpc_b64 s[14:15]
.LBB1_7740:
	v_mov_b32_e32 v3, 0
	v_cmp_ne_u16_sdwa s[8:9], v17, v3 src0_sel:BYTE_3 src1_sel:DWORD
	s_andn2_b64 s[4:5], s[4:5], exec
	s_and_b64 s[8:9], s[8:9], exec
	s_or_b64 s[4:5], s[4:5], s[8:9]
	s_or_b64 exec, exec, s[6:7]
	s_and_saveexec_b64 s[6:7], s[4:5]
	s_cbranch_execz .LBB1_15905
; %bb.17487:
	s_getpc_b64 s[14:15]
.Lpost_getpc4647:
	s_add_u32 s14, s14, (.LBB1_3643-.Lpost_getpc4647)&4294967295
	s_addc_u32 s15, s15, (.LBB1_3643-.Lpost_getpc4647)>>32
	s_setpc_b64 s[14:15]
.LBB1_15905:
	s_getpc_b64 s[14:15]
.Lpost_getpc3856:
	s_add_u32 s14, s14, (.LBB1_3644-.Lpost_getpc3856)&4294967295
	s_addc_u32 s15, s15, (.LBB1_3644-.Lpost_getpc3856)>>32
	s_setpc_b64 s[14:15]
.LBB1_7741:
	s_movk_i32 s4, 0x80
	v_cmp_eq_u16_sdwa s[12:13], v13, s4 src0_sel:BYTE_3 src1_sel:DWORD
	s_mov_b64 s[4:5], -1
                                        ; implicit-def: $sgpr10
	s_and_saveexec_b64 s[8:9], s[12:13]
; %bb.7742:
	s_mov_b32 s10, 0x7f800001
	s_xor_b64 s[4:5], exec, -1
; %bb.7743:
	s_or_b64 exec, exec, s[8:9]
	s_and_b64 s[4:5], s[4:5], exec
	s_or_saveexec_b64 s[6:7], s[6:7]
	v_mov_b32_e32 v12, s10
	s_xor_b64 exec, exec, s[6:7]
	s_cbranch_execnz .LBB1_7744
; %bb.17489:
	s_getpc_b64 s[14:15]
.Lpost_getpc4648:
	s_add_u32 s14, s14, (.LBB1_3646-.Lpost_getpc4648)&4294967295
	s_addc_u32 s15, s15, (.LBB1_3646-.Lpost_getpc4648)>>32
	s_setpc_b64 s[14:15]
.LBB1_7744:
	v_mov_b32_e32 v12, 0
	v_cmp_ne_u16_sdwa s[8:9], v13, v12 src0_sel:BYTE_3 src1_sel:DWORD
	s_andn2_b64 s[4:5], s[4:5], exec
	s_and_b64 s[8:9], s[8:9], exec
	s_or_b64 s[4:5], s[4:5], s[8:9]
	s_or_b64 exec, exec, s[6:7]
	s_and_saveexec_b64 s[6:7], s[4:5]
	s_cbranch_execz .LBB1_15907
; %bb.17491:
	s_getpc_b64 s[14:15]
.Lpost_getpc4649:
	s_add_u32 s14, s14, (.LBB1_3647-.Lpost_getpc4649)&4294967295
	s_addc_u32 s15, s15, (.LBB1_3647-.Lpost_getpc4649)>>32
	s_setpc_b64 s[14:15]
.LBB1_15907:
	s_getpc_b64 s[14:15]
.Lpost_getpc3857:
	s_add_u32 s14, s14, (.LBB1_3648-.Lpost_getpc3857)&4294967295
	s_addc_u32 s15, s15, (.LBB1_3648-.Lpost_getpc3857)>>32
	s_setpc_b64 s[14:15]
.LBB1_7745:
	s_movk_i32 s4, 0x80
	v_cmp_eq_u16_sdwa s[12:13], v18, s4 src0_sel:BYTE_0 src1_sel:DWORD
	s_mov_b64 s[4:5], -1
                                        ; implicit-def: $sgpr10
	s_and_saveexec_b64 s[8:9], s[12:13]
; %bb.7746:
	s_mov_b32 s10, 0x7f800001
	s_xor_b64 s[4:5], exec, -1
; %bb.7747:
	s_or_b64 exec, exec, s[8:9]
	s_and_b64 s[4:5], s[4:5], exec
	s_or_saveexec_b64 s[6:7], s[6:7]
	v_mov_b32_e32 v3, s10
	s_xor_b64 exec, exec, s[6:7]
	s_cbranch_execnz .LBB1_7748
; %bb.17493:
	s_getpc_b64 s[14:15]
.Lpost_getpc4650:
	s_add_u32 s14, s14, (.LBB1_3650-.Lpost_getpc4650)&4294967295
	s_addc_u32 s15, s15, (.LBB1_3650-.Lpost_getpc4650)>>32
	s_setpc_b64 s[14:15]
.LBB1_7748:
	v_mov_b32_e32 v3, 0
	v_cmp_ne_u16_sdwa s[8:9], v18, v3 src0_sel:BYTE_0 src1_sel:DWORD
	s_andn2_b64 s[4:5], s[4:5], exec
	s_and_b64 s[8:9], s[8:9], exec
	s_or_b64 s[4:5], s[4:5], s[8:9]
	s_or_b64 exec, exec, s[6:7]
	s_and_saveexec_b64 s[6:7], s[4:5]
	s_cbranch_execz .LBB1_15909
; %bb.17495:
	s_getpc_b64 s[14:15]
.Lpost_getpc4651:
	s_add_u32 s14, s14, (.LBB1_3651-.Lpost_getpc4651)&4294967295
	s_addc_u32 s15, s15, (.LBB1_3651-.Lpost_getpc4651)>>32
	s_setpc_b64 s[14:15]
.LBB1_15909:
	s_getpc_b64 s[14:15]
.Lpost_getpc3858:
	s_add_u32 s14, s14, (.LBB1_3652-.Lpost_getpc3858)&4294967295
	s_addc_u32 s15, s15, (.LBB1_3652-.Lpost_getpc3858)>>32
	s_setpc_b64 s[14:15]
.LBB1_7749:
	s_movk_i32 s4, 0x80
	v_cmp_eq_u16_sdwa s[12:13], v12, s4 src0_sel:BYTE_0 src1_sel:DWORD
	s_mov_b64 s[4:5], -1
                                        ; implicit-def: $sgpr10
	s_and_saveexec_b64 s[8:9], s[12:13]
; %bb.7750:
	s_mov_b32 s10, 0x7f800001
	s_xor_b64 s[4:5], exec, -1
; %bb.7751:
	s_or_b64 exec, exec, s[8:9]
	s_and_b64 s[4:5], s[4:5], exec
	s_or_saveexec_b64 s[6:7], s[6:7]
	v_mov_b32_e32 v13, s10
	s_xor_b64 exec, exec, s[6:7]
	s_cbranch_execnz .LBB1_7752
; %bb.17497:
	s_getpc_b64 s[14:15]
.Lpost_getpc4652:
	s_add_u32 s14, s14, (.LBB1_3654-.Lpost_getpc4652)&4294967295
	s_addc_u32 s15, s15, (.LBB1_3654-.Lpost_getpc4652)>>32
	s_setpc_b64 s[14:15]
.LBB1_7752:
	v_mov_b32_e32 v13, 0
	v_cmp_ne_u16_sdwa s[8:9], v12, v13 src0_sel:BYTE_0 src1_sel:DWORD
	s_andn2_b64 s[4:5], s[4:5], exec
	s_and_b64 s[8:9], s[8:9], exec
	s_or_b64 s[4:5], s[4:5], s[8:9]
	s_or_b64 exec, exec, s[6:7]
	v_or_b32_sdwa v2, v12, v2 dst_sel:DWORD dst_unused:UNUSED_PAD src0_sel:WORD_0 src1_sel:DWORD
	s_and_saveexec_b64 s[6:7], s[4:5]
	s_cbranch_execz .LBB1_15911
; %bb.17499:
	s_getpc_b64 s[14:15]
.Lpost_getpc4653:
	s_add_u32 s14, s14, (.LBB1_3655-.Lpost_getpc4653)&4294967295
	s_addc_u32 s15, s15, (.LBB1_3655-.Lpost_getpc4653)>>32
	s_setpc_b64 s[14:15]
.LBB1_15911:
	s_getpc_b64 s[14:15]
.Lpost_getpc3859:
	s_add_u32 s14, s14, (.LBB1_3656-.Lpost_getpc3859)&4294967295
	s_addc_u32 s15, s15, (.LBB1_3656-.Lpost_getpc3859)>>32
	s_setpc_b64 s[14:15]
.LBB1_7753:
	s_movk_i32 s4, 0x80
	v_cmp_eq_u16_sdwa s[12:13], v12, s4 src0_sel:BYTE_0 src1_sel:DWORD
	s_mov_b64 s[4:5], -1
                                        ; implicit-def: $sgpr10
	s_and_saveexec_b64 s[8:9], s[12:13]
; %bb.7754:
	s_mov_b32 s10, 0x7f800001
	s_xor_b64 s[4:5], exec, -1
; %bb.7755:
	s_or_b64 exec, exec, s[8:9]
	s_and_b64 s[4:5], s[4:5], exec
	s_or_saveexec_b64 s[6:7], s[6:7]
	v_mov_b32_e32 v3, s10
	s_xor_b64 exec, exec, s[6:7]
	s_cbranch_execnz .LBB1_7756
; %bb.17501:
	s_getpc_b64 s[14:15]
.Lpost_getpc4654:
	s_add_u32 s14, s14, (.LBB1_3658-.Lpost_getpc4654)&4294967295
	s_addc_u32 s15, s15, (.LBB1_3658-.Lpost_getpc4654)>>32
	s_setpc_b64 s[14:15]
.LBB1_7756:
	v_mov_b32_e32 v3, 0
	v_cmp_ne_u16_sdwa s[8:9], v12, v3 src0_sel:BYTE_0 src1_sel:DWORD
	s_andn2_b64 s[4:5], s[4:5], exec
	s_and_b64 s[8:9], s[8:9], exec
	s_or_b64 s[4:5], s[4:5], s[8:9]
	s_or_b64 exec, exec, s[6:7]
	s_and_saveexec_b64 s[6:7], s[4:5]
	s_cbranch_execz .LBB1_15913
; %bb.17503:
	s_getpc_b64 s[14:15]
.Lpost_getpc4655:
	s_add_u32 s14, s14, (.LBB1_3659-.Lpost_getpc4655)&4294967295
	s_addc_u32 s15, s15, (.LBB1_3659-.Lpost_getpc4655)>>32
	s_setpc_b64 s[14:15]
.LBB1_15913:
	s_getpc_b64 s[14:15]
.Lpost_getpc3860:
	s_add_u32 s14, s14, (.LBB1_3660-.Lpost_getpc3860)&4294967295
	s_addc_u32 s15, s15, (.LBB1_3660-.Lpost_getpc3860)>>32
	s_setpc_b64 s[14:15]
.LBB1_7757:
	s_movk_i32 s4, 0x80
	v_cmp_eq_u16_sdwa s[12:13], v12, s4 src0_sel:BYTE_0 src1_sel:DWORD
	s_mov_b64 s[4:5], -1
                                        ; implicit-def: $sgpr10
	s_and_saveexec_b64 s[8:9], s[12:13]
; %bb.7758:
	s_mov_b32 s10, 0x7f800001
	s_xor_b64 s[4:5], exec, -1
; %bb.7759:
	s_or_b64 exec, exec, s[8:9]
	s_and_b64 s[4:5], s[4:5], exec
	s_or_saveexec_b64 s[6:7], s[6:7]
	v_mov_b32_e32 v13, s10
	s_xor_b64 exec, exec, s[6:7]
	s_cbranch_execnz .LBB1_7760
; %bb.17505:
	s_getpc_b64 s[14:15]
.Lpost_getpc4656:
	s_add_u32 s14, s14, (.LBB1_3662-.Lpost_getpc4656)&4294967295
	s_addc_u32 s15, s15, (.LBB1_3662-.Lpost_getpc4656)>>32
	s_setpc_b64 s[14:15]
.LBB1_7760:
	v_mov_b32_e32 v13, 0
	v_cmp_ne_u16_sdwa s[8:9], v12, v13 src0_sel:BYTE_0 src1_sel:DWORD
	s_andn2_b64 s[4:5], s[4:5], exec
	s_and_b64 s[8:9], s[8:9], exec
	s_or_b64 s[4:5], s[4:5], s[8:9]
	s_or_b64 exec, exec, s[6:7]
	s_and_saveexec_b64 s[6:7], s[4:5]
	s_cbranch_execz .LBB1_15915
; %bb.17507:
	s_getpc_b64 s[14:15]
.Lpost_getpc4657:
	s_add_u32 s14, s14, (.LBB1_3663-.Lpost_getpc4657)&4294967295
	s_addc_u32 s15, s15, (.LBB1_3663-.Lpost_getpc4657)>>32
	s_setpc_b64 s[14:15]
.LBB1_15915:
	s_getpc_b64 s[14:15]
.Lpost_getpc3861:
	s_add_u32 s14, s14, (.LBB1_3664-.Lpost_getpc3861)&4294967295
	s_addc_u32 s15, s15, (.LBB1_3664-.Lpost_getpc3861)>>32
	s_setpc_b64 s[14:15]
.LBB1_7761:
	s_movk_i32 s4, 0x80
	v_cmp_eq_u16_e32 vcc, s4, v12
	s_mov_b64 s[4:5], -1
                                        ; implicit-def: $sgpr10
	s_and_saveexec_b64 s[8:9], vcc
; %bb.7762:
	s_mov_b32 s10, 0x7f800001
	s_xor_b64 s[4:5], exec, -1
; %bb.7763:
	s_or_b64 exec, exec, s[8:9]
	s_and_b64 s[4:5], s[4:5], exec
                                        ; implicit-def: $vgpr12
	s_or_saveexec_b64 s[6:7], s[6:7]
	v_mov_b32_e32 v3, s10
	s_xor_b64 exec, exec, s[6:7]
	s_cbranch_execnz .LBB1_7764
; %bb.17509:
	s_getpc_b64 s[14:15]
.Lpost_getpc4658:
	s_add_u32 s14, s14, (.LBB1_3666-.Lpost_getpc4658)&4294967295
	s_addc_u32 s15, s15, (.LBB1_3666-.Lpost_getpc4658)>>32
	s_setpc_b64 s[14:15]
.LBB1_7764:
	v_cmp_ne_u16_e32 vcc, 0, v12
	s_andn2_b64 s[4:5], s[4:5], exec
	s_and_b64 s[8:9], vcc, exec
	v_mov_b32_e32 v3, 0
	s_or_b64 s[4:5], s[4:5], s[8:9]
	s_or_b64 exec, exec, s[6:7]
	s_and_saveexec_b64 s[6:7], s[4:5]
	s_cbranch_execz .LBB1_15917
; %bb.17511:
	s_getpc_b64 s[14:15]
.Lpost_getpc4659:
	s_add_u32 s14, s14, (.LBB1_3667-.Lpost_getpc4659)&4294967295
	s_addc_u32 s15, s15, (.LBB1_3667-.Lpost_getpc4659)>>32
	s_setpc_b64 s[14:15]
.LBB1_15917:
	s_getpc_b64 s[14:15]
.Lpost_getpc3862:
	s_add_u32 s14, s14, (.LBB1_3668-.Lpost_getpc3862)&4294967295
	s_addc_u32 s15, s15, (.LBB1_3668-.Lpost_getpc3862)>>32
	s_setpc_b64 s[14:15]
.LBB1_7765:
	s_movk_i32 s4, 0x80
	v_cmp_eq_u16_e32 vcc, s4, v12
	s_mov_b64 s[4:5], -1
                                        ; implicit-def: $sgpr10
	s_and_saveexec_b64 s[8:9], vcc
; %bb.7766:
	s_mov_b32 s10, 0x7f800001
	s_xor_b64 s[4:5], exec, -1
; %bb.7767:
	s_or_b64 exec, exec, s[8:9]
	s_and_b64 s[4:5], s[4:5], exec
                                        ; implicit-def: $vgpr12
	s_or_saveexec_b64 s[6:7], s[6:7]
	v_mov_b32_e32 v13, s10
	s_xor_b64 exec, exec, s[6:7]
	s_cbranch_execnz .LBB1_7768
; %bb.17513:
	s_getpc_b64 s[14:15]
.Lpost_getpc4660:
	s_add_u32 s14, s14, (.LBB1_3670-.Lpost_getpc4660)&4294967295
	s_addc_u32 s15, s15, (.LBB1_3670-.Lpost_getpc4660)>>32
	s_setpc_b64 s[14:15]
.LBB1_7768:
	v_cmp_ne_u16_e32 vcc, 0, v12
	s_andn2_b64 s[4:5], s[4:5], exec
	s_and_b64 s[8:9], vcc, exec
	v_mov_b32_e32 v13, 0
	s_or_b64 s[4:5], s[4:5], s[8:9]
	s_or_b64 exec, exec, s[6:7]
	s_and_saveexec_b64 s[6:7], s[4:5]
	s_cbranch_execz .LBB1_15919
; %bb.17515:
	s_getpc_b64 s[14:15]
.Lpost_getpc4661:
	s_add_u32 s14, s14, (.LBB1_3671-.Lpost_getpc4661)&4294967295
	s_addc_u32 s15, s15, (.LBB1_3671-.Lpost_getpc4661)>>32
	s_setpc_b64 s[14:15]
.LBB1_15919:
	s_getpc_b64 s[14:15]
.Lpost_getpc3863:
	s_add_u32 s14, s14, (.LBB1_3672-.Lpost_getpc3863)&4294967295
	s_addc_u32 s15, s15, (.LBB1_3672-.Lpost_getpc3863)>>32
	s_setpc_b64 s[14:15]
.LBB1_7769:
	s_movk_i32 s4, 0x80
	v_cmp_eq_u16_sdwa s[12:13], v18, s4 src0_sel:BYTE_3 src1_sel:DWORD
	s_mov_b64 s[4:5], -1
                                        ; implicit-def: $sgpr10
	s_and_saveexec_b64 s[8:9], s[12:13]
; %bb.7770:
	s_mov_b32 s10, 0x7f800001
	s_xor_b64 s[4:5], exec, -1
; %bb.7771:
	s_or_b64 exec, exec, s[8:9]
	s_and_b64 s[4:5], s[4:5], exec
	s_or_saveexec_b64 s[6:7], s[6:7]
	v_mov_b32_e32 v3, s10
	s_xor_b64 exec, exec, s[6:7]
	s_cbranch_execnz .LBB1_7772
; %bb.17517:
	s_getpc_b64 s[14:15]
.Lpost_getpc4662:
	s_add_u32 s14, s14, (.LBB1_3674-.Lpost_getpc4662)&4294967295
	s_addc_u32 s15, s15, (.LBB1_3674-.Lpost_getpc4662)>>32
	s_setpc_b64 s[14:15]
.LBB1_7772:
	v_mov_b32_e32 v3, 0
	v_cmp_ne_u16_sdwa s[8:9], v18, v3 src0_sel:BYTE_3 src1_sel:DWORD
	s_andn2_b64 s[4:5], s[4:5], exec
	s_and_b64 s[8:9], s[8:9], exec
	s_or_b64 s[4:5], s[4:5], s[8:9]
	s_or_b64 exec, exec, s[6:7]
	s_and_saveexec_b64 s[6:7], s[4:5]
	s_cbranch_execz .LBB1_15921
; %bb.17519:
	s_getpc_b64 s[14:15]
.Lpost_getpc4663:
	s_add_u32 s14, s14, (.LBB1_3675-.Lpost_getpc4663)&4294967295
	s_addc_u32 s15, s15, (.LBB1_3675-.Lpost_getpc4663)>>32
	s_setpc_b64 s[14:15]
.LBB1_15921:
	s_getpc_b64 s[14:15]
.Lpost_getpc3864:
	s_add_u32 s14, s14, (.LBB1_3676-.Lpost_getpc3864)&4294967295
	s_addc_u32 s15, s15, (.LBB1_3676-.Lpost_getpc3864)>>32
	s_setpc_b64 s[14:15]
.LBB1_7773:
	s_movk_i32 s4, 0x80
	v_cmp_eq_u16_sdwa s[12:13], v2, s4 src0_sel:BYTE_3 src1_sel:DWORD
	s_mov_b64 s[4:5], -1
                                        ; implicit-def: $sgpr10
	s_and_saveexec_b64 s[8:9], s[12:13]
; %bb.7774:
	s_mov_b32 s10, 0x7f800001
	s_xor_b64 s[4:5], exec, -1
; %bb.7775:
	s_or_b64 exec, exec, s[8:9]
	s_and_b64 s[4:5], s[4:5], exec
	s_or_saveexec_b64 s[6:7], s[6:7]
	v_mov_b32_e32 v12, s10
	s_xor_b64 exec, exec, s[6:7]
	s_cbranch_execnz .LBB1_7776
; %bb.17521:
	s_getpc_b64 s[14:15]
.Lpost_getpc4664:
	s_add_u32 s14, s14, (.LBB1_3678-.Lpost_getpc4664)&4294967295
	s_addc_u32 s15, s15, (.LBB1_3678-.Lpost_getpc4664)>>32
	s_setpc_b64 s[14:15]
.LBB1_7776:
	v_mov_b32_e32 v12, 0
	v_cmp_ne_u16_sdwa s[8:9], v2, v12 src0_sel:BYTE_3 src1_sel:DWORD
	s_andn2_b64 s[4:5], s[4:5], exec
	s_and_b64 s[8:9], s[8:9], exec
	s_or_b64 s[4:5], s[4:5], s[8:9]
	s_or_b64 exec, exec, s[6:7]
	s_and_saveexec_b64 s[6:7], s[4:5]
	s_cbranch_execz .LBB1_15923
; %bb.17523:
	s_getpc_b64 s[14:15]
.Lpost_getpc4665:
	s_add_u32 s14, s14, (.LBB1_3679-.Lpost_getpc4665)&4294967295
	s_addc_u32 s15, s15, (.LBB1_3679-.Lpost_getpc4665)>>32
	s_setpc_b64 s[14:15]
.LBB1_15923:
	s_getpc_b64 s[14:15]
.Lpost_getpc3865:
	s_add_u32 s14, s14, (.LBB1_3680-.Lpost_getpc3865)&4294967295
	s_addc_u32 s15, s15, (.LBB1_3680-.Lpost_getpc3865)>>32
	s_setpc_b64 s[14:15]
.LBB1_7777:
	s_movk_i32 s4, 0x80
	v_cmp_eq_u16_sdwa s[12:13], v19, s4 src0_sel:BYTE_0 src1_sel:DWORD
	s_mov_b64 s[4:5], -1
                                        ; implicit-def: $sgpr10
	s_and_saveexec_b64 s[8:9], s[12:13]
; %bb.7778:
	s_mov_b32 s10, 0x7f800001
	s_xor_b64 s[4:5], exec, -1
; %bb.7779:
	s_or_b64 exec, exec, s[8:9]
	s_and_b64 s[4:5], s[4:5], exec
	s_or_saveexec_b64 s[6:7], s[6:7]
	v_mov_b32_e32 v2, s10
	s_xor_b64 exec, exec, s[6:7]
	s_cbranch_execnz .LBB1_7780
; %bb.17525:
	s_getpc_b64 s[14:15]
.Lpost_getpc4666:
	s_add_u32 s14, s14, (.LBB1_3682-.Lpost_getpc4666)&4294967295
	s_addc_u32 s15, s15, (.LBB1_3682-.Lpost_getpc4666)>>32
	s_setpc_b64 s[14:15]
.LBB1_7780:
	v_mov_b32_e32 v2, 0
	v_cmp_ne_u16_sdwa s[8:9], v19, v2 src0_sel:BYTE_0 src1_sel:DWORD
	s_andn2_b64 s[4:5], s[4:5], exec
	s_and_b64 s[8:9], s[8:9], exec
	s_or_b64 s[4:5], s[4:5], s[8:9]
	s_or_b64 exec, exec, s[6:7]
	s_and_saveexec_b64 s[6:7], s[4:5]
	s_cbranch_execz .LBB1_15925
; %bb.17527:
	s_getpc_b64 s[14:15]
.Lpost_getpc4667:
	s_add_u32 s14, s14, (.LBB1_3683-.Lpost_getpc4667)&4294967295
	s_addc_u32 s15, s15, (.LBB1_3683-.Lpost_getpc4667)>>32
	s_setpc_b64 s[14:15]
.LBB1_15925:
	s_getpc_b64 s[14:15]
.Lpost_getpc3866:
	s_add_u32 s14, s14, (.LBB1_3684-.Lpost_getpc3866)&4294967295
	s_addc_u32 s15, s15, (.LBB1_3684-.Lpost_getpc3866)>>32
	s_setpc_b64 s[14:15]
.LBB1_7781:
	s_movk_i32 s4, 0x80
	v_cmp_eq_u16_sdwa s[12:13], v15, s4 src0_sel:BYTE_0 src1_sel:DWORD
	s_mov_b64 s[4:5], -1
                                        ; implicit-def: $sgpr10
	s_and_saveexec_b64 s[8:9], s[12:13]
; %bb.7782:
	s_mov_b32 s10, 0x7f800001
	s_xor_b64 s[4:5], exec, -1
; %bb.7783:
	s_or_b64 exec, exec, s[8:9]
	s_and_b64 s[4:5], s[4:5], exec
	s_or_saveexec_b64 s[6:7], s[6:7]
	v_mov_b32_e32 v3, s10
	s_xor_b64 exec, exec, s[6:7]
	s_cbranch_execnz .LBB1_7784
; %bb.17529:
	s_getpc_b64 s[14:15]
.Lpost_getpc4668:
	s_add_u32 s14, s14, (.LBB1_3686-.Lpost_getpc4668)&4294967295
	s_addc_u32 s15, s15, (.LBB1_3686-.Lpost_getpc4668)>>32
	s_setpc_b64 s[14:15]
.LBB1_7784:
	v_mov_b32_e32 v3, 0
	v_cmp_ne_u16_sdwa s[8:9], v15, v3 src0_sel:BYTE_0 src1_sel:DWORD
	s_andn2_b64 s[4:5], s[4:5], exec
	s_and_b64 s[8:9], s[8:9], exec
	s_or_b64 s[4:5], s[4:5], s[8:9]
	s_or_b64 exec, exec, s[6:7]
	s_and_saveexec_b64 s[6:7], s[4:5]
	s_cbranch_execz .LBB1_15927
; %bb.17531:
	s_getpc_b64 s[14:15]
.Lpost_getpc4669:
	s_add_u32 s14, s14, (.LBB1_3687-.Lpost_getpc4669)&4294967295
	s_addc_u32 s15, s15, (.LBB1_3687-.Lpost_getpc4669)>>32
	s_setpc_b64 s[14:15]
.LBB1_15927:
	s_getpc_b64 s[14:15]
.Lpost_getpc3867:
	s_add_u32 s14, s14, (.LBB1_3688-.Lpost_getpc3867)&4294967295
	s_addc_u32 s15, s15, (.LBB1_3688-.Lpost_getpc3867)>>32
	s_setpc_b64 s[14:15]
.LBB1_7785:
	s_movk_i32 s4, 0x80
	v_cmp_eq_u16_sdwa s[12:13], v3, s4 src0_sel:BYTE_0 src1_sel:DWORD
	s_mov_b64 s[4:5], -1
                                        ; implicit-def: $sgpr10
	s_and_saveexec_b64 s[8:9], s[12:13]
; %bb.7786:
	s_mov_b32 s10, 0x7f800001
	s_xor_b64 s[4:5], exec, -1
; %bb.7787:
	s_or_b64 exec, exec, s[8:9]
	s_and_b64 s[4:5], s[4:5], exec
	s_or_saveexec_b64 s[6:7], s[6:7]
	v_mov_b32_e32 v2, s10
	s_xor_b64 exec, exec, s[6:7]
	s_cbranch_execnz .LBB1_7788
; %bb.17533:
	s_getpc_b64 s[14:15]
.Lpost_getpc4670:
	s_add_u32 s14, s14, (.LBB1_3690-.Lpost_getpc4670)&4294967295
	s_addc_u32 s15, s15, (.LBB1_3690-.Lpost_getpc4670)>>32
	s_setpc_b64 s[14:15]
.LBB1_7788:
	v_mov_b32_e32 v2, 0
	v_cmp_ne_u16_sdwa s[8:9], v3, v2 src0_sel:BYTE_0 src1_sel:DWORD
	s_andn2_b64 s[4:5], s[4:5], exec
	s_and_b64 s[8:9], s[8:9], exec
	s_or_b64 s[4:5], s[4:5], s[8:9]
	s_or_b64 exec, exec, s[6:7]
	s_and_saveexec_b64 s[6:7], s[4:5]
	s_cbranch_execz .LBB1_15929
; %bb.17535:
	s_getpc_b64 s[14:15]
.Lpost_getpc4671:
	s_add_u32 s14, s14, (.LBB1_3691-.Lpost_getpc4671)&4294967295
	s_addc_u32 s15, s15, (.LBB1_3691-.Lpost_getpc4671)>>32
	s_setpc_b64 s[14:15]
.LBB1_15929:
	s_getpc_b64 s[14:15]
.Lpost_getpc3868:
	s_add_u32 s14, s14, (.LBB1_3692-.Lpost_getpc3868)&4294967295
	s_addc_u32 s15, s15, (.LBB1_3692-.Lpost_getpc3868)>>32
	s_setpc_b64 s[14:15]
.LBB1_7789:
	s_movk_i32 s4, 0x80
	v_cmp_eq_u16_sdwa s[12:13], v3, s4 src0_sel:BYTE_0 src1_sel:DWORD
	s_mov_b64 s[4:5], -1
                                        ; implicit-def: $sgpr10
	s_and_saveexec_b64 s[8:9], s[12:13]
; %bb.7790:
	s_mov_b32 s10, 0x7f800001
	s_xor_b64 s[4:5], exec, -1
; %bb.7791:
	s_or_b64 exec, exec, s[8:9]
	s_and_b64 s[4:5], s[4:5], exec
	s_or_saveexec_b64 s[6:7], s[6:7]
	v_mov_b32_e32 v12, s10
	s_xor_b64 exec, exec, s[6:7]
	s_cbranch_execnz .LBB1_7792
; %bb.17537:
	s_getpc_b64 s[14:15]
.Lpost_getpc4672:
	s_add_u32 s14, s14, (.LBB1_3694-.Lpost_getpc4672)&4294967295
	s_addc_u32 s15, s15, (.LBB1_3694-.Lpost_getpc4672)>>32
	s_setpc_b64 s[14:15]
.LBB1_7792:
	v_mov_b32_e32 v12, 0
	v_cmp_ne_u16_sdwa s[8:9], v3, v12 src0_sel:BYTE_0 src1_sel:DWORD
	s_andn2_b64 s[4:5], s[4:5], exec
	s_and_b64 s[8:9], s[8:9], exec
	s_or_b64 s[4:5], s[4:5], s[8:9]
	s_or_b64 exec, exec, s[6:7]
	s_and_saveexec_b64 s[6:7], s[4:5]
	s_cbranch_execz .LBB1_15931
; %bb.17539:
	s_getpc_b64 s[14:15]
.Lpost_getpc4673:
	s_add_u32 s14, s14, (.LBB1_3695-.Lpost_getpc4673)&4294967295
	s_addc_u32 s15, s15, (.LBB1_3695-.Lpost_getpc4673)>>32
	s_setpc_b64 s[14:15]
.LBB1_15931:
	s_getpc_b64 s[14:15]
.Lpost_getpc3869:
	s_add_u32 s14, s14, (.LBB1_3696-.Lpost_getpc3869)&4294967295
	s_addc_u32 s15, s15, (.LBB1_3696-.Lpost_getpc3869)>>32
	s_setpc_b64 s[14:15]
.LBB1_7793:
	s_movk_i32 s4, 0x80
	v_cmp_eq_u16_e32 vcc, s4, v3
	s_mov_b64 s[4:5], -1
                                        ; implicit-def: $sgpr10
	s_and_saveexec_b64 s[8:9], vcc
; %bb.7794:
	s_mov_b32 s10, 0x7f800001
	s_xor_b64 s[4:5], exec, -1
; %bb.7795:
	s_or_b64 exec, exec, s[8:9]
	s_and_b64 s[4:5], s[4:5], exec
                                        ; implicit-def: $vgpr3
	s_or_saveexec_b64 s[6:7], s[6:7]
	v_mov_b32_e32 v2, s10
	s_xor_b64 exec, exec, s[6:7]
	s_cbranch_execnz .LBB1_7796
; %bb.17541:
	s_getpc_b64 s[14:15]
.Lpost_getpc4674:
	s_add_u32 s14, s14, (.LBB1_3698-.Lpost_getpc4674)&4294967295
	s_addc_u32 s15, s15, (.LBB1_3698-.Lpost_getpc4674)>>32
	s_setpc_b64 s[14:15]
.LBB1_7796:
	v_cmp_ne_u16_e32 vcc, 0, v3
	s_andn2_b64 s[4:5], s[4:5], exec
	s_and_b64 s[8:9], vcc, exec
	v_mov_b32_e32 v2, 0
	s_or_b64 s[4:5], s[4:5], s[8:9]
	s_or_b64 exec, exec, s[6:7]
	s_and_saveexec_b64 s[6:7], s[4:5]
	s_cbranch_execz .LBB1_15933
; %bb.17543:
	s_getpc_b64 s[14:15]
.Lpost_getpc4675:
	s_add_u32 s14, s14, (.LBB1_3699-.Lpost_getpc4675)&4294967295
	s_addc_u32 s15, s15, (.LBB1_3699-.Lpost_getpc4675)>>32
	s_setpc_b64 s[14:15]
.LBB1_15933:
	s_getpc_b64 s[14:15]
.Lpost_getpc3870:
	s_add_u32 s14, s14, (.LBB1_3700-.Lpost_getpc3870)&4294967295
	s_addc_u32 s15, s15, (.LBB1_3700-.Lpost_getpc3870)>>32
	s_setpc_b64 s[14:15]
.LBB1_7797:
	s_movk_i32 s4, 0x80
	v_cmp_eq_u16_e32 vcc, s4, v3
	s_mov_b64 s[4:5], -1
                                        ; implicit-def: $sgpr10
	s_and_saveexec_b64 s[8:9], vcc
; %bb.7798:
	s_mov_b32 s10, 0x7f800001
	s_xor_b64 s[4:5], exec, -1
; %bb.7799:
	s_or_b64 exec, exec, s[8:9]
	s_and_b64 s[4:5], s[4:5], exec
                                        ; implicit-def: $vgpr3
	s_or_saveexec_b64 s[6:7], s[6:7]
	v_mov_b32_e32 v12, s10
	s_xor_b64 exec, exec, s[6:7]
	s_cbranch_execnz .LBB1_7800
; %bb.17545:
	s_getpc_b64 s[14:15]
.Lpost_getpc4676:
	s_add_u32 s14, s14, (.LBB1_3702-.Lpost_getpc4676)&4294967295
	s_addc_u32 s15, s15, (.LBB1_3702-.Lpost_getpc4676)>>32
	s_setpc_b64 s[14:15]
.LBB1_7800:
	v_cmp_ne_u16_e32 vcc, 0, v3
	s_andn2_b64 s[4:5], s[4:5], exec
	s_and_b64 s[8:9], vcc, exec
	v_mov_b32_e32 v12, 0
	s_or_b64 s[4:5], s[4:5], s[8:9]
	s_or_b64 exec, exec, s[6:7]
	s_and_saveexec_b64 s[6:7], s[4:5]
	s_cbranch_execz .LBB1_15935
; %bb.17547:
	s_getpc_b64 s[14:15]
.Lpost_getpc4677:
	s_add_u32 s14, s14, (.LBB1_3703-.Lpost_getpc4677)&4294967295
	s_addc_u32 s15, s15, (.LBB1_3703-.Lpost_getpc4677)>>32
	s_setpc_b64 s[14:15]
.LBB1_15935:
	s_getpc_b64 s[14:15]
.Lpost_getpc3871:
	s_add_u32 s14, s14, (.LBB1_3704-.Lpost_getpc3871)&4294967295
	s_addc_u32 s15, s15, (.LBB1_3704-.Lpost_getpc3871)>>32
	s_setpc_b64 s[14:15]
.LBB1_7801:
	s_movk_i32 s4, 0x80
	v_cmp_eq_u16_sdwa s[12:13], v19, s4 src0_sel:BYTE_3 src1_sel:DWORD
	s_mov_b64 s[4:5], -1
                                        ; implicit-def: $sgpr10
	s_and_saveexec_b64 s[8:9], s[12:13]
; %bb.7802:
	s_mov_b32 s10, 0x7f800001
	s_xor_b64 s[4:5], exec, -1
; %bb.7803:
	s_or_b64 exec, exec, s[8:9]
	s_and_b64 s[4:5], s[4:5], exec
	s_or_saveexec_b64 s[6:7], s[6:7]
	v_mov_b32_e32 v2, s10
	s_xor_b64 exec, exec, s[6:7]
	s_cbranch_execnz .LBB1_7804
; %bb.17549:
	s_getpc_b64 s[14:15]
.Lpost_getpc4678:
	s_add_u32 s14, s14, (.LBB1_3706-.Lpost_getpc4678)&4294967295
	s_addc_u32 s15, s15, (.LBB1_3706-.Lpost_getpc4678)>>32
	s_setpc_b64 s[14:15]
.LBB1_7804:
	v_mov_b32_e32 v2, 0
	v_cmp_ne_u16_sdwa s[8:9], v19, v2 src0_sel:BYTE_3 src1_sel:DWORD
	s_andn2_b64 s[4:5], s[4:5], exec
	s_and_b64 s[8:9], s[8:9], exec
	s_or_b64 s[4:5], s[4:5], s[8:9]
	s_or_b64 exec, exec, s[6:7]
	s_and_saveexec_b64 s[6:7], s[4:5]
	s_cbranch_execz .LBB1_15937
; %bb.17551:
	s_getpc_b64 s[14:15]
.Lpost_getpc4679:
	s_add_u32 s14, s14, (.LBB1_3707-.Lpost_getpc4679)&4294967295
	s_addc_u32 s15, s15, (.LBB1_3707-.Lpost_getpc4679)>>32
	s_setpc_b64 s[14:15]
.LBB1_15937:
	s_getpc_b64 s[14:15]
.Lpost_getpc3872:
	s_add_u32 s14, s14, (.LBB1_3708-.Lpost_getpc3872)&4294967295
	s_addc_u32 s15, s15, (.LBB1_3708-.Lpost_getpc3872)>>32
	s_setpc_b64 s[14:15]
.LBB1_7805:
	s_movk_i32 s4, 0x80
	v_cmp_eq_u16_sdwa s[12:13], v15, s4 src0_sel:BYTE_3 src1_sel:DWORD
	s_mov_b64 s[4:5], -1
                                        ; implicit-def: $sgpr10
	s_and_saveexec_b64 s[8:9], s[12:13]
; %bb.7806:
	s_mov_b32 s10, 0x7f800001
	s_xor_b64 s[4:5], exec, -1
; %bb.7807:
	s_or_b64 exec, exec, s[8:9]
	s_and_b64 s[4:5], s[4:5], exec
	s_or_saveexec_b64 s[6:7], s[6:7]
	v_mov_b32_e32 v3, s10
	s_xor_b64 exec, exec, s[6:7]
	s_cbranch_execnz .LBB1_7808
; %bb.17553:
	s_getpc_b64 s[14:15]
.Lpost_getpc4680:
	s_add_u32 s14, s14, (.LBB1_3710-.Lpost_getpc4680)&4294967295
	s_addc_u32 s15, s15, (.LBB1_3710-.Lpost_getpc4680)>>32
	s_setpc_b64 s[14:15]
.LBB1_7808:
	v_mov_b32_e32 v3, 0
	v_cmp_ne_u16_sdwa s[8:9], v15, v3 src0_sel:BYTE_3 src1_sel:DWORD
	s_andn2_b64 s[4:5], s[4:5], exec
	s_and_b64 s[8:9], s[8:9], exec
	s_or_b64 s[4:5], s[4:5], s[8:9]
	s_or_b64 exec, exec, s[6:7]
	s_and_saveexec_b64 s[6:7], s[4:5]
	s_cbranch_execz .LBB1_15939
; %bb.17555:
	s_getpc_b64 s[14:15]
.Lpost_getpc4681:
	s_add_u32 s14, s14, (.LBB1_3711-.Lpost_getpc4681)&4294967295
	s_addc_u32 s15, s15, (.LBB1_3711-.Lpost_getpc4681)>>32
	s_setpc_b64 s[14:15]
.LBB1_15939:
	s_getpc_b64 s[14:15]
.Lpost_getpc3873:
	s_add_u32 s14, s14, (.LBB1_3712-.Lpost_getpc3873)&4294967295
	s_addc_u32 s15, s15, (.LBB1_3712-.Lpost_getpc3873)>>32
	s_setpc_b64 s[14:15]
.LBB1_7809:
	s_movk_i32 s4, 0x80
	v_cmp_eq_u16_sdwa s[12:13], v16, s4 src0_sel:BYTE_0 src1_sel:DWORD
	s_mov_b64 s[4:5], -1
                                        ; implicit-def: $sgpr10
	s_and_saveexec_b64 s[8:9], s[12:13]
; %bb.7810:
	s_mov_b32 s10, 0x7f800001
	s_xor_b64 s[4:5], exec, -1
; %bb.7811:
	s_or_b64 exec, exec, s[8:9]
	s_and_b64 s[4:5], s[4:5], exec
	s_or_saveexec_b64 s[6:7], s[6:7]
	v_mov_b32_e32 v3, s10
	s_xor_b64 exec, exec, s[6:7]
	s_cbranch_execnz .LBB1_7812
; %bb.17557:
	s_getpc_b64 s[14:15]
.Lpost_getpc4682:
	s_add_u32 s14, s14, (.LBB1_3714-.Lpost_getpc4682)&4294967295
	s_addc_u32 s15, s15, (.LBB1_3714-.Lpost_getpc4682)>>32
	s_setpc_b64 s[14:15]
.LBB1_7812:
	v_mov_b32_e32 v3, 0
	v_cmp_ne_u16_sdwa s[8:9], v16, v3 src0_sel:BYTE_0 src1_sel:DWORD
	s_andn2_b64 s[4:5], s[4:5], exec
	s_and_b64 s[8:9], s[8:9], exec
	s_or_b64 s[4:5], s[4:5], s[8:9]
	s_or_b64 exec, exec, s[6:7]
	s_and_saveexec_b64 s[6:7], s[4:5]
	s_cbranch_execz .LBB1_15941
; %bb.17559:
	s_getpc_b64 s[14:15]
.Lpost_getpc4683:
	s_add_u32 s14, s14, (.LBB1_3715-.Lpost_getpc4683)&4294967295
	s_addc_u32 s15, s15, (.LBB1_3715-.Lpost_getpc4683)>>32
	s_setpc_b64 s[14:15]
.LBB1_15941:
	s_getpc_b64 s[14:15]
.Lpost_getpc3874:
	s_add_u32 s14, s14, (.LBB1_3716-.Lpost_getpc3874)&4294967295
	s_addc_u32 s15, s15, (.LBB1_3716-.Lpost_getpc3874)>>32
	s_setpc_b64 s[14:15]
.LBB1_7813:
	s_movk_i32 s4, 0x80
	v_cmp_eq_u16_sdwa s[12:13], v12, s4 src0_sel:BYTE_0 src1_sel:DWORD
	s_mov_b64 s[4:5], -1
                                        ; implicit-def: $sgpr10
	s_and_saveexec_b64 s[8:9], s[12:13]
; %bb.7814:
	s_mov_b32 s10, 0x7f800001
	s_xor_b64 s[4:5], exec, -1
; %bb.7815:
	s_or_b64 exec, exec, s[8:9]
	s_and_b64 s[4:5], s[4:5], exec
	s_or_saveexec_b64 s[6:7], s[6:7]
	v_mov_b32_e32 v20, s10
	s_xor_b64 exec, exec, s[6:7]
	s_cbranch_execnz .LBB1_7816
; %bb.17561:
	s_getpc_b64 s[14:15]
.Lpost_getpc4684:
	s_add_u32 s14, s14, (.LBB1_3718-.Lpost_getpc4684)&4294967295
	s_addc_u32 s15, s15, (.LBB1_3718-.Lpost_getpc4684)>>32
	s_setpc_b64 s[14:15]
.LBB1_7816:
	v_mov_b32_e32 v20, 0
	v_cmp_ne_u16_sdwa s[8:9], v12, v20 src0_sel:BYTE_0 src1_sel:DWORD
	s_andn2_b64 s[4:5], s[4:5], exec
	s_and_b64 s[8:9], s[8:9], exec
	s_or_b64 s[4:5], s[4:5], s[8:9]
	s_or_b64 exec, exec, s[6:7]
	s_and_saveexec_b64 s[6:7], s[4:5]
	s_cbranch_execz .LBB1_15943
; %bb.17563:
	s_getpc_b64 s[14:15]
.Lpost_getpc4685:
	s_add_u32 s14, s14, (.LBB1_3719-.Lpost_getpc4685)&4294967295
	s_addc_u32 s15, s15, (.LBB1_3719-.Lpost_getpc4685)>>32
	s_setpc_b64 s[14:15]
.LBB1_15943:
	s_getpc_b64 s[14:15]
.Lpost_getpc3875:
	s_add_u32 s14, s14, (.LBB1_3720-.Lpost_getpc3875)&4294967295
	s_addc_u32 s15, s15, (.LBB1_3720-.Lpost_getpc3875)>>32
	s_setpc_b64 s[14:15]
.LBB1_7817:
	s_movk_i32 s4, 0x80
	v_cmp_eq_u16_sdwa s[12:13], v20, s4 src0_sel:BYTE_0 src1_sel:DWORD
	s_mov_b64 s[4:5], -1
                                        ; implicit-def: $sgpr10
	s_and_saveexec_b64 s[8:9], s[12:13]
; %bb.7818:
	s_mov_b32 s10, 0x7f800001
	s_xor_b64 s[4:5], exec, -1
; %bb.7819:
	s_or_b64 exec, exec, s[8:9]
	s_and_b64 s[4:5], s[4:5], exec
	s_or_saveexec_b64 s[6:7], s[6:7]
	v_mov_b32_e32 v3, s10
	s_xor_b64 exec, exec, s[6:7]
	s_cbranch_execnz .LBB1_7820
; %bb.17565:
	s_getpc_b64 s[14:15]
.Lpost_getpc4686:
	s_add_u32 s14, s14, (.LBB1_3722-.Lpost_getpc4686)&4294967295
	s_addc_u32 s15, s15, (.LBB1_3722-.Lpost_getpc4686)>>32
	s_setpc_b64 s[14:15]
.LBB1_7820:
	v_mov_b32_e32 v3, 0
	v_cmp_ne_u16_sdwa s[8:9], v20, v3 src0_sel:BYTE_0 src1_sel:DWORD
	s_andn2_b64 s[4:5], s[4:5], exec
	s_and_b64 s[8:9], s[8:9], exec
	s_or_b64 s[4:5], s[4:5], s[8:9]
	s_or_b64 exec, exec, s[6:7]
	s_and_saveexec_b64 s[6:7], s[4:5]
	s_cbranch_execz .LBB1_15945
; %bb.17567:
	s_getpc_b64 s[14:15]
.Lpost_getpc4687:
	s_add_u32 s14, s14, (.LBB1_3723-.Lpost_getpc4687)&4294967295
	s_addc_u32 s15, s15, (.LBB1_3723-.Lpost_getpc4687)>>32
	s_setpc_b64 s[14:15]
.LBB1_15945:
	s_getpc_b64 s[14:15]
.Lpost_getpc3876:
	s_add_u32 s14, s14, (.LBB1_3724-.Lpost_getpc3876)&4294967295
	s_addc_u32 s15, s15, (.LBB1_3724-.Lpost_getpc3876)>>32
	s_setpc_b64 s[14:15]
.LBB1_7821:
	s_movk_i32 s4, 0x80
	v_cmp_eq_u16_sdwa s[12:13], v20, s4 src0_sel:BYTE_0 src1_sel:DWORD
	s_mov_b64 s[4:5], -1
                                        ; implicit-def: $sgpr10
	s_and_saveexec_b64 s[8:9], s[12:13]
; %bb.7822:
	s_mov_b32 s10, 0x7f800001
	s_xor_b64 s[4:5], exec, -1
; %bb.7823:
	s_or_b64 exec, exec, s[8:9]
	s_and_b64 s[4:5], s[4:5], exec
	s_or_saveexec_b64 s[6:7], s[6:7]
	v_mov_b32_e32 v21, s10
	s_xor_b64 exec, exec, s[6:7]
	s_cbranch_execnz .LBB1_7824
; %bb.17569:
	s_getpc_b64 s[14:15]
.Lpost_getpc4688:
	s_add_u32 s14, s14, (.LBB1_3726-.Lpost_getpc4688)&4294967295
	s_addc_u32 s15, s15, (.LBB1_3726-.Lpost_getpc4688)>>32
	s_setpc_b64 s[14:15]
.LBB1_7824:
	v_mov_b32_e32 v21, 0
	v_cmp_ne_u16_sdwa s[8:9], v20, v21 src0_sel:BYTE_0 src1_sel:DWORD
	s_andn2_b64 s[4:5], s[4:5], exec
	s_and_b64 s[8:9], s[8:9], exec
	s_or_b64 s[4:5], s[4:5], s[8:9]
	s_or_b64 exec, exec, s[6:7]
	s_and_saveexec_b64 s[6:7], s[4:5]
	s_cbranch_execz .LBB1_15947
; %bb.17571:
	s_getpc_b64 s[14:15]
.Lpost_getpc4689:
	s_add_u32 s14, s14, (.LBB1_3727-.Lpost_getpc4689)&4294967295
	s_addc_u32 s15, s15, (.LBB1_3727-.Lpost_getpc4689)>>32
	s_setpc_b64 s[14:15]
.LBB1_15947:
	s_getpc_b64 s[14:15]
.Lpost_getpc3877:
	s_add_u32 s14, s14, (.LBB1_3728-.Lpost_getpc3877)&4294967295
	s_addc_u32 s15, s15, (.LBB1_3728-.Lpost_getpc3877)>>32
	s_setpc_b64 s[14:15]
.LBB1_7825:
	s_movk_i32 s4, 0x80
	v_cmp_eq_u16_e32 vcc, s4, v20
	s_mov_b64 s[4:5], -1
                                        ; implicit-def: $sgpr10
	s_and_saveexec_b64 s[8:9], vcc
; %bb.7826:
	s_mov_b32 s10, 0x7f800001
	s_xor_b64 s[4:5], exec, -1
; %bb.7827:
	s_or_b64 exec, exec, s[8:9]
	s_and_b64 s[4:5], s[4:5], exec
                                        ; implicit-def: $vgpr20
	s_or_saveexec_b64 s[6:7], s[6:7]
	v_mov_b32_e32 v3, s10
	s_xor_b64 exec, exec, s[6:7]
	s_cbranch_execnz .LBB1_7828
; %bb.17573:
	s_getpc_b64 s[14:15]
.Lpost_getpc4690:
	s_add_u32 s14, s14, (.LBB1_3730-.Lpost_getpc4690)&4294967295
	s_addc_u32 s15, s15, (.LBB1_3730-.Lpost_getpc4690)>>32
	s_setpc_b64 s[14:15]
.LBB1_7828:
	v_cmp_ne_u16_e32 vcc, 0, v20
	s_andn2_b64 s[4:5], s[4:5], exec
	s_and_b64 s[8:9], vcc, exec
	v_mov_b32_e32 v3, 0
	s_or_b64 s[4:5], s[4:5], s[8:9]
	s_or_b64 exec, exec, s[6:7]
	s_and_saveexec_b64 s[6:7], s[4:5]
	s_cbranch_execz .LBB1_15949
; %bb.17575:
	s_getpc_b64 s[14:15]
.Lpost_getpc4691:
	s_add_u32 s14, s14, (.LBB1_3731-.Lpost_getpc4691)&4294967295
	s_addc_u32 s15, s15, (.LBB1_3731-.Lpost_getpc4691)>>32
	s_setpc_b64 s[14:15]
.LBB1_15949:
	s_getpc_b64 s[14:15]
.Lpost_getpc3878:
	s_add_u32 s14, s14, (.LBB1_3732-.Lpost_getpc3878)&4294967295
	s_addc_u32 s15, s15, (.LBB1_3732-.Lpost_getpc3878)>>32
	s_setpc_b64 s[14:15]
.LBB1_7829:
	s_movk_i32 s4, 0x80
	v_cmp_eq_u16_e32 vcc, s4, v20
	s_mov_b64 s[4:5], -1
                                        ; implicit-def: $sgpr10
	s_and_saveexec_b64 s[8:9], vcc
; %bb.7830:
	s_mov_b32 s10, 0x7f800001
	s_xor_b64 s[4:5], exec, -1
; %bb.7831:
	s_or_b64 exec, exec, s[8:9]
	s_and_b64 s[4:5], s[4:5], exec
                                        ; implicit-def: $vgpr20
	s_or_saveexec_b64 s[6:7], s[6:7]
	v_mov_b32_e32 v21, s10
	s_xor_b64 exec, exec, s[6:7]
	s_cbranch_execnz .LBB1_7832
; %bb.17577:
	s_getpc_b64 s[14:15]
.Lpost_getpc4692:
	s_add_u32 s14, s14, (.LBB1_3734-.Lpost_getpc4692)&4294967295
	s_addc_u32 s15, s15, (.LBB1_3734-.Lpost_getpc4692)>>32
	s_setpc_b64 s[14:15]
.LBB1_7832:
	v_cmp_ne_u16_e32 vcc, 0, v20
	s_andn2_b64 s[4:5], s[4:5], exec
	s_and_b64 s[8:9], vcc, exec
	v_mov_b32_e32 v21, 0
	s_or_b64 s[4:5], s[4:5], s[8:9]
	s_or_b64 exec, exec, s[6:7]
	s_and_saveexec_b64 s[6:7], s[4:5]
	s_cbranch_execz .LBB1_15951
; %bb.17579:
	s_getpc_b64 s[14:15]
.Lpost_getpc4693:
	s_add_u32 s14, s14, (.LBB1_3735-.Lpost_getpc4693)&4294967295
	s_addc_u32 s15, s15, (.LBB1_3735-.Lpost_getpc4693)>>32
	s_setpc_b64 s[14:15]
.LBB1_15951:
	s_getpc_b64 s[14:15]
.Lpost_getpc3879:
	s_add_u32 s14, s14, (.LBB1_3736-.Lpost_getpc3879)&4294967295
	s_addc_u32 s15, s15, (.LBB1_3736-.Lpost_getpc3879)>>32
	s_setpc_b64 s[14:15]
.LBB1_7833:
	s_movk_i32 s4, 0x80
	v_cmp_eq_u16_sdwa s[12:13], v16, s4 src0_sel:BYTE_3 src1_sel:DWORD
	s_mov_b64 s[4:5], -1
                                        ; implicit-def: $sgpr10
	s_and_saveexec_b64 s[8:9], s[12:13]
; %bb.7834:
	s_mov_b32 s10, 0x7f800001
	s_xor_b64 s[4:5], exec, -1
; %bb.7835:
	s_or_b64 exec, exec, s[8:9]
	s_and_b64 s[4:5], s[4:5], exec
	s_or_saveexec_b64 s[6:7], s[6:7]
	v_mov_b32_e32 v3, s10
	s_xor_b64 exec, exec, s[6:7]
	s_cbranch_execnz .LBB1_7836
; %bb.17581:
	s_getpc_b64 s[14:15]
.Lpost_getpc4694:
	s_add_u32 s14, s14, (.LBB1_3738-.Lpost_getpc4694)&4294967295
	s_addc_u32 s15, s15, (.LBB1_3738-.Lpost_getpc4694)>>32
	s_setpc_b64 s[14:15]
.LBB1_7836:
	v_mov_b32_e32 v3, 0
	v_cmp_ne_u16_sdwa s[8:9], v16, v3 src0_sel:BYTE_3 src1_sel:DWORD
	s_andn2_b64 s[4:5], s[4:5], exec
	s_and_b64 s[8:9], s[8:9], exec
	s_or_b64 s[4:5], s[4:5], s[8:9]
	s_or_b64 exec, exec, s[6:7]
	s_and_saveexec_b64 s[6:7], s[4:5]
	s_cbranch_execz .LBB1_15953
; %bb.17583:
	s_getpc_b64 s[14:15]
.Lpost_getpc4695:
	s_add_u32 s14, s14, (.LBB1_3739-.Lpost_getpc4695)&4294967295
	s_addc_u32 s15, s15, (.LBB1_3739-.Lpost_getpc4695)>>32
	s_setpc_b64 s[14:15]
.LBB1_15953:
	s_getpc_b64 s[14:15]
.Lpost_getpc3880:
	s_add_u32 s14, s14, (.LBB1_3740-.Lpost_getpc3880)&4294967295
	s_addc_u32 s15, s15, (.LBB1_3740-.Lpost_getpc3880)>>32
	s_setpc_b64 s[14:15]
.LBB1_7837:
	s_movk_i32 s4, 0x80
	v_cmp_eq_u16_sdwa s[12:13], v12, s4 src0_sel:BYTE_3 src1_sel:DWORD
	s_mov_b64 s[4:5], -1
                                        ; implicit-def: $sgpr10
	s_and_saveexec_b64 s[8:9], s[12:13]
; %bb.7838:
	s_mov_b32 s10, 0x7f800001
	s_xor_b64 s[4:5], exec, -1
; %bb.7839:
	s_or_b64 exec, exec, s[8:9]
	s_and_b64 s[4:5], s[4:5], exec
	s_or_saveexec_b64 s[6:7], s[6:7]
	v_mov_b32_e32 v16, s10
	s_xor_b64 exec, exec, s[6:7]
	s_cbranch_execnz .LBB1_7840
; %bb.17585:
	s_getpc_b64 s[14:15]
.Lpost_getpc4696:
	s_add_u32 s14, s14, (.LBB1_3742-.Lpost_getpc4696)&4294967295
	s_addc_u32 s15, s15, (.LBB1_3742-.Lpost_getpc4696)>>32
	s_setpc_b64 s[14:15]
.LBB1_7840:
	v_mov_b32_e32 v16, 0
	v_cmp_ne_u16_sdwa s[8:9], v12, v16 src0_sel:BYTE_3 src1_sel:DWORD
	s_andn2_b64 s[4:5], s[4:5], exec
	s_and_b64 s[8:9], s[8:9], exec
	s_or_b64 s[4:5], s[4:5], s[8:9]
	s_or_b64 exec, exec, s[6:7]
	s_and_saveexec_b64 s[6:7], s[4:5]
	s_cbranch_execz .LBB1_15955
; %bb.17587:
	s_getpc_b64 s[14:15]
.Lpost_getpc4697:
	s_add_u32 s14, s14, (.LBB1_3743-.Lpost_getpc4697)&4294967295
	s_addc_u32 s15, s15, (.LBB1_3743-.Lpost_getpc4697)>>32
	s_setpc_b64 s[14:15]
.LBB1_15955:
	s_getpc_b64 s[14:15]
.Lpost_getpc3881:
	s_add_u32 s14, s14, (.LBB1_3744-.Lpost_getpc3881)&4294967295
	s_addc_u32 s15, s15, (.LBB1_3744-.Lpost_getpc3881)>>32
	s_setpc_b64 s[14:15]
.LBB1_7841:
	s_movk_i32 s4, 0x80
	v_cmp_eq_u16_sdwa s[12:13], v17, s4 src0_sel:BYTE_0 src1_sel:DWORD
	s_mov_b64 s[4:5], -1
                                        ; implicit-def: $sgpr10
	s_and_saveexec_b64 s[8:9], s[12:13]
; %bb.7842:
	s_mov_b32 s10, 0x7f800001
	s_xor_b64 s[4:5], exec, -1
; %bb.7843:
	s_or_b64 exec, exec, s[8:9]
	s_and_b64 s[4:5], s[4:5], exec
	s_or_saveexec_b64 s[6:7], s[6:7]
	v_mov_b32_e32 v3, s10
	s_xor_b64 exec, exec, s[6:7]
	s_cbranch_execnz .LBB1_7844
; %bb.17589:
	s_getpc_b64 s[14:15]
.Lpost_getpc4698:
	s_add_u32 s14, s14, (.LBB1_3746-.Lpost_getpc4698)&4294967295
	s_addc_u32 s15, s15, (.LBB1_3746-.Lpost_getpc4698)>>32
	s_setpc_b64 s[14:15]
.LBB1_7844:
	v_mov_b32_e32 v3, 0
	v_cmp_ne_u16_sdwa s[8:9], v17, v3 src0_sel:BYTE_0 src1_sel:DWORD
	s_andn2_b64 s[4:5], s[4:5], exec
	s_and_b64 s[8:9], s[8:9], exec
	s_or_b64 s[4:5], s[4:5], s[8:9]
	s_or_b64 exec, exec, s[6:7]
	s_and_saveexec_b64 s[6:7], s[4:5]
	s_cbranch_execz .LBB1_15957
; %bb.17591:
	s_getpc_b64 s[14:15]
.Lpost_getpc4699:
	s_add_u32 s14, s14, (.LBB1_3747-.Lpost_getpc4699)&4294967295
	s_addc_u32 s15, s15, (.LBB1_3747-.Lpost_getpc4699)>>32
	s_setpc_b64 s[14:15]
.LBB1_15957:
	s_getpc_b64 s[14:15]
.Lpost_getpc3882:
	s_add_u32 s14, s14, (.LBB1_3748-.Lpost_getpc3882)&4294967295
	s_addc_u32 s15, s15, (.LBB1_3748-.Lpost_getpc3882)>>32
	s_setpc_b64 s[14:15]
.LBB1_7845:
	s_movk_i32 s4, 0x80
	v_cmp_eq_u16_sdwa s[12:13], v13, s4 src0_sel:BYTE_0 src1_sel:DWORD
	s_mov_b64 s[4:5], -1
                                        ; implicit-def: $sgpr10
	s_and_saveexec_b64 s[8:9], s[12:13]
; %bb.7846:
	s_mov_b32 s10, 0x7f800001
	s_xor_b64 s[4:5], exec, -1
; %bb.7847:
	s_or_b64 exec, exec, s[8:9]
	s_and_b64 s[4:5], s[4:5], exec
	s_or_saveexec_b64 s[6:7], s[6:7]
	v_mov_b32_e32 v12, s10
	s_xor_b64 exec, exec, s[6:7]
	s_cbranch_execnz .LBB1_7848
; %bb.17593:
	s_getpc_b64 s[14:15]
.Lpost_getpc4700:
	s_add_u32 s14, s14, (.LBB1_3750-.Lpost_getpc4700)&4294967295
	s_addc_u32 s15, s15, (.LBB1_3750-.Lpost_getpc4700)>>32
	s_setpc_b64 s[14:15]
.LBB1_7848:
	v_mov_b32_e32 v12, 0
	v_cmp_ne_u16_sdwa s[8:9], v13, v12 src0_sel:BYTE_0 src1_sel:DWORD
	s_andn2_b64 s[4:5], s[4:5], exec
	s_and_b64 s[8:9], s[8:9], exec
	s_or_b64 s[4:5], s[4:5], s[8:9]
	s_or_b64 exec, exec, s[6:7]
	s_and_saveexec_b64 s[6:7], s[4:5]
	s_cbranch_execz .LBB1_15959
; %bb.17595:
	s_getpc_b64 s[14:15]
.Lpost_getpc4701:
	s_add_u32 s14, s14, (.LBB1_3751-.Lpost_getpc4701)&4294967295
	s_addc_u32 s15, s15, (.LBB1_3751-.Lpost_getpc4701)>>32
	s_setpc_b64 s[14:15]
.LBB1_15959:
	s_getpc_b64 s[14:15]
.Lpost_getpc3883:
	s_add_u32 s14, s14, (.LBB1_3752-.Lpost_getpc3883)&4294967295
	s_addc_u32 s15, s15, (.LBB1_3752-.Lpost_getpc3883)>>32
	s_setpc_b64 s[14:15]
.LBB1_7849:
	s_movk_i32 s4, 0x80
	v_cmp_eq_u16_sdwa s[12:13], v12, s4 src0_sel:BYTE_0 src1_sel:DWORD
	s_mov_b64 s[4:5], -1
                                        ; implicit-def: $sgpr10
	s_and_saveexec_b64 s[8:9], s[12:13]
; %bb.7850:
	s_mov_b32 s10, 0x7f800001
	s_xor_b64 s[4:5], exec, -1
; %bb.7851:
	s_or_b64 exec, exec, s[8:9]
	s_and_b64 s[4:5], s[4:5], exec
	s_or_saveexec_b64 s[6:7], s[6:7]
	v_mov_b32_e32 v3, s10
	s_xor_b64 exec, exec, s[6:7]
	s_cbranch_execnz .LBB1_7852
; %bb.17597:
	s_getpc_b64 s[14:15]
.Lpost_getpc4702:
	s_add_u32 s14, s14, (.LBB1_3754-.Lpost_getpc4702)&4294967295
	s_addc_u32 s15, s15, (.LBB1_3754-.Lpost_getpc4702)>>32
	s_setpc_b64 s[14:15]
.LBB1_7852:
	v_mov_b32_e32 v3, 0
	v_cmp_ne_u16_sdwa s[8:9], v12, v3 src0_sel:BYTE_0 src1_sel:DWORD
	s_andn2_b64 s[4:5], s[4:5], exec
	s_and_b64 s[8:9], s[8:9], exec
	s_or_b64 s[4:5], s[4:5], s[8:9]
	s_or_b64 exec, exec, s[6:7]
	s_and_saveexec_b64 s[6:7], s[4:5]
	s_cbranch_execz .LBB1_15961
; %bb.17599:
	s_getpc_b64 s[14:15]
.Lpost_getpc4703:
	s_add_u32 s14, s14, (.LBB1_3755-.Lpost_getpc4703)&4294967295
	s_addc_u32 s15, s15, (.LBB1_3755-.Lpost_getpc4703)>>32
	s_setpc_b64 s[14:15]
.LBB1_15961:
	s_getpc_b64 s[14:15]
.Lpost_getpc3884:
	s_add_u32 s14, s14, (.LBB1_3756-.Lpost_getpc3884)&4294967295
	s_addc_u32 s15, s15, (.LBB1_3756-.Lpost_getpc3884)>>32
	s_setpc_b64 s[14:15]
.LBB1_7853:
	s_movk_i32 s4, 0x80
	v_cmp_eq_u16_sdwa s[12:13], v12, s4 src0_sel:BYTE_0 src1_sel:DWORD
	s_mov_b64 s[4:5], -1
                                        ; implicit-def: $sgpr10
	s_and_saveexec_b64 s[8:9], s[12:13]
; %bb.7854:
	s_mov_b32 s10, 0x7f800001
	s_xor_b64 s[4:5], exec, -1
; %bb.7855:
	s_or_b64 exec, exec, s[8:9]
	s_and_b64 s[4:5], s[4:5], exec
	s_or_saveexec_b64 s[6:7], s[6:7]
	v_mov_b32_e32 v16, s10
	s_xor_b64 exec, exec, s[6:7]
	s_cbranch_execnz .LBB1_7856
; %bb.17601:
	s_getpc_b64 s[14:15]
.Lpost_getpc4704:
	s_add_u32 s14, s14, (.LBB1_3758-.Lpost_getpc4704)&4294967295
	s_addc_u32 s15, s15, (.LBB1_3758-.Lpost_getpc4704)>>32
	s_setpc_b64 s[14:15]
.LBB1_7856:
	v_mov_b32_e32 v16, 0
	v_cmp_ne_u16_sdwa s[8:9], v12, v16 src0_sel:BYTE_0 src1_sel:DWORD
	s_andn2_b64 s[4:5], s[4:5], exec
	s_and_b64 s[8:9], s[8:9], exec
	s_or_b64 s[4:5], s[4:5], s[8:9]
	s_or_b64 exec, exec, s[6:7]
	s_and_saveexec_b64 s[6:7], s[4:5]
	s_cbranch_execz .LBB1_15963
; %bb.17603:
	s_getpc_b64 s[14:15]
.Lpost_getpc4705:
	s_add_u32 s14, s14, (.LBB1_3759-.Lpost_getpc4705)&4294967295
	s_addc_u32 s15, s15, (.LBB1_3759-.Lpost_getpc4705)>>32
	s_setpc_b64 s[14:15]
.LBB1_15963:
	s_getpc_b64 s[14:15]
.Lpost_getpc3885:
	s_add_u32 s14, s14, (.LBB1_3760-.Lpost_getpc3885)&4294967295
	s_addc_u32 s15, s15, (.LBB1_3760-.Lpost_getpc3885)>>32
	s_setpc_b64 s[14:15]
.LBB1_7857:
	s_movk_i32 s4, 0x80
	v_cmp_eq_u16_e32 vcc, s4, v12
	s_mov_b64 s[4:5], -1
                                        ; implicit-def: $sgpr10
	s_and_saveexec_b64 s[8:9], vcc
; %bb.7858:
	s_mov_b32 s10, 0x7f800001
	s_xor_b64 s[4:5], exec, -1
; %bb.7859:
	s_or_b64 exec, exec, s[8:9]
	s_and_b64 s[4:5], s[4:5], exec
                                        ; implicit-def: $vgpr12
	s_or_saveexec_b64 s[6:7], s[6:7]
	v_mov_b32_e32 v3, s10
	s_xor_b64 exec, exec, s[6:7]
	s_cbranch_execnz .LBB1_7860
; %bb.17605:
	s_getpc_b64 s[14:15]
.Lpost_getpc4706:
	s_add_u32 s14, s14, (.LBB1_3762-.Lpost_getpc4706)&4294967295
	s_addc_u32 s15, s15, (.LBB1_3762-.Lpost_getpc4706)>>32
	s_setpc_b64 s[14:15]
.LBB1_7860:
	v_cmp_ne_u16_e32 vcc, 0, v12
	s_andn2_b64 s[4:5], s[4:5], exec
	s_and_b64 s[8:9], vcc, exec
	v_mov_b32_e32 v3, 0
	s_or_b64 s[4:5], s[4:5], s[8:9]
	s_or_b64 exec, exec, s[6:7]
	s_and_saveexec_b64 s[6:7], s[4:5]
	s_cbranch_execz .LBB1_15965
; %bb.17607:
	s_getpc_b64 s[14:15]
.Lpost_getpc4707:
	s_add_u32 s14, s14, (.LBB1_3763-.Lpost_getpc4707)&4294967295
	s_addc_u32 s15, s15, (.LBB1_3763-.Lpost_getpc4707)>>32
	s_setpc_b64 s[14:15]
.LBB1_15965:
	s_getpc_b64 s[14:15]
.Lpost_getpc3886:
	s_add_u32 s14, s14, (.LBB1_3764-.Lpost_getpc3886)&4294967295
	s_addc_u32 s15, s15, (.LBB1_3764-.Lpost_getpc3886)>>32
	s_setpc_b64 s[14:15]
.LBB1_7861:
	s_movk_i32 s4, 0x80
	v_cmp_eq_u16_e32 vcc, s4, v12
	s_mov_b64 s[4:5], -1
                                        ; implicit-def: $sgpr10
	s_and_saveexec_b64 s[8:9], vcc
; %bb.7862:
	s_mov_b32 s10, 0x7f800001
	s_xor_b64 s[4:5], exec, -1
; %bb.7863:
	s_or_b64 exec, exec, s[8:9]
	s_and_b64 s[4:5], s[4:5], exec
                                        ; implicit-def: $vgpr12
	s_or_saveexec_b64 s[6:7], s[6:7]
	v_mov_b32_e32 v16, s10
	s_xor_b64 exec, exec, s[6:7]
	s_cbranch_execnz .LBB1_7864
; %bb.17609:
	s_getpc_b64 s[14:15]
.Lpost_getpc4708:
	s_add_u32 s14, s14, (.LBB1_3766-.Lpost_getpc4708)&4294967295
	s_addc_u32 s15, s15, (.LBB1_3766-.Lpost_getpc4708)>>32
	s_setpc_b64 s[14:15]
.LBB1_7864:
	v_cmp_ne_u16_e32 vcc, 0, v12
	s_andn2_b64 s[4:5], s[4:5], exec
	s_and_b64 s[8:9], vcc, exec
	v_mov_b32_e32 v16, 0
	s_or_b64 s[4:5], s[4:5], s[8:9]
	s_or_b64 exec, exec, s[6:7]
	s_and_saveexec_b64 s[6:7], s[4:5]
	s_cbranch_execz .LBB1_15967
; %bb.17611:
	s_getpc_b64 s[14:15]
.Lpost_getpc4709:
	s_add_u32 s14, s14, (.LBB1_3767-.Lpost_getpc4709)&4294967295
	s_addc_u32 s15, s15, (.LBB1_3767-.Lpost_getpc4709)>>32
	s_setpc_b64 s[14:15]
.LBB1_15967:
	s_getpc_b64 s[14:15]
.Lpost_getpc3887:
	s_add_u32 s14, s14, (.LBB1_3768-.Lpost_getpc3887)&4294967295
	s_addc_u32 s15, s15, (.LBB1_3768-.Lpost_getpc3887)>>32
	s_setpc_b64 s[14:15]
.LBB1_7865:
	s_movk_i32 s4, 0x80
	v_cmp_eq_u16_sdwa s[12:13], v17, s4 src0_sel:BYTE_3 src1_sel:DWORD
	s_mov_b64 s[4:5], -1
                                        ; implicit-def: $sgpr10
	s_and_saveexec_b64 s[8:9], s[12:13]
; %bb.7866:
	s_mov_b32 s10, 0x7f800001
	s_xor_b64 s[4:5], exec, -1
; %bb.7867:
	s_or_b64 exec, exec, s[8:9]
	s_and_b64 s[4:5], s[4:5], exec
	s_or_saveexec_b64 s[6:7], s[6:7]
	v_mov_b32_e32 v3, s10
	s_xor_b64 exec, exec, s[6:7]
	s_cbranch_execnz .LBB1_7868
; %bb.17613:
	s_getpc_b64 s[14:15]
.Lpost_getpc4710:
	s_add_u32 s14, s14, (.LBB1_3770-.Lpost_getpc4710)&4294967295
	s_addc_u32 s15, s15, (.LBB1_3770-.Lpost_getpc4710)>>32
	s_setpc_b64 s[14:15]
.LBB1_7868:
	v_mov_b32_e32 v3, 0
	v_cmp_ne_u16_sdwa s[8:9], v17, v3 src0_sel:BYTE_3 src1_sel:DWORD
	s_andn2_b64 s[4:5], s[4:5], exec
	s_and_b64 s[8:9], s[8:9], exec
	s_or_b64 s[4:5], s[4:5], s[8:9]
	s_or_b64 exec, exec, s[6:7]
	s_and_saveexec_b64 s[6:7], s[4:5]
	s_cbranch_execz .LBB1_15969
; %bb.17615:
	s_getpc_b64 s[14:15]
.Lpost_getpc4711:
	s_add_u32 s14, s14, (.LBB1_3771-.Lpost_getpc4711)&4294967295
	s_addc_u32 s15, s15, (.LBB1_3771-.Lpost_getpc4711)>>32
	s_setpc_b64 s[14:15]
.LBB1_15969:
	s_getpc_b64 s[14:15]
.Lpost_getpc3888:
	s_add_u32 s14, s14, (.LBB1_3772-.Lpost_getpc3888)&4294967295
	s_addc_u32 s15, s15, (.LBB1_3772-.Lpost_getpc3888)>>32
	s_setpc_b64 s[14:15]
.LBB1_7869:
	s_movk_i32 s4, 0x80
	v_cmp_eq_u16_sdwa s[12:13], v13, s4 src0_sel:BYTE_3 src1_sel:DWORD
	s_mov_b64 s[4:5], -1
                                        ; implicit-def: $sgpr10
	s_and_saveexec_b64 s[8:9], s[12:13]
; %bb.7870:
	s_mov_b32 s10, 0x7f800001
	s_xor_b64 s[4:5], exec, -1
; %bb.7871:
	s_or_b64 exec, exec, s[8:9]
	s_and_b64 s[4:5], s[4:5], exec
	s_or_saveexec_b64 s[6:7], s[6:7]
	v_mov_b32_e32 v12, s10
	s_xor_b64 exec, exec, s[6:7]
	s_cbranch_execnz .LBB1_7872
; %bb.17617:
	s_getpc_b64 s[14:15]
.Lpost_getpc4712:
	s_add_u32 s14, s14, (.LBB1_3774-.Lpost_getpc4712)&4294967295
	s_addc_u32 s15, s15, (.LBB1_3774-.Lpost_getpc4712)>>32
	s_setpc_b64 s[14:15]
.LBB1_7872:
	v_mov_b32_e32 v12, 0
	v_cmp_ne_u16_sdwa s[8:9], v13, v12 src0_sel:BYTE_3 src1_sel:DWORD
	s_andn2_b64 s[4:5], s[4:5], exec
	s_and_b64 s[8:9], s[8:9], exec
	s_or_b64 s[4:5], s[4:5], s[8:9]
	s_or_b64 exec, exec, s[6:7]
	s_and_saveexec_b64 s[6:7], s[4:5]
	s_cbranch_execz .LBB1_15971
; %bb.17619:
	s_getpc_b64 s[14:15]
.Lpost_getpc4713:
	s_add_u32 s14, s14, (.LBB1_3775-.Lpost_getpc4713)&4294967295
	s_addc_u32 s15, s15, (.LBB1_3775-.Lpost_getpc4713)>>32
	s_setpc_b64 s[14:15]
.LBB1_15971:
	s_getpc_b64 s[14:15]
.Lpost_getpc3889:
	s_add_u32 s14, s14, (.LBB1_3776-.Lpost_getpc3889)&4294967295
	s_addc_u32 s15, s15, (.LBB1_3776-.Lpost_getpc3889)>>32
	s_setpc_b64 s[14:15]
.LBB1_7873:
	s_movk_i32 s4, 0x80
	v_cmp_eq_u16_sdwa s[12:13], v18, s4 src0_sel:BYTE_0 src1_sel:DWORD
	s_mov_b64 s[4:5], -1
                                        ; implicit-def: $sgpr10
	s_and_saveexec_b64 s[8:9], s[12:13]
; %bb.7874:
	s_mov_b32 s10, 0x7f800001
	s_xor_b64 s[4:5], exec, -1
; %bb.7875:
	s_or_b64 exec, exec, s[8:9]
	s_and_b64 s[4:5], s[4:5], exec
	s_or_saveexec_b64 s[6:7], s[6:7]
	v_mov_b32_e32 v3, s10
	s_xor_b64 exec, exec, s[6:7]
	s_cbranch_execnz .LBB1_7876
; %bb.17621:
	s_getpc_b64 s[14:15]
.Lpost_getpc4714:
	s_add_u32 s14, s14, (.LBB1_3778-.Lpost_getpc4714)&4294967295
	s_addc_u32 s15, s15, (.LBB1_3778-.Lpost_getpc4714)>>32
	s_setpc_b64 s[14:15]
.LBB1_7876:
	v_mov_b32_e32 v3, 0
	v_cmp_ne_u16_sdwa s[8:9], v18, v3 src0_sel:BYTE_0 src1_sel:DWORD
	s_andn2_b64 s[4:5], s[4:5], exec
	s_and_b64 s[8:9], s[8:9], exec
	s_or_b64 s[4:5], s[4:5], s[8:9]
	s_or_b64 exec, exec, s[6:7]
	s_and_saveexec_b64 s[6:7], s[4:5]
	s_cbranch_execz .LBB1_15973
; %bb.17623:
	s_getpc_b64 s[14:15]
.Lpost_getpc4715:
	s_add_u32 s14, s14, (.LBB1_3779-.Lpost_getpc4715)&4294967295
	s_addc_u32 s15, s15, (.LBB1_3779-.Lpost_getpc4715)>>32
	s_setpc_b64 s[14:15]
.LBB1_15973:
	s_getpc_b64 s[14:15]
.Lpost_getpc3890:
	s_add_u32 s14, s14, (.LBB1_3780-.Lpost_getpc3890)&4294967295
	s_addc_u32 s15, s15, (.LBB1_3780-.Lpost_getpc3890)>>32
	s_setpc_b64 s[14:15]
.LBB1_7877:
	s_movk_i32 s4, 0x80
	v_cmp_eq_u16_sdwa s[12:13], v12, s4 src0_sel:BYTE_0 src1_sel:DWORD
	s_mov_b64 s[4:5], -1
                                        ; implicit-def: $sgpr10
	s_and_saveexec_b64 s[8:9], s[12:13]
; %bb.7878:
	s_mov_b32 s10, 0x7f800001
	s_xor_b64 s[4:5], exec, -1
; %bb.7879:
	s_or_b64 exec, exec, s[8:9]
	s_and_b64 s[4:5], s[4:5], exec
	s_or_saveexec_b64 s[6:7], s[6:7]
	v_mov_b32_e32 v13, s10
	s_xor_b64 exec, exec, s[6:7]
	s_cbranch_execnz .LBB1_7880
; %bb.17625:
	s_getpc_b64 s[14:15]
.Lpost_getpc4716:
	s_add_u32 s14, s14, (.LBB1_3782-.Lpost_getpc4716)&4294967295
	s_addc_u32 s15, s15, (.LBB1_3782-.Lpost_getpc4716)>>32
	s_setpc_b64 s[14:15]
.LBB1_7880:
	v_mov_b32_e32 v13, 0
	v_cmp_ne_u16_sdwa s[8:9], v12, v13 src0_sel:BYTE_0 src1_sel:DWORD
	s_andn2_b64 s[4:5], s[4:5], exec
	s_and_b64 s[8:9], s[8:9], exec
	s_or_b64 s[4:5], s[4:5], s[8:9]
	s_or_b64 exec, exec, s[6:7]
	v_or_b32_sdwa v2, v12, v2 dst_sel:DWORD dst_unused:UNUSED_PAD src0_sel:WORD_0 src1_sel:DWORD
	s_and_saveexec_b64 s[6:7], s[4:5]
	s_cbranch_execz .LBB1_15975
; %bb.17627:
	s_getpc_b64 s[14:15]
.Lpost_getpc4717:
	s_add_u32 s14, s14, (.LBB1_3783-.Lpost_getpc4717)&4294967295
	s_addc_u32 s15, s15, (.LBB1_3783-.Lpost_getpc4717)>>32
	s_setpc_b64 s[14:15]
.LBB1_15975:
	s_getpc_b64 s[14:15]
.Lpost_getpc3891:
	s_add_u32 s14, s14, (.LBB1_3784-.Lpost_getpc3891)&4294967295
	s_addc_u32 s15, s15, (.LBB1_3784-.Lpost_getpc3891)>>32
	s_setpc_b64 s[14:15]
.LBB1_7881:
	s_movk_i32 s4, 0x80
	v_cmp_eq_u16_sdwa s[12:13], v12, s4 src0_sel:BYTE_0 src1_sel:DWORD
	s_mov_b64 s[4:5], -1
                                        ; implicit-def: $sgpr10
	s_and_saveexec_b64 s[8:9], s[12:13]
; %bb.7882:
	s_mov_b32 s10, 0x7f800001
	s_xor_b64 s[4:5], exec, -1
; %bb.7883:
	s_or_b64 exec, exec, s[8:9]
	s_and_b64 s[4:5], s[4:5], exec
	s_or_saveexec_b64 s[6:7], s[6:7]
	v_mov_b32_e32 v3, s10
	s_xor_b64 exec, exec, s[6:7]
	s_cbranch_execnz .LBB1_7884
; %bb.17629:
	s_getpc_b64 s[14:15]
.Lpost_getpc4718:
	s_add_u32 s14, s14, (.LBB1_3786-.Lpost_getpc4718)&4294967295
	s_addc_u32 s15, s15, (.LBB1_3786-.Lpost_getpc4718)>>32
	s_setpc_b64 s[14:15]
.LBB1_7884:
	v_mov_b32_e32 v3, 0
	v_cmp_ne_u16_sdwa s[8:9], v12, v3 src0_sel:BYTE_0 src1_sel:DWORD
	s_andn2_b64 s[4:5], s[4:5], exec
	s_and_b64 s[8:9], s[8:9], exec
	s_or_b64 s[4:5], s[4:5], s[8:9]
	s_or_b64 exec, exec, s[6:7]
	s_and_saveexec_b64 s[6:7], s[4:5]
	s_cbranch_execz .LBB1_15977
; %bb.17631:
	s_getpc_b64 s[14:15]
.Lpost_getpc4719:
	s_add_u32 s14, s14, (.LBB1_3787-.Lpost_getpc4719)&4294967295
	s_addc_u32 s15, s15, (.LBB1_3787-.Lpost_getpc4719)>>32
	s_setpc_b64 s[14:15]
.LBB1_15977:
	s_getpc_b64 s[14:15]
.Lpost_getpc3892:
	s_add_u32 s14, s14, (.LBB1_3788-.Lpost_getpc3892)&4294967295
	s_addc_u32 s15, s15, (.LBB1_3788-.Lpost_getpc3892)>>32
	s_setpc_b64 s[14:15]
.LBB1_7885:
	s_movk_i32 s4, 0x80
	v_cmp_eq_u16_sdwa s[12:13], v12, s4 src0_sel:BYTE_0 src1_sel:DWORD
	s_mov_b64 s[4:5], -1
                                        ; implicit-def: $sgpr10
	s_and_saveexec_b64 s[8:9], s[12:13]
; %bb.7886:
	s_mov_b32 s10, 0x7f800001
	s_xor_b64 s[4:5], exec, -1
; %bb.7887:
	s_or_b64 exec, exec, s[8:9]
	s_and_b64 s[4:5], s[4:5], exec
	s_or_saveexec_b64 s[6:7], s[6:7]
	v_mov_b32_e32 v13, s10
	s_xor_b64 exec, exec, s[6:7]
	s_cbranch_execnz .LBB1_7888
; %bb.17633:
	s_getpc_b64 s[14:15]
.Lpost_getpc4720:
	s_add_u32 s14, s14, (.LBB1_3790-.Lpost_getpc4720)&4294967295
	s_addc_u32 s15, s15, (.LBB1_3790-.Lpost_getpc4720)>>32
	s_setpc_b64 s[14:15]
.LBB1_7888:
	v_mov_b32_e32 v13, 0
	v_cmp_ne_u16_sdwa s[8:9], v12, v13 src0_sel:BYTE_0 src1_sel:DWORD
	s_andn2_b64 s[4:5], s[4:5], exec
	s_and_b64 s[8:9], s[8:9], exec
	s_or_b64 s[4:5], s[4:5], s[8:9]
	s_or_b64 exec, exec, s[6:7]
	s_and_saveexec_b64 s[6:7], s[4:5]
	s_cbranch_execz .LBB1_15979
; %bb.17635:
	s_getpc_b64 s[14:15]
.Lpost_getpc4721:
	s_add_u32 s14, s14, (.LBB1_3791-.Lpost_getpc4721)&4294967295
	s_addc_u32 s15, s15, (.LBB1_3791-.Lpost_getpc4721)>>32
	s_setpc_b64 s[14:15]
.LBB1_15979:
	s_getpc_b64 s[14:15]
.Lpost_getpc3893:
	s_add_u32 s14, s14, (.LBB1_3792-.Lpost_getpc3893)&4294967295
	s_addc_u32 s15, s15, (.LBB1_3792-.Lpost_getpc3893)>>32
	s_setpc_b64 s[14:15]
.LBB1_7889:
	s_movk_i32 s4, 0x80
	v_cmp_eq_u16_e32 vcc, s4, v12
	s_mov_b64 s[4:5], -1
                                        ; implicit-def: $sgpr10
	s_and_saveexec_b64 s[8:9], vcc
; %bb.7890:
	s_mov_b32 s10, 0x7f800001
	s_xor_b64 s[4:5], exec, -1
; %bb.7891:
	s_or_b64 exec, exec, s[8:9]
	s_and_b64 s[4:5], s[4:5], exec
                                        ; implicit-def: $vgpr12
	s_or_saveexec_b64 s[6:7], s[6:7]
	v_mov_b32_e32 v3, s10
	s_xor_b64 exec, exec, s[6:7]
	s_cbranch_execnz .LBB1_7892
; %bb.17637:
	s_getpc_b64 s[14:15]
.Lpost_getpc4722:
	s_add_u32 s14, s14, (.LBB1_3794-.Lpost_getpc4722)&4294967295
	s_addc_u32 s15, s15, (.LBB1_3794-.Lpost_getpc4722)>>32
	s_setpc_b64 s[14:15]
.LBB1_7892:
	v_cmp_ne_u16_e32 vcc, 0, v12
	s_andn2_b64 s[4:5], s[4:5], exec
	s_and_b64 s[8:9], vcc, exec
	v_mov_b32_e32 v3, 0
	s_or_b64 s[4:5], s[4:5], s[8:9]
	s_or_b64 exec, exec, s[6:7]
	s_and_saveexec_b64 s[6:7], s[4:5]
	s_cbranch_execz .LBB1_15981
; %bb.17639:
	s_getpc_b64 s[14:15]
.Lpost_getpc4723:
	s_add_u32 s14, s14, (.LBB1_3795-.Lpost_getpc4723)&4294967295
	s_addc_u32 s15, s15, (.LBB1_3795-.Lpost_getpc4723)>>32
	s_setpc_b64 s[14:15]
.LBB1_15981:
	s_getpc_b64 s[14:15]
.Lpost_getpc3894:
	s_add_u32 s14, s14, (.LBB1_3796-.Lpost_getpc3894)&4294967295
	s_addc_u32 s15, s15, (.LBB1_3796-.Lpost_getpc3894)>>32
	s_setpc_b64 s[14:15]
.LBB1_7893:
	s_movk_i32 s4, 0x80
	v_cmp_eq_u16_e32 vcc, s4, v12
	s_mov_b64 s[4:5], -1
                                        ; implicit-def: $sgpr10
	s_and_saveexec_b64 s[8:9], vcc
; %bb.7894:
	s_mov_b32 s10, 0x7f800001
	s_xor_b64 s[4:5], exec, -1
; %bb.7895:
	s_or_b64 exec, exec, s[8:9]
	s_and_b64 s[4:5], s[4:5], exec
                                        ; implicit-def: $vgpr12
	s_or_saveexec_b64 s[6:7], s[6:7]
	v_mov_b32_e32 v13, s10
	s_xor_b64 exec, exec, s[6:7]
	s_cbranch_execnz .LBB1_7896
; %bb.17641:
	s_getpc_b64 s[14:15]
.Lpost_getpc4724:
	s_add_u32 s14, s14, (.LBB1_3798-.Lpost_getpc4724)&4294967295
	s_addc_u32 s15, s15, (.LBB1_3798-.Lpost_getpc4724)>>32
	s_setpc_b64 s[14:15]
.LBB1_7896:
	v_cmp_ne_u16_e32 vcc, 0, v12
	s_andn2_b64 s[4:5], s[4:5], exec
	s_and_b64 s[8:9], vcc, exec
	v_mov_b32_e32 v13, 0
	s_or_b64 s[4:5], s[4:5], s[8:9]
	s_or_b64 exec, exec, s[6:7]
	s_and_saveexec_b64 s[6:7], s[4:5]
	s_cbranch_execz .LBB1_15983
; %bb.17643:
	s_getpc_b64 s[14:15]
.Lpost_getpc4725:
	s_add_u32 s14, s14, (.LBB1_3799-.Lpost_getpc4725)&4294967295
	s_addc_u32 s15, s15, (.LBB1_3799-.Lpost_getpc4725)>>32
	s_setpc_b64 s[14:15]
.LBB1_15983:
	s_getpc_b64 s[14:15]
.Lpost_getpc3895:
	s_add_u32 s14, s14, (.LBB1_3800-.Lpost_getpc3895)&4294967295
	s_addc_u32 s15, s15, (.LBB1_3800-.Lpost_getpc3895)>>32
	s_setpc_b64 s[14:15]
.LBB1_7897:
	s_movk_i32 s4, 0x80
	v_cmp_eq_u16_sdwa s[12:13], v18, s4 src0_sel:BYTE_3 src1_sel:DWORD
	s_mov_b64 s[4:5], -1
                                        ; implicit-def: $sgpr10
	s_and_saveexec_b64 s[8:9], s[12:13]
; %bb.7898:
	s_mov_b32 s10, 0x7f800001
	s_xor_b64 s[4:5], exec, -1
; %bb.7899:
	s_or_b64 exec, exec, s[8:9]
	s_and_b64 s[4:5], s[4:5], exec
	s_or_saveexec_b64 s[6:7], s[6:7]
	v_mov_b32_e32 v3, s10
	s_xor_b64 exec, exec, s[6:7]
	s_cbranch_execnz .LBB1_7900
; %bb.17645:
	s_getpc_b64 s[14:15]
.Lpost_getpc4726:
	s_add_u32 s14, s14, (.LBB1_3802-.Lpost_getpc4726)&4294967295
	s_addc_u32 s15, s15, (.LBB1_3802-.Lpost_getpc4726)>>32
	s_setpc_b64 s[14:15]
.LBB1_7900:
	v_mov_b32_e32 v3, 0
	v_cmp_ne_u16_sdwa s[8:9], v18, v3 src0_sel:BYTE_3 src1_sel:DWORD
	s_andn2_b64 s[4:5], s[4:5], exec
	s_and_b64 s[8:9], s[8:9], exec
	s_or_b64 s[4:5], s[4:5], s[8:9]
	s_or_b64 exec, exec, s[6:7]
	s_and_saveexec_b64 s[6:7], s[4:5]
	s_cbranch_execz .LBB1_15985
; %bb.17647:
	s_getpc_b64 s[14:15]
.Lpost_getpc4727:
	s_add_u32 s14, s14, (.LBB1_3803-.Lpost_getpc4727)&4294967295
	s_addc_u32 s15, s15, (.LBB1_3803-.Lpost_getpc4727)>>32
	s_setpc_b64 s[14:15]
.LBB1_15985:
	s_getpc_b64 s[14:15]
.Lpost_getpc3896:
	s_add_u32 s14, s14, (.LBB1_3804-.Lpost_getpc3896)&4294967295
	s_addc_u32 s15, s15, (.LBB1_3804-.Lpost_getpc3896)>>32
	s_setpc_b64 s[14:15]
.LBB1_7901:
	s_movk_i32 s4, 0x80
	v_cmp_eq_u16_sdwa s[12:13], v2, s4 src0_sel:BYTE_3 src1_sel:DWORD
	s_mov_b64 s[4:5], -1
                                        ; implicit-def: $sgpr10
	s_and_saveexec_b64 s[8:9], s[12:13]
; %bb.7902:
	s_mov_b32 s10, 0x7f800001
	s_xor_b64 s[4:5], exec, -1
; %bb.7903:
	s_or_b64 exec, exec, s[8:9]
	s_and_b64 s[4:5], s[4:5], exec
	s_or_saveexec_b64 s[6:7], s[6:7]
	v_mov_b32_e32 v12, s10
	s_xor_b64 exec, exec, s[6:7]
	s_cbranch_execnz .LBB1_7904
; %bb.17649:
	s_getpc_b64 s[14:15]
.Lpost_getpc4728:
	s_add_u32 s14, s14, (.LBB1_3806-.Lpost_getpc4728)&4294967295
	s_addc_u32 s15, s15, (.LBB1_3806-.Lpost_getpc4728)>>32
	s_setpc_b64 s[14:15]
.LBB1_7904:
	v_mov_b32_e32 v12, 0
	v_cmp_ne_u16_sdwa s[8:9], v2, v12 src0_sel:BYTE_3 src1_sel:DWORD
	s_andn2_b64 s[4:5], s[4:5], exec
	s_and_b64 s[8:9], s[8:9], exec
	s_or_b64 s[4:5], s[4:5], s[8:9]
	s_or_b64 exec, exec, s[6:7]
	s_and_saveexec_b64 s[6:7], s[4:5]
	s_cbranch_execz .LBB1_15987
; %bb.17651:
	s_getpc_b64 s[14:15]
.Lpost_getpc4729:
	s_add_u32 s14, s14, (.LBB1_3807-.Lpost_getpc4729)&4294967295
	s_addc_u32 s15, s15, (.LBB1_3807-.Lpost_getpc4729)>>32
	s_setpc_b64 s[14:15]
.LBB1_15987:
	s_getpc_b64 s[14:15]
.Lpost_getpc3897:
	s_add_u32 s14, s14, (.LBB1_3808-.Lpost_getpc3897)&4294967295
	s_addc_u32 s15, s15, (.LBB1_3808-.Lpost_getpc3897)>>32
	s_setpc_b64 s[14:15]
.LBB1_7905:
	s_movk_i32 s4, 0x80
	v_cmp_eq_u16_sdwa s[12:13], v19, s4 src0_sel:BYTE_0 src1_sel:DWORD
	s_mov_b64 s[4:5], -1
                                        ; implicit-def: $sgpr10
	s_and_saveexec_b64 s[8:9], s[12:13]
; %bb.7906:
	s_mov_b32 s10, 0x7f800001
	s_xor_b64 s[4:5], exec, -1
; %bb.7907:
	s_or_b64 exec, exec, s[8:9]
	s_and_b64 s[4:5], s[4:5], exec
	s_or_saveexec_b64 s[6:7], s[6:7]
	v_mov_b32_e32 v2, s10
	s_xor_b64 exec, exec, s[6:7]
	s_cbranch_execnz .LBB1_7908
; %bb.17653:
	s_getpc_b64 s[14:15]
.Lpost_getpc4730:
	s_add_u32 s14, s14, (.LBB1_3810-.Lpost_getpc4730)&4294967295
	s_addc_u32 s15, s15, (.LBB1_3810-.Lpost_getpc4730)>>32
	s_setpc_b64 s[14:15]
.LBB1_7908:
	v_mov_b32_e32 v2, 0
	v_cmp_ne_u16_sdwa s[8:9], v19, v2 src0_sel:BYTE_0 src1_sel:DWORD
	s_andn2_b64 s[4:5], s[4:5], exec
	s_and_b64 s[8:9], s[8:9], exec
	s_or_b64 s[4:5], s[4:5], s[8:9]
	s_or_b64 exec, exec, s[6:7]
	s_and_saveexec_b64 s[6:7], s[4:5]
	s_cbranch_execz .LBB1_15989
; %bb.17655:
	s_getpc_b64 s[14:15]
.Lpost_getpc4731:
	s_add_u32 s14, s14, (.LBB1_3811-.Lpost_getpc4731)&4294967295
	s_addc_u32 s15, s15, (.LBB1_3811-.Lpost_getpc4731)>>32
	s_setpc_b64 s[14:15]
.LBB1_15989:
	s_getpc_b64 s[14:15]
.Lpost_getpc3898:
	s_add_u32 s14, s14, (.LBB1_3812-.Lpost_getpc3898)&4294967295
	s_addc_u32 s15, s15, (.LBB1_3812-.Lpost_getpc3898)>>32
	s_setpc_b64 s[14:15]
.LBB1_7909:
	s_movk_i32 s4, 0x80
	v_cmp_eq_u16_sdwa s[12:13], v15, s4 src0_sel:BYTE_0 src1_sel:DWORD
	s_mov_b64 s[4:5], -1
                                        ; implicit-def: $sgpr10
	s_and_saveexec_b64 s[8:9], s[12:13]
; %bb.7910:
	s_mov_b32 s10, 0x7f800001
	s_xor_b64 s[4:5], exec, -1
; %bb.7911:
	s_or_b64 exec, exec, s[8:9]
	s_and_b64 s[4:5], s[4:5], exec
	s_or_saveexec_b64 s[6:7], s[6:7]
	v_mov_b32_e32 v3, s10
	s_xor_b64 exec, exec, s[6:7]
	s_cbranch_execnz .LBB1_7912
; %bb.17657:
	s_getpc_b64 s[14:15]
.Lpost_getpc4732:
	s_add_u32 s14, s14, (.LBB1_3814-.Lpost_getpc4732)&4294967295
	s_addc_u32 s15, s15, (.LBB1_3814-.Lpost_getpc4732)>>32
	s_setpc_b64 s[14:15]
.LBB1_7912:
	v_mov_b32_e32 v3, 0
	v_cmp_ne_u16_sdwa s[8:9], v15, v3 src0_sel:BYTE_0 src1_sel:DWORD
	s_andn2_b64 s[4:5], s[4:5], exec
	s_and_b64 s[8:9], s[8:9], exec
	s_or_b64 s[4:5], s[4:5], s[8:9]
	s_or_b64 exec, exec, s[6:7]
	s_and_saveexec_b64 s[6:7], s[4:5]
	s_cbranch_execz .LBB1_15991
; %bb.17659:
	s_getpc_b64 s[14:15]
.Lpost_getpc4733:
	s_add_u32 s14, s14, (.LBB1_3815-.Lpost_getpc4733)&4294967295
	s_addc_u32 s15, s15, (.LBB1_3815-.Lpost_getpc4733)>>32
	s_setpc_b64 s[14:15]
.LBB1_15991:
	s_getpc_b64 s[14:15]
.Lpost_getpc3899:
	s_add_u32 s14, s14, (.LBB1_3816-.Lpost_getpc3899)&4294967295
	s_addc_u32 s15, s15, (.LBB1_3816-.Lpost_getpc3899)>>32
	s_setpc_b64 s[14:15]
.LBB1_7913:
	s_movk_i32 s4, 0x80
	v_cmp_eq_u16_sdwa s[12:13], v3, s4 src0_sel:BYTE_0 src1_sel:DWORD
	s_mov_b64 s[4:5], -1
                                        ; implicit-def: $sgpr10
	s_and_saveexec_b64 s[8:9], s[12:13]
; %bb.7914:
	s_mov_b32 s10, 0x7f800001
	s_xor_b64 s[4:5], exec, -1
; %bb.7915:
	s_or_b64 exec, exec, s[8:9]
	s_and_b64 s[4:5], s[4:5], exec
	s_or_saveexec_b64 s[6:7], s[6:7]
	v_mov_b32_e32 v2, s10
	s_xor_b64 exec, exec, s[6:7]
	s_cbranch_execnz .LBB1_7916
; %bb.17661:
	s_getpc_b64 s[14:15]
.Lpost_getpc4734:
	s_add_u32 s14, s14, (.LBB1_3818-.Lpost_getpc4734)&4294967295
	s_addc_u32 s15, s15, (.LBB1_3818-.Lpost_getpc4734)>>32
	s_setpc_b64 s[14:15]
.LBB1_7916:
	v_mov_b32_e32 v2, 0
	v_cmp_ne_u16_sdwa s[8:9], v3, v2 src0_sel:BYTE_0 src1_sel:DWORD
	s_andn2_b64 s[4:5], s[4:5], exec
	s_and_b64 s[8:9], s[8:9], exec
	s_or_b64 s[4:5], s[4:5], s[8:9]
	s_or_b64 exec, exec, s[6:7]
	s_and_saveexec_b64 s[6:7], s[4:5]
	s_cbranch_execz .LBB1_15993
; %bb.17663:
	s_getpc_b64 s[14:15]
.Lpost_getpc4735:
	s_add_u32 s14, s14, (.LBB1_3819-.Lpost_getpc4735)&4294967295
	s_addc_u32 s15, s15, (.LBB1_3819-.Lpost_getpc4735)>>32
	s_setpc_b64 s[14:15]
.LBB1_15993:
	s_getpc_b64 s[14:15]
.Lpost_getpc3900:
	s_add_u32 s14, s14, (.LBB1_3820-.Lpost_getpc3900)&4294967295
	s_addc_u32 s15, s15, (.LBB1_3820-.Lpost_getpc3900)>>32
	s_setpc_b64 s[14:15]
.LBB1_7917:
	s_movk_i32 s4, 0x80
	v_cmp_eq_u16_sdwa s[12:13], v3, s4 src0_sel:BYTE_0 src1_sel:DWORD
	s_mov_b64 s[4:5], -1
                                        ; implicit-def: $sgpr10
	s_and_saveexec_b64 s[8:9], s[12:13]
; %bb.7918:
	s_mov_b32 s10, 0x7f800001
	s_xor_b64 s[4:5], exec, -1
; %bb.7919:
	s_or_b64 exec, exec, s[8:9]
	s_and_b64 s[4:5], s[4:5], exec
	s_or_saveexec_b64 s[6:7], s[6:7]
	v_mov_b32_e32 v12, s10
	s_xor_b64 exec, exec, s[6:7]
	s_cbranch_execnz .LBB1_7920
; %bb.17665:
	s_getpc_b64 s[14:15]
.Lpost_getpc4736:
	s_add_u32 s14, s14, (.LBB1_3822-.Lpost_getpc4736)&4294967295
	s_addc_u32 s15, s15, (.LBB1_3822-.Lpost_getpc4736)>>32
	s_setpc_b64 s[14:15]
.LBB1_7920:
	v_mov_b32_e32 v12, 0
	v_cmp_ne_u16_sdwa s[8:9], v3, v12 src0_sel:BYTE_0 src1_sel:DWORD
	s_andn2_b64 s[4:5], s[4:5], exec
	s_and_b64 s[8:9], s[8:9], exec
	s_or_b64 s[4:5], s[4:5], s[8:9]
	s_or_b64 exec, exec, s[6:7]
	s_and_saveexec_b64 s[6:7], s[4:5]
	s_cbranch_execz .LBB1_15995
; %bb.17667:
	s_getpc_b64 s[14:15]
.Lpost_getpc4737:
	s_add_u32 s14, s14, (.LBB1_3823-.Lpost_getpc4737)&4294967295
	s_addc_u32 s15, s15, (.LBB1_3823-.Lpost_getpc4737)>>32
	s_setpc_b64 s[14:15]
.LBB1_15995:
	s_getpc_b64 s[14:15]
.Lpost_getpc3901:
	s_add_u32 s14, s14, (.LBB1_3824-.Lpost_getpc3901)&4294967295
	s_addc_u32 s15, s15, (.LBB1_3824-.Lpost_getpc3901)>>32
	s_setpc_b64 s[14:15]
.LBB1_7921:
	s_movk_i32 s4, 0x80
	v_cmp_eq_u16_e32 vcc, s4, v3
	s_mov_b64 s[4:5], -1
                                        ; implicit-def: $sgpr10
	s_and_saveexec_b64 s[8:9], vcc
; %bb.7922:
	s_mov_b32 s10, 0x7f800001
	s_xor_b64 s[4:5], exec, -1
; %bb.7923:
	s_or_b64 exec, exec, s[8:9]
	s_and_b64 s[4:5], s[4:5], exec
                                        ; implicit-def: $vgpr3
	s_or_saveexec_b64 s[6:7], s[6:7]
	v_mov_b32_e32 v2, s10
	s_xor_b64 exec, exec, s[6:7]
	s_cbranch_execnz .LBB1_7924
; %bb.17669:
	s_getpc_b64 s[14:15]
.Lpost_getpc4738:
	s_add_u32 s14, s14, (.LBB1_3826-.Lpost_getpc4738)&4294967295
	s_addc_u32 s15, s15, (.LBB1_3826-.Lpost_getpc4738)>>32
	s_setpc_b64 s[14:15]
.LBB1_7924:
	v_cmp_ne_u16_e32 vcc, 0, v3
	s_andn2_b64 s[4:5], s[4:5], exec
	s_and_b64 s[8:9], vcc, exec
	v_mov_b32_e32 v2, 0
	s_or_b64 s[4:5], s[4:5], s[8:9]
	s_or_b64 exec, exec, s[6:7]
	s_and_saveexec_b64 s[6:7], s[4:5]
	s_cbranch_execz .LBB1_15997
; %bb.17671:
	s_getpc_b64 s[14:15]
.Lpost_getpc4739:
	s_add_u32 s14, s14, (.LBB1_3827-.Lpost_getpc4739)&4294967295
	s_addc_u32 s15, s15, (.LBB1_3827-.Lpost_getpc4739)>>32
	s_setpc_b64 s[14:15]
.LBB1_15997:
	s_getpc_b64 s[14:15]
.Lpost_getpc3902:
	s_add_u32 s14, s14, (.LBB1_3828-.Lpost_getpc3902)&4294967295
	s_addc_u32 s15, s15, (.LBB1_3828-.Lpost_getpc3902)>>32
	s_setpc_b64 s[14:15]
.LBB1_7925:
	s_movk_i32 s4, 0x80
	v_cmp_eq_u16_e32 vcc, s4, v3
	s_mov_b64 s[4:5], -1
                                        ; implicit-def: $sgpr10
	s_and_saveexec_b64 s[8:9], vcc
; %bb.7926:
	s_mov_b32 s10, 0x7f800001
	s_xor_b64 s[4:5], exec, -1
; %bb.7927:
	s_or_b64 exec, exec, s[8:9]
	s_and_b64 s[4:5], s[4:5], exec
                                        ; implicit-def: $vgpr3
	s_or_saveexec_b64 s[6:7], s[6:7]
	v_mov_b32_e32 v12, s10
	s_xor_b64 exec, exec, s[6:7]
	s_cbranch_execnz .LBB1_7928
; %bb.17673:
	s_getpc_b64 s[14:15]
.Lpost_getpc4740:
	s_add_u32 s14, s14, (.LBB1_3830-.Lpost_getpc4740)&4294967295
	s_addc_u32 s15, s15, (.LBB1_3830-.Lpost_getpc4740)>>32
	s_setpc_b64 s[14:15]
.LBB1_7928:
	v_cmp_ne_u16_e32 vcc, 0, v3
	s_andn2_b64 s[4:5], s[4:5], exec
	s_and_b64 s[8:9], vcc, exec
	v_mov_b32_e32 v12, 0
	s_or_b64 s[4:5], s[4:5], s[8:9]
	s_or_b64 exec, exec, s[6:7]
	s_and_saveexec_b64 s[6:7], s[4:5]
	s_cbranch_execz .LBB1_15999
; %bb.17675:
	s_getpc_b64 s[14:15]
.Lpost_getpc4741:
	s_add_u32 s14, s14, (.LBB1_3831-.Lpost_getpc4741)&4294967295
	s_addc_u32 s15, s15, (.LBB1_3831-.Lpost_getpc4741)>>32
	s_setpc_b64 s[14:15]
.LBB1_15999:
	s_getpc_b64 s[14:15]
.Lpost_getpc3903:
	s_add_u32 s14, s14, (.LBB1_3832-.Lpost_getpc3903)&4294967295
	s_addc_u32 s15, s15, (.LBB1_3832-.Lpost_getpc3903)>>32
	s_setpc_b64 s[14:15]
.LBB1_7929:
	s_movk_i32 s4, 0x80
	v_cmp_eq_u16_sdwa s[12:13], v19, s4 src0_sel:BYTE_3 src1_sel:DWORD
	s_mov_b64 s[4:5], -1
                                        ; implicit-def: $sgpr10
	s_and_saveexec_b64 s[8:9], s[12:13]
; %bb.7930:
	s_mov_b32 s10, 0x7f800001
	s_xor_b64 s[4:5], exec, -1
; %bb.7931:
	s_or_b64 exec, exec, s[8:9]
	s_and_b64 s[4:5], s[4:5], exec
	s_or_saveexec_b64 s[6:7], s[6:7]
	v_mov_b32_e32 v2, s10
	s_xor_b64 exec, exec, s[6:7]
	s_cbranch_execnz .LBB1_7932
; %bb.17677:
	s_getpc_b64 s[14:15]
.Lpost_getpc4742:
	s_add_u32 s14, s14, (.LBB1_3834-.Lpost_getpc4742)&4294967295
	s_addc_u32 s15, s15, (.LBB1_3834-.Lpost_getpc4742)>>32
	s_setpc_b64 s[14:15]
.LBB1_7932:
	v_mov_b32_e32 v2, 0
	v_cmp_ne_u16_sdwa s[8:9], v19, v2 src0_sel:BYTE_3 src1_sel:DWORD
	s_andn2_b64 s[4:5], s[4:5], exec
	s_and_b64 s[8:9], s[8:9], exec
	s_or_b64 s[4:5], s[4:5], s[8:9]
	s_or_b64 exec, exec, s[6:7]
	s_and_saveexec_b64 s[6:7], s[4:5]
	s_cbranch_execz .LBB1_16001
; %bb.17679:
	s_getpc_b64 s[14:15]
.Lpost_getpc4743:
	s_add_u32 s14, s14, (.LBB1_3835-.Lpost_getpc4743)&4294967295
	s_addc_u32 s15, s15, (.LBB1_3835-.Lpost_getpc4743)>>32
	s_setpc_b64 s[14:15]
.LBB1_16001:
	s_getpc_b64 s[14:15]
.Lpost_getpc3904:
	s_add_u32 s14, s14, (.LBB1_3836-.Lpost_getpc3904)&4294967295
	s_addc_u32 s15, s15, (.LBB1_3836-.Lpost_getpc3904)>>32
	s_setpc_b64 s[14:15]
.LBB1_7933:
	s_movk_i32 s4, 0x80
	v_cmp_eq_u16_sdwa s[12:13], v15, s4 src0_sel:BYTE_3 src1_sel:DWORD
	s_mov_b64 s[4:5], -1
                                        ; implicit-def: $sgpr10
	s_and_saveexec_b64 s[8:9], s[12:13]
; %bb.7934:
	s_mov_b32 s10, 0x7f800001
	s_xor_b64 s[4:5], exec, -1
; %bb.7935:
	s_or_b64 exec, exec, s[8:9]
	s_and_b64 s[4:5], s[4:5], exec
	s_or_saveexec_b64 s[6:7], s[6:7]
	v_mov_b32_e32 v3, s10
	s_xor_b64 exec, exec, s[6:7]
	s_cbranch_execnz .LBB1_7936
; %bb.17681:
	s_getpc_b64 s[14:15]
.Lpost_getpc4744:
	s_add_u32 s14, s14, (.LBB1_3838-.Lpost_getpc4744)&4294967295
	s_addc_u32 s15, s15, (.LBB1_3838-.Lpost_getpc4744)>>32
	s_setpc_b64 s[14:15]
.LBB1_7936:
	v_mov_b32_e32 v3, 0
	v_cmp_ne_u16_sdwa s[8:9], v15, v3 src0_sel:BYTE_3 src1_sel:DWORD
	s_andn2_b64 s[4:5], s[4:5], exec
	s_and_b64 s[8:9], s[8:9], exec
	s_or_b64 s[4:5], s[4:5], s[8:9]
	s_or_b64 exec, exec, s[6:7]
	s_and_saveexec_b64 s[6:7], s[4:5]
	s_cbranch_execz .LBB1_16003
; %bb.17683:
	s_getpc_b64 s[14:15]
.Lpost_getpc4745:
	s_add_u32 s14, s14, (.LBB1_3839-.Lpost_getpc4745)&4294967295
	s_addc_u32 s15, s15, (.LBB1_3839-.Lpost_getpc4745)>>32
	s_setpc_b64 s[14:15]
.LBB1_16003:
	s_getpc_b64 s[14:15]
.Lpost_getpc3905:
	s_add_u32 s14, s14, (.LBB1_3840-.Lpost_getpc3905)&4294967295
	s_addc_u32 s15, s15, (.LBB1_3840-.Lpost_getpc3905)>>32
	s_setpc_b64 s[14:15]
.LBB1_7937:
	s_movk_i32 s4, 0x80
	v_cmp_eq_u16_sdwa s[12:13], v16, s4 src0_sel:BYTE_0 src1_sel:DWORD
	s_mov_b64 s[4:5], -1
                                        ; implicit-def: $sgpr10
	s_and_saveexec_b64 s[8:9], s[12:13]
; %bb.7938:
	s_mov_b32 s10, 0x7f800001
	s_xor_b64 s[4:5], exec, -1
; %bb.7939:
	s_or_b64 exec, exec, s[8:9]
	s_and_b64 s[4:5], s[4:5], exec
	s_or_saveexec_b64 s[6:7], s[6:7]
	v_mov_b32_e32 v3, s10
	s_xor_b64 exec, exec, s[6:7]
	s_cbranch_execnz .LBB1_7940
; %bb.17685:
	s_getpc_b64 s[14:15]
.Lpost_getpc4746:
	s_add_u32 s14, s14, (.LBB1_3842-.Lpost_getpc4746)&4294967295
	s_addc_u32 s15, s15, (.LBB1_3842-.Lpost_getpc4746)>>32
	s_setpc_b64 s[14:15]
.LBB1_7940:
	v_mov_b32_e32 v3, 0
	v_cmp_ne_u16_sdwa s[8:9], v16, v3 src0_sel:BYTE_0 src1_sel:DWORD
	s_andn2_b64 s[4:5], s[4:5], exec
	s_and_b64 s[8:9], s[8:9], exec
	s_or_b64 s[4:5], s[4:5], s[8:9]
	s_or_b64 exec, exec, s[6:7]
	s_and_saveexec_b64 s[6:7], s[4:5]
	s_cbranch_execz .LBB1_16005
; %bb.17687:
	s_getpc_b64 s[14:15]
.Lpost_getpc4747:
	s_add_u32 s14, s14, (.LBB1_3843-.Lpost_getpc4747)&4294967295
	s_addc_u32 s15, s15, (.LBB1_3843-.Lpost_getpc4747)>>32
	s_setpc_b64 s[14:15]
.LBB1_16005:
	s_getpc_b64 s[14:15]
.Lpost_getpc3906:
	s_add_u32 s14, s14, (.LBB1_3844-.Lpost_getpc3906)&4294967295
	s_addc_u32 s15, s15, (.LBB1_3844-.Lpost_getpc3906)>>32
	s_setpc_b64 s[14:15]
.LBB1_7941:
	s_movk_i32 s4, 0x80
	v_cmp_eq_u16_sdwa s[12:13], v12, s4 src0_sel:BYTE_0 src1_sel:DWORD
	s_mov_b64 s[4:5], -1
                                        ; implicit-def: $sgpr10
	s_and_saveexec_b64 s[8:9], s[12:13]
; %bb.7942:
	s_mov_b32 s10, 0x7f800001
	s_xor_b64 s[4:5], exec, -1
; %bb.7943:
	s_or_b64 exec, exec, s[8:9]
	s_and_b64 s[4:5], s[4:5], exec
	s_or_saveexec_b64 s[6:7], s[6:7]
	v_mov_b32_e32 v20, s10
	s_xor_b64 exec, exec, s[6:7]
	s_cbranch_execnz .LBB1_7944
; %bb.17689:
	s_getpc_b64 s[14:15]
.Lpost_getpc4748:
	s_add_u32 s14, s14, (.LBB1_3846-.Lpost_getpc4748)&4294967295
	s_addc_u32 s15, s15, (.LBB1_3846-.Lpost_getpc4748)>>32
	s_setpc_b64 s[14:15]
.LBB1_7944:
	v_mov_b32_e32 v20, 0
	v_cmp_ne_u16_sdwa s[8:9], v12, v20 src0_sel:BYTE_0 src1_sel:DWORD
	s_andn2_b64 s[4:5], s[4:5], exec
	s_and_b64 s[8:9], s[8:9], exec
	s_or_b64 s[4:5], s[4:5], s[8:9]
	s_or_b64 exec, exec, s[6:7]
	s_and_saveexec_b64 s[6:7], s[4:5]
	s_cbranch_execz .LBB1_16007
; %bb.17691:
	s_getpc_b64 s[14:15]
.Lpost_getpc4749:
	s_add_u32 s14, s14, (.LBB1_3847-.Lpost_getpc4749)&4294967295
	s_addc_u32 s15, s15, (.LBB1_3847-.Lpost_getpc4749)>>32
	s_setpc_b64 s[14:15]
.LBB1_16007:
	s_getpc_b64 s[14:15]
.Lpost_getpc3907:
	s_add_u32 s14, s14, (.LBB1_3848-.Lpost_getpc3907)&4294967295
	s_addc_u32 s15, s15, (.LBB1_3848-.Lpost_getpc3907)>>32
	s_setpc_b64 s[14:15]
.LBB1_7945:
	s_movk_i32 s4, 0x80
	v_cmp_eq_u16_sdwa s[12:13], v20, s4 src0_sel:BYTE_0 src1_sel:DWORD
	s_mov_b64 s[4:5], -1
                                        ; implicit-def: $sgpr10
	s_and_saveexec_b64 s[8:9], s[12:13]
; %bb.7946:
	s_mov_b32 s10, 0x7f800001
	s_xor_b64 s[4:5], exec, -1
; %bb.7947:
	s_or_b64 exec, exec, s[8:9]
	s_and_b64 s[4:5], s[4:5], exec
	s_or_saveexec_b64 s[6:7], s[6:7]
	v_mov_b32_e32 v3, s10
	s_xor_b64 exec, exec, s[6:7]
	s_cbranch_execnz .LBB1_7948
; %bb.17693:
	s_getpc_b64 s[14:15]
.Lpost_getpc4750:
	s_add_u32 s14, s14, (.LBB1_3850-.Lpost_getpc4750)&4294967295
	s_addc_u32 s15, s15, (.LBB1_3850-.Lpost_getpc4750)>>32
	s_setpc_b64 s[14:15]
.LBB1_7948:
	v_mov_b32_e32 v3, 0
	v_cmp_ne_u16_sdwa s[8:9], v20, v3 src0_sel:BYTE_0 src1_sel:DWORD
	s_andn2_b64 s[4:5], s[4:5], exec
	s_and_b64 s[8:9], s[8:9], exec
	s_or_b64 s[4:5], s[4:5], s[8:9]
	s_or_b64 exec, exec, s[6:7]
	s_and_saveexec_b64 s[6:7], s[4:5]
	s_cbranch_execz .LBB1_16009
; %bb.17695:
	s_getpc_b64 s[14:15]
.Lpost_getpc4751:
	s_add_u32 s14, s14, (.LBB1_3851-.Lpost_getpc4751)&4294967295
	s_addc_u32 s15, s15, (.LBB1_3851-.Lpost_getpc4751)>>32
	s_setpc_b64 s[14:15]
.LBB1_16009:
	s_getpc_b64 s[14:15]
.Lpost_getpc3908:
	s_add_u32 s14, s14, (.LBB1_3852-.Lpost_getpc3908)&4294967295
	s_addc_u32 s15, s15, (.LBB1_3852-.Lpost_getpc3908)>>32
	s_setpc_b64 s[14:15]
.LBB1_7949:
	s_movk_i32 s4, 0x80
	v_cmp_eq_u16_sdwa s[12:13], v20, s4 src0_sel:BYTE_0 src1_sel:DWORD
	s_mov_b64 s[4:5], -1
                                        ; implicit-def: $sgpr10
	s_and_saveexec_b64 s[8:9], s[12:13]
; %bb.7950:
	s_mov_b32 s10, 0x7f800001
	s_xor_b64 s[4:5], exec, -1
; %bb.7951:
	s_or_b64 exec, exec, s[8:9]
	s_and_b64 s[4:5], s[4:5], exec
	s_or_saveexec_b64 s[6:7], s[6:7]
	v_mov_b32_e32 v21, s10
	s_xor_b64 exec, exec, s[6:7]
	s_cbranch_execnz .LBB1_7952
; %bb.17697:
	s_getpc_b64 s[14:15]
.Lpost_getpc4752:
	s_add_u32 s14, s14, (.LBB1_3854-.Lpost_getpc4752)&4294967295
	s_addc_u32 s15, s15, (.LBB1_3854-.Lpost_getpc4752)>>32
	s_setpc_b64 s[14:15]
.LBB1_7952:
	v_mov_b32_e32 v21, 0
	v_cmp_ne_u16_sdwa s[8:9], v20, v21 src0_sel:BYTE_0 src1_sel:DWORD
	s_andn2_b64 s[4:5], s[4:5], exec
	s_and_b64 s[8:9], s[8:9], exec
	s_or_b64 s[4:5], s[4:5], s[8:9]
	s_or_b64 exec, exec, s[6:7]
	s_and_saveexec_b64 s[6:7], s[4:5]
	s_cbranch_execz .LBB1_16011
; %bb.17699:
	s_getpc_b64 s[14:15]
.Lpost_getpc4753:
	s_add_u32 s14, s14, (.LBB1_3855-.Lpost_getpc4753)&4294967295
	s_addc_u32 s15, s15, (.LBB1_3855-.Lpost_getpc4753)>>32
	s_setpc_b64 s[14:15]
.LBB1_16011:
	s_getpc_b64 s[14:15]
.Lpost_getpc3909:
	s_add_u32 s14, s14, (.LBB1_3856-.Lpost_getpc3909)&4294967295
	s_addc_u32 s15, s15, (.LBB1_3856-.Lpost_getpc3909)>>32
	s_setpc_b64 s[14:15]
.LBB1_7953:
	s_movk_i32 s4, 0x80
	v_cmp_eq_u16_e32 vcc, s4, v20
	s_mov_b64 s[4:5], -1
                                        ; implicit-def: $sgpr10
	s_and_saveexec_b64 s[8:9], vcc
; %bb.7954:
	s_mov_b32 s10, 0x7f800001
	s_xor_b64 s[4:5], exec, -1
; %bb.7955:
	s_or_b64 exec, exec, s[8:9]
	s_and_b64 s[4:5], s[4:5], exec
                                        ; implicit-def: $vgpr20
	s_or_saveexec_b64 s[6:7], s[6:7]
	v_mov_b32_e32 v3, s10
	s_xor_b64 exec, exec, s[6:7]
	s_cbranch_execnz .LBB1_7956
; %bb.17701:
	s_getpc_b64 s[14:15]
.Lpost_getpc4754:
	s_add_u32 s14, s14, (.LBB1_3858-.Lpost_getpc4754)&4294967295
	s_addc_u32 s15, s15, (.LBB1_3858-.Lpost_getpc4754)>>32
	s_setpc_b64 s[14:15]
.LBB1_7956:
	v_cmp_ne_u16_e32 vcc, 0, v20
	s_andn2_b64 s[4:5], s[4:5], exec
	s_and_b64 s[8:9], vcc, exec
	v_mov_b32_e32 v3, 0
	s_or_b64 s[4:5], s[4:5], s[8:9]
	s_or_b64 exec, exec, s[6:7]
	s_and_saveexec_b64 s[6:7], s[4:5]
	s_cbranch_execz .LBB1_16013
; %bb.17703:
	s_getpc_b64 s[14:15]
.Lpost_getpc4755:
	s_add_u32 s14, s14, (.LBB1_3859-.Lpost_getpc4755)&4294967295
	s_addc_u32 s15, s15, (.LBB1_3859-.Lpost_getpc4755)>>32
	s_setpc_b64 s[14:15]
.LBB1_16013:
	s_getpc_b64 s[14:15]
.Lpost_getpc3910:
	s_add_u32 s14, s14, (.LBB1_3860-.Lpost_getpc3910)&4294967295
	s_addc_u32 s15, s15, (.LBB1_3860-.Lpost_getpc3910)>>32
	s_setpc_b64 s[14:15]
.LBB1_7957:
	s_movk_i32 s4, 0x80
	v_cmp_eq_u16_e32 vcc, s4, v20
	s_mov_b64 s[4:5], -1
                                        ; implicit-def: $sgpr10
	s_and_saveexec_b64 s[8:9], vcc
; %bb.7958:
	s_mov_b32 s10, 0x7f800001
	s_xor_b64 s[4:5], exec, -1
; %bb.7959:
	s_or_b64 exec, exec, s[8:9]
	s_and_b64 s[4:5], s[4:5], exec
                                        ; implicit-def: $vgpr20
	s_or_saveexec_b64 s[6:7], s[6:7]
	v_mov_b32_e32 v21, s10
	s_xor_b64 exec, exec, s[6:7]
	s_cbranch_execnz .LBB1_7960
; %bb.17705:
	s_getpc_b64 s[14:15]
.Lpost_getpc4756:
	s_add_u32 s14, s14, (.LBB1_3862-.Lpost_getpc4756)&4294967295
	s_addc_u32 s15, s15, (.LBB1_3862-.Lpost_getpc4756)>>32
	s_setpc_b64 s[14:15]
.LBB1_7960:
	v_cmp_ne_u16_e32 vcc, 0, v20
	s_andn2_b64 s[4:5], s[4:5], exec
	s_and_b64 s[8:9], vcc, exec
	v_mov_b32_e32 v21, 0
	s_or_b64 s[4:5], s[4:5], s[8:9]
	s_or_b64 exec, exec, s[6:7]
	s_and_saveexec_b64 s[6:7], s[4:5]
	s_cbranch_execz .LBB1_16015
; %bb.17707:
	s_getpc_b64 s[14:15]
.Lpost_getpc4757:
	s_add_u32 s14, s14, (.LBB1_3863-.Lpost_getpc4757)&4294967295
	s_addc_u32 s15, s15, (.LBB1_3863-.Lpost_getpc4757)>>32
	s_setpc_b64 s[14:15]
.LBB1_16015:
	s_getpc_b64 s[14:15]
.Lpost_getpc3911:
	s_add_u32 s14, s14, (.LBB1_3864-.Lpost_getpc3911)&4294967295
	s_addc_u32 s15, s15, (.LBB1_3864-.Lpost_getpc3911)>>32
	s_setpc_b64 s[14:15]
.LBB1_7961:
	s_movk_i32 s4, 0x80
	v_cmp_eq_u16_sdwa s[12:13], v16, s4 src0_sel:BYTE_3 src1_sel:DWORD
	s_mov_b64 s[4:5], -1
                                        ; implicit-def: $sgpr10
	s_and_saveexec_b64 s[8:9], s[12:13]
; %bb.7962:
	s_mov_b32 s10, 0x7f800001
	s_xor_b64 s[4:5], exec, -1
; %bb.7963:
	s_or_b64 exec, exec, s[8:9]
	s_and_b64 s[4:5], s[4:5], exec
	s_or_saveexec_b64 s[6:7], s[6:7]
	v_mov_b32_e32 v3, s10
	s_xor_b64 exec, exec, s[6:7]
	s_cbranch_execnz .LBB1_7964
; %bb.17709:
	s_getpc_b64 s[14:15]
.Lpost_getpc4758:
	s_add_u32 s14, s14, (.LBB1_3866-.Lpost_getpc4758)&4294967295
	s_addc_u32 s15, s15, (.LBB1_3866-.Lpost_getpc4758)>>32
	s_setpc_b64 s[14:15]
.LBB1_7964:
	v_mov_b32_e32 v3, 0
	v_cmp_ne_u16_sdwa s[8:9], v16, v3 src0_sel:BYTE_3 src1_sel:DWORD
	s_andn2_b64 s[4:5], s[4:5], exec
	s_and_b64 s[8:9], s[8:9], exec
	s_or_b64 s[4:5], s[4:5], s[8:9]
	s_or_b64 exec, exec, s[6:7]
	s_and_saveexec_b64 s[6:7], s[4:5]
	s_cbranch_execz .LBB1_16017
; %bb.17711:
	s_getpc_b64 s[14:15]
.Lpost_getpc4759:
	s_add_u32 s14, s14, (.LBB1_3867-.Lpost_getpc4759)&4294967295
	s_addc_u32 s15, s15, (.LBB1_3867-.Lpost_getpc4759)>>32
	s_setpc_b64 s[14:15]
.LBB1_16017:
	s_getpc_b64 s[14:15]
.Lpost_getpc3912:
	s_add_u32 s14, s14, (.LBB1_3868-.Lpost_getpc3912)&4294967295
	s_addc_u32 s15, s15, (.LBB1_3868-.Lpost_getpc3912)>>32
	s_setpc_b64 s[14:15]
.LBB1_7965:
	s_movk_i32 s4, 0x80
	v_cmp_eq_u16_sdwa s[12:13], v12, s4 src0_sel:BYTE_3 src1_sel:DWORD
	s_mov_b64 s[4:5], -1
                                        ; implicit-def: $sgpr10
	s_and_saveexec_b64 s[8:9], s[12:13]
; %bb.7966:
	s_mov_b32 s10, 0x7f800001
	s_xor_b64 s[4:5], exec, -1
; %bb.7967:
	s_or_b64 exec, exec, s[8:9]
	s_and_b64 s[4:5], s[4:5], exec
	s_or_saveexec_b64 s[6:7], s[6:7]
	v_mov_b32_e32 v16, s10
	s_xor_b64 exec, exec, s[6:7]
	s_cbranch_execnz .LBB1_7968
; %bb.17713:
	s_getpc_b64 s[14:15]
.Lpost_getpc4760:
	s_add_u32 s14, s14, (.LBB1_3870-.Lpost_getpc4760)&4294967295
	s_addc_u32 s15, s15, (.LBB1_3870-.Lpost_getpc4760)>>32
	s_setpc_b64 s[14:15]
.LBB1_7968:
	v_mov_b32_e32 v16, 0
	v_cmp_ne_u16_sdwa s[8:9], v12, v16 src0_sel:BYTE_3 src1_sel:DWORD
	s_andn2_b64 s[4:5], s[4:5], exec
	s_and_b64 s[8:9], s[8:9], exec
	s_or_b64 s[4:5], s[4:5], s[8:9]
	s_or_b64 exec, exec, s[6:7]
	s_and_saveexec_b64 s[6:7], s[4:5]
	s_cbranch_execz .LBB1_16019
; %bb.17715:
	s_getpc_b64 s[14:15]
.Lpost_getpc4761:
	s_add_u32 s14, s14, (.LBB1_3871-.Lpost_getpc4761)&4294967295
	s_addc_u32 s15, s15, (.LBB1_3871-.Lpost_getpc4761)>>32
	s_setpc_b64 s[14:15]
.LBB1_16019:
	s_getpc_b64 s[14:15]
.Lpost_getpc3913:
	s_add_u32 s14, s14, (.LBB1_3872-.Lpost_getpc3913)&4294967295
	s_addc_u32 s15, s15, (.LBB1_3872-.Lpost_getpc3913)>>32
	s_setpc_b64 s[14:15]
.LBB1_7969:
	s_movk_i32 s4, 0x80
	v_cmp_eq_u16_sdwa s[12:13], v17, s4 src0_sel:BYTE_0 src1_sel:DWORD
	s_mov_b64 s[4:5], -1
                                        ; implicit-def: $sgpr10
	s_and_saveexec_b64 s[8:9], s[12:13]
; %bb.7970:
	s_mov_b32 s10, 0x7f800001
	s_xor_b64 s[4:5], exec, -1
; %bb.7971:
	s_or_b64 exec, exec, s[8:9]
	s_and_b64 s[4:5], s[4:5], exec
	s_or_saveexec_b64 s[6:7], s[6:7]
	v_mov_b32_e32 v3, s10
	s_xor_b64 exec, exec, s[6:7]
	s_cbranch_execnz .LBB1_7972
; %bb.17717:
	s_getpc_b64 s[14:15]
.Lpost_getpc4762:
	s_add_u32 s14, s14, (.LBB1_3874-.Lpost_getpc4762)&4294967295
	s_addc_u32 s15, s15, (.LBB1_3874-.Lpost_getpc4762)>>32
	s_setpc_b64 s[14:15]
.LBB1_7972:
	v_mov_b32_e32 v3, 0
	v_cmp_ne_u16_sdwa s[8:9], v17, v3 src0_sel:BYTE_0 src1_sel:DWORD
	s_andn2_b64 s[4:5], s[4:5], exec
	s_and_b64 s[8:9], s[8:9], exec
	s_or_b64 s[4:5], s[4:5], s[8:9]
	s_or_b64 exec, exec, s[6:7]
	s_and_saveexec_b64 s[6:7], s[4:5]
	s_cbranch_execz .LBB1_16021
; %bb.17719:
	s_getpc_b64 s[14:15]
.Lpost_getpc4763:
	s_add_u32 s14, s14, (.LBB1_3875-.Lpost_getpc4763)&4294967295
	s_addc_u32 s15, s15, (.LBB1_3875-.Lpost_getpc4763)>>32
	s_setpc_b64 s[14:15]
.LBB1_16021:
	s_getpc_b64 s[14:15]
.Lpost_getpc3914:
	s_add_u32 s14, s14, (.LBB1_3876-.Lpost_getpc3914)&4294967295
	s_addc_u32 s15, s15, (.LBB1_3876-.Lpost_getpc3914)>>32
	s_setpc_b64 s[14:15]
.LBB1_7973:
	s_movk_i32 s4, 0x80
	v_cmp_eq_u16_sdwa s[12:13], v13, s4 src0_sel:BYTE_0 src1_sel:DWORD
	s_mov_b64 s[4:5], -1
                                        ; implicit-def: $sgpr10
	s_and_saveexec_b64 s[8:9], s[12:13]
; %bb.7974:
	s_mov_b32 s10, 0x7f800001
	s_xor_b64 s[4:5], exec, -1
; %bb.7975:
	s_or_b64 exec, exec, s[8:9]
	s_and_b64 s[4:5], s[4:5], exec
	s_or_saveexec_b64 s[6:7], s[6:7]
	v_mov_b32_e32 v12, s10
	s_xor_b64 exec, exec, s[6:7]
	s_cbranch_execnz .LBB1_7976
; %bb.17721:
	s_getpc_b64 s[14:15]
.Lpost_getpc4764:
	s_add_u32 s14, s14, (.LBB1_3878-.Lpost_getpc4764)&4294967295
	s_addc_u32 s15, s15, (.LBB1_3878-.Lpost_getpc4764)>>32
	s_setpc_b64 s[14:15]
.LBB1_7976:
	v_mov_b32_e32 v12, 0
	v_cmp_ne_u16_sdwa s[8:9], v13, v12 src0_sel:BYTE_0 src1_sel:DWORD
	s_andn2_b64 s[4:5], s[4:5], exec
	s_and_b64 s[8:9], s[8:9], exec
	s_or_b64 s[4:5], s[4:5], s[8:9]
	s_or_b64 exec, exec, s[6:7]
	s_and_saveexec_b64 s[6:7], s[4:5]
	s_cbranch_execz .LBB1_16023
; %bb.17723:
	s_getpc_b64 s[14:15]
.Lpost_getpc4765:
	s_add_u32 s14, s14, (.LBB1_3879-.Lpost_getpc4765)&4294967295
	s_addc_u32 s15, s15, (.LBB1_3879-.Lpost_getpc4765)>>32
	s_setpc_b64 s[14:15]
.LBB1_16023:
	s_getpc_b64 s[14:15]
.Lpost_getpc3915:
	s_add_u32 s14, s14, (.LBB1_3880-.Lpost_getpc3915)&4294967295
	s_addc_u32 s15, s15, (.LBB1_3880-.Lpost_getpc3915)>>32
	s_setpc_b64 s[14:15]
.LBB1_7977:
	s_movk_i32 s4, 0x80
	v_cmp_eq_u16_sdwa s[12:13], v12, s4 src0_sel:BYTE_0 src1_sel:DWORD
	s_mov_b64 s[4:5], -1
                                        ; implicit-def: $sgpr10
	s_and_saveexec_b64 s[8:9], s[12:13]
; %bb.7978:
	s_mov_b32 s10, 0x7f800001
	s_xor_b64 s[4:5], exec, -1
; %bb.7979:
	s_or_b64 exec, exec, s[8:9]
	s_and_b64 s[4:5], s[4:5], exec
	s_or_saveexec_b64 s[6:7], s[6:7]
	v_mov_b32_e32 v3, s10
	s_xor_b64 exec, exec, s[6:7]
	s_cbranch_execnz .LBB1_7980
; %bb.17725:
	s_getpc_b64 s[14:15]
.Lpost_getpc4766:
	s_add_u32 s14, s14, (.LBB1_3882-.Lpost_getpc4766)&4294967295
	s_addc_u32 s15, s15, (.LBB1_3882-.Lpost_getpc4766)>>32
	s_setpc_b64 s[14:15]
.LBB1_7980:
	v_mov_b32_e32 v3, 0
	v_cmp_ne_u16_sdwa s[8:9], v12, v3 src0_sel:BYTE_0 src1_sel:DWORD
	s_andn2_b64 s[4:5], s[4:5], exec
	s_and_b64 s[8:9], s[8:9], exec
	s_or_b64 s[4:5], s[4:5], s[8:9]
	s_or_b64 exec, exec, s[6:7]
	s_and_saveexec_b64 s[6:7], s[4:5]
	s_cbranch_execz .LBB1_16025
; %bb.17727:
	s_getpc_b64 s[14:15]
.Lpost_getpc4767:
	s_add_u32 s14, s14, (.LBB1_3883-.Lpost_getpc4767)&4294967295
	s_addc_u32 s15, s15, (.LBB1_3883-.Lpost_getpc4767)>>32
	s_setpc_b64 s[14:15]
.LBB1_16025:
	s_getpc_b64 s[14:15]
.Lpost_getpc3916:
	s_add_u32 s14, s14, (.LBB1_3884-.Lpost_getpc3916)&4294967295
	s_addc_u32 s15, s15, (.LBB1_3884-.Lpost_getpc3916)>>32
	s_setpc_b64 s[14:15]
.LBB1_7981:
	s_movk_i32 s4, 0x80
	v_cmp_eq_u16_sdwa s[12:13], v12, s4 src0_sel:BYTE_0 src1_sel:DWORD
	s_mov_b64 s[4:5], -1
                                        ; implicit-def: $sgpr10
	s_and_saveexec_b64 s[8:9], s[12:13]
; %bb.7982:
	s_mov_b32 s10, 0x7f800001
	s_xor_b64 s[4:5], exec, -1
; %bb.7983:
	s_or_b64 exec, exec, s[8:9]
	s_and_b64 s[4:5], s[4:5], exec
	s_or_saveexec_b64 s[6:7], s[6:7]
	v_mov_b32_e32 v16, s10
	s_xor_b64 exec, exec, s[6:7]
	s_cbranch_execnz .LBB1_7984
; %bb.17729:
	s_getpc_b64 s[14:15]
.Lpost_getpc4768:
	s_add_u32 s14, s14, (.LBB1_3886-.Lpost_getpc4768)&4294967295
	s_addc_u32 s15, s15, (.LBB1_3886-.Lpost_getpc4768)>>32
	s_setpc_b64 s[14:15]
.LBB1_7984:
	v_mov_b32_e32 v16, 0
	v_cmp_ne_u16_sdwa s[8:9], v12, v16 src0_sel:BYTE_0 src1_sel:DWORD
	s_andn2_b64 s[4:5], s[4:5], exec
	s_and_b64 s[8:9], s[8:9], exec
	s_or_b64 s[4:5], s[4:5], s[8:9]
	s_or_b64 exec, exec, s[6:7]
	s_and_saveexec_b64 s[6:7], s[4:5]
	s_cbranch_execz .LBB1_16027
; %bb.17731:
	s_getpc_b64 s[14:15]
.Lpost_getpc4769:
	s_add_u32 s14, s14, (.LBB1_3887-.Lpost_getpc4769)&4294967295
	s_addc_u32 s15, s15, (.LBB1_3887-.Lpost_getpc4769)>>32
	s_setpc_b64 s[14:15]
.LBB1_16027:
	s_getpc_b64 s[14:15]
.Lpost_getpc3917:
	s_add_u32 s14, s14, (.LBB1_3888-.Lpost_getpc3917)&4294967295
	s_addc_u32 s15, s15, (.LBB1_3888-.Lpost_getpc3917)>>32
	s_setpc_b64 s[14:15]
.LBB1_7985:
	s_movk_i32 s4, 0x80
	v_cmp_eq_u16_e32 vcc, s4, v12
	s_mov_b64 s[4:5], -1
                                        ; implicit-def: $sgpr10
	s_and_saveexec_b64 s[8:9], vcc
; %bb.7986:
	s_mov_b32 s10, 0x7f800001
	s_xor_b64 s[4:5], exec, -1
; %bb.7987:
	s_or_b64 exec, exec, s[8:9]
	s_and_b64 s[4:5], s[4:5], exec
                                        ; implicit-def: $vgpr12
	s_or_saveexec_b64 s[6:7], s[6:7]
	v_mov_b32_e32 v3, s10
	s_xor_b64 exec, exec, s[6:7]
	s_cbranch_execnz .LBB1_7988
; %bb.17733:
	s_getpc_b64 s[14:15]
.Lpost_getpc4770:
	s_add_u32 s14, s14, (.LBB1_3890-.Lpost_getpc4770)&4294967295
	s_addc_u32 s15, s15, (.LBB1_3890-.Lpost_getpc4770)>>32
	s_setpc_b64 s[14:15]
.LBB1_7988:
	v_cmp_ne_u16_e32 vcc, 0, v12
	s_andn2_b64 s[4:5], s[4:5], exec
	s_and_b64 s[8:9], vcc, exec
	v_mov_b32_e32 v3, 0
	s_or_b64 s[4:5], s[4:5], s[8:9]
	s_or_b64 exec, exec, s[6:7]
	s_and_saveexec_b64 s[6:7], s[4:5]
	s_cbranch_execz .LBB1_16029
; %bb.17735:
	s_getpc_b64 s[14:15]
.Lpost_getpc4771:
	s_add_u32 s14, s14, (.LBB1_3891-.Lpost_getpc4771)&4294967295
	s_addc_u32 s15, s15, (.LBB1_3891-.Lpost_getpc4771)>>32
	s_setpc_b64 s[14:15]
.LBB1_16029:
	s_getpc_b64 s[14:15]
.Lpost_getpc3918:
	s_add_u32 s14, s14, (.LBB1_3892-.Lpost_getpc3918)&4294967295
	s_addc_u32 s15, s15, (.LBB1_3892-.Lpost_getpc3918)>>32
	s_setpc_b64 s[14:15]
.LBB1_7989:
	s_movk_i32 s4, 0x80
	v_cmp_eq_u16_e32 vcc, s4, v12
	s_mov_b64 s[4:5], -1
                                        ; implicit-def: $sgpr10
	s_and_saveexec_b64 s[8:9], vcc
; %bb.7990:
	s_mov_b32 s10, 0x7f800001
	s_xor_b64 s[4:5], exec, -1
; %bb.7991:
	s_or_b64 exec, exec, s[8:9]
	s_and_b64 s[4:5], s[4:5], exec
                                        ; implicit-def: $vgpr12
	s_or_saveexec_b64 s[6:7], s[6:7]
	v_mov_b32_e32 v16, s10
	s_xor_b64 exec, exec, s[6:7]
	s_cbranch_execnz .LBB1_7992
; %bb.17737:
	s_getpc_b64 s[14:15]
.Lpost_getpc4772:
	s_add_u32 s14, s14, (.LBB1_3894-.Lpost_getpc4772)&4294967295
	s_addc_u32 s15, s15, (.LBB1_3894-.Lpost_getpc4772)>>32
	s_setpc_b64 s[14:15]
.LBB1_7992:
	v_cmp_ne_u16_e32 vcc, 0, v12
	s_andn2_b64 s[4:5], s[4:5], exec
	s_and_b64 s[8:9], vcc, exec
	v_mov_b32_e32 v16, 0
	s_or_b64 s[4:5], s[4:5], s[8:9]
	s_or_b64 exec, exec, s[6:7]
	s_and_saveexec_b64 s[6:7], s[4:5]
	s_cbranch_execz .LBB1_16031
; %bb.17739:
	s_getpc_b64 s[14:15]
.Lpost_getpc4773:
	s_add_u32 s14, s14, (.LBB1_3895-.Lpost_getpc4773)&4294967295
	s_addc_u32 s15, s15, (.LBB1_3895-.Lpost_getpc4773)>>32
	s_setpc_b64 s[14:15]
.LBB1_16031:
	s_getpc_b64 s[14:15]
.Lpost_getpc3919:
	s_add_u32 s14, s14, (.LBB1_3896-.Lpost_getpc3919)&4294967295
	s_addc_u32 s15, s15, (.LBB1_3896-.Lpost_getpc3919)>>32
	s_setpc_b64 s[14:15]
.LBB1_7993:
	s_movk_i32 s4, 0x80
	v_cmp_eq_u16_sdwa s[12:13], v17, s4 src0_sel:BYTE_3 src1_sel:DWORD
	s_mov_b64 s[4:5], -1
                                        ; implicit-def: $sgpr10
	s_and_saveexec_b64 s[8:9], s[12:13]
; %bb.7994:
	s_mov_b32 s10, 0x7f800001
	s_xor_b64 s[4:5], exec, -1
; %bb.7995:
	s_or_b64 exec, exec, s[8:9]
	s_and_b64 s[4:5], s[4:5], exec
	s_or_saveexec_b64 s[6:7], s[6:7]
	v_mov_b32_e32 v3, s10
	s_xor_b64 exec, exec, s[6:7]
	s_cbranch_execnz .LBB1_7996
; %bb.17741:
	s_getpc_b64 s[14:15]
.Lpost_getpc4774:
	s_add_u32 s14, s14, (.LBB1_3898-.Lpost_getpc4774)&4294967295
	s_addc_u32 s15, s15, (.LBB1_3898-.Lpost_getpc4774)>>32
	s_setpc_b64 s[14:15]
.LBB1_7996:
	v_mov_b32_e32 v3, 0
	v_cmp_ne_u16_sdwa s[8:9], v17, v3 src0_sel:BYTE_3 src1_sel:DWORD
	s_andn2_b64 s[4:5], s[4:5], exec
	s_and_b64 s[8:9], s[8:9], exec
	s_or_b64 s[4:5], s[4:5], s[8:9]
	s_or_b64 exec, exec, s[6:7]
	s_and_saveexec_b64 s[6:7], s[4:5]
	s_cbranch_execz .LBB1_16033
; %bb.17743:
	s_getpc_b64 s[14:15]
.Lpost_getpc4775:
	s_add_u32 s14, s14, (.LBB1_3899-.Lpost_getpc4775)&4294967295
	s_addc_u32 s15, s15, (.LBB1_3899-.Lpost_getpc4775)>>32
	s_setpc_b64 s[14:15]
.LBB1_16033:
	s_getpc_b64 s[14:15]
.Lpost_getpc3920:
	s_add_u32 s14, s14, (.LBB1_3900-.Lpost_getpc3920)&4294967295
	s_addc_u32 s15, s15, (.LBB1_3900-.Lpost_getpc3920)>>32
	s_setpc_b64 s[14:15]
.LBB1_7997:
	s_movk_i32 s4, 0x80
	v_cmp_eq_u16_sdwa s[12:13], v13, s4 src0_sel:BYTE_3 src1_sel:DWORD
	s_mov_b64 s[4:5], -1
                                        ; implicit-def: $sgpr10
	s_and_saveexec_b64 s[8:9], s[12:13]
; %bb.7998:
	s_mov_b32 s10, 0x7f800001
	s_xor_b64 s[4:5], exec, -1
; %bb.7999:
	s_or_b64 exec, exec, s[8:9]
	s_and_b64 s[4:5], s[4:5], exec
	s_or_saveexec_b64 s[6:7], s[6:7]
	v_mov_b32_e32 v12, s10
	s_xor_b64 exec, exec, s[6:7]
	s_cbranch_execnz .LBB1_8000
; %bb.17745:
	s_getpc_b64 s[14:15]
.Lpost_getpc4776:
	s_add_u32 s14, s14, (.LBB1_3902-.Lpost_getpc4776)&4294967295
	s_addc_u32 s15, s15, (.LBB1_3902-.Lpost_getpc4776)>>32
	s_setpc_b64 s[14:15]
.LBB1_8000:
	v_mov_b32_e32 v12, 0
	v_cmp_ne_u16_sdwa s[8:9], v13, v12 src0_sel:BYTE_3 src1_sel:DWORD
	s_andn2_b64 s[4:5], s[4:5], exec
	s_and_b64 s[8:9], s[8:9], exec
	s_or_b64 s[4:5], s[4:5], s[8:9]
	s_or_b64 exec, exec, s[6:7]
	s_and_saveexec_b64 s[6:7], s[4:5]
	s_cbranch_execz .LBB1_16035
; %bb.17747:
	s_getpc_b64 s[14:15]
.Lpost_getpc4777:
	s_add_u32 s14, s14, (.LBB1_3903-.Lpost_getpc4777)&4294967295
	s_addc_u32 s15, s15, (.LBB1_3903-.Lpost_getpc4777)>>32
	s_setpc_b64 s[14:15]
.LBB1_16035:
	s_getpc_b64 s[14:15]
.Lpost_getpc3921:
	s_add_u32 s14, s14, (.LBB1_3904-.Lpost_getpc3921)&4294967295
	s_addc_u32 s15, s15, (.LBB1_3904-.Lpost_getpc3921)>>32
	s_setpc_b64 s[14:15]
.LBB1_8001:
	s_movk_i32 s4, 0x80
	v_cmp_eq_u16_sdwa s[12:13], v18, s4 src0_sel:BYTE_0 src1_sel:DWORD
	s_mov_b64 s[4:5], -1
                                        ; implicit-def: $sgpr10
	s_and_saveexec_b64 s[8:9], s[12:13]
; %bb.8002:
	s_mov_b32 s10, 0x7f800001
	s_xor_b64 s[4:5], exec, -1
; %bb.8003:
	s_or_b64 exec, exec, s[8:9]
	s_and_b64 s[4:5], s[4:5], exec
	s_or_saveexec_b64 s[6:7], s[6:7]
	v_mov_b32_e32 v3, s10
	s_xor_b64 exec, exec, s[6:7]
	s_cbranch_execnz .LBB1_8004
; %bb.17749:
	s_getpc_b64 s[14:15]
.Lpost_getpc4778:
	s_add_u32 s14, s14, (.LBB1_3906-.Lpost_getpc4778)&4294967295
	s_addc_u32 s15, s15, (.LBB1_3906-.Lpost_getpc4778)>>32
	s_setpc_b64 s[14:15]
.LBB1_8004:
	v_mov_b32_e32 v3, 0
	v_cmp_ne_u16_sdwa s[8:9], v18, v3 src0_sel:BYTE_0 src1_sel:DWORD
	s_andn2_b64 s[4:5], s[4:5], exec
	s_and_b64 s[8:9], s[8:9], exec
	s_or_b64 s[4:5], s[4:5], s[8:9]
	s_or_b64 exec, exec, s[6:7]
	s_and_saveexec_b64 s[6:7], s[4:5]
	s_cbranch_execz .LBB1_16037
; %bb.17751:
	s_getpc_b64 s[14:15]
.Lpost_getpc4779:
	s_add_u32 s14, s14, (.LBB1_3907-.Lpost_getpc4779)&4294967295
	s_addc_u32 s15, s15, (.LBB1_3907-.Lpost_getpc4779)>>32
	s_setpc_b64 s[14:15]
.LBB1_16037:
	s_getpc_b64 s[14:15]
.Lpost_getpc3922:
	s_add_u32 s14, s14, (.LBB1_3908-.Lpost_getpc3922)&4294967295
	s_addc_u32 s15, s15, (.LBB1_3908-.Lpost_getpc3922)>>32
	s_setpc_b64 s[14:15]
.LBB1_8005:
	s_movk_i32 s4, 0x80
	v_cmp_eq_u16_sdwa s[12:13], v12, s4 src0_sel:BYTE_0 src1_sel:DWORD
	s_mov_b64 s[4:5], -1
                                        ; implicit-def: $sgpr10
	s_and_saveexec_b64 s[8:9], s[12:13]
; %bb.8006:
	s_mov_b32 s10, 0x7f800001
	s_xor_b64 s[4:5], exec, -1
; %bb.8007:
	s_or_b64 exec, exec, s[8:9]
	s_and_b64 s[4:5], s[4:5], exec
	s_or_saveexec_b64 s[6:7], s[6:7]
	v_mov_b32_e32 v13, s10
	s_xor_b64 exec, exec, s[6:7]
	s_cbranch_execnz .LBB1_8008
; %bb.17753:
	s_getpc_b64 s[14:15]
.Lpost_getpc4780:
	s_add_u32 s14, s14, (.LBB1_3910-.Lpost_getpc4780)&4294967295
	s_addc_u32 s15, s15, (.LBB1_3910-.Lpost_getpc4780)>>32
	s_setpc_b64 s[14:15]
.LBB1_8008:
	v_mov_b32_e32 v13, 0
	v_cmp_ne_u16_sdwa s[8:9], v12, v13 src0_sel:BYTE_0 src1_sel:DWORD
	s_andn2_b64 s[4:5], s[4:5], exec
	s_and_b64 s[8:9], s[8:9], exec
	s_or_b64 s[4:5], s[4:5], s[8:9]
	s_or_b64 exec, exec, s[6:7]
	v_or_b32_sdwa v2, v12, v2 dst_sel:DWORD dst_unused:UNUSED_PAD src0_sel:WORD_0 src1_sel:DWORD
	s_and_saveexec_b64 s[6:7], s[4:5]
	s_cbranch_execz .LBB1_16039
; %bb.17755:
	s_getpc_b64 s[14:15]
.Lpost_getpc4781:
	s_add_u32 s14, s14, (.LBB1_3911-.Lpost_getpc4781)&4294967295
	s_addc_u32 s15, s15, (.LBB1_3911-.Lpost_getpc4781)>>32
	s_setpc_b64 s[14:15]
.LBB1_16039:
	s_getpc_b64 s[14:15]
.Lpost_getpc3923:
	s_add_u32 s14, s14, (.LBB1_3912-.Lpost_getpc3923)&4294967295
	s_addc_u32 s15, s15, (.LBB1_3912-.Lpost_getpc3923)>>32
	s_setpc_b64 s[14:15]
.LBB1_8009:
	s_movk_i32 s4, 0x80
	v_cmp_eq_u16_sdwa s[12:13], v12, s4 src0_sel:BYTE_0 src1_sel:DWORD
	s_mov_b64 s[4:5], -1
                                        ; implicit-def: $sgpr10
	s_and_saveexec_b64 s[8:9], s[12:13]
; %bb.8010:
	s_mov_b32 s10, 0x7f800001
	s_xor_b64 s[4:5], exec, -1
; %bb.8011:
	s_or_b64 exec, exec, s[8:9]
	s_and_b64 s[4:5], s[4:5], exec
	s_or_saveexec_b64 s[6:7], s[6:7]
	v_mov_b32_e32 v3, s10
	s_xor_b64 exec, exec, s[6:7]
	s_cbranch_execnz .LBB1_8012
; %bb.17757:
	s_getpc_b64 s[14:15]
.Lpost_getpc4782:
	s_add_u32 s14, s14, (.LBB1_3914-.Lpost_getpc4782)&4294967295
	s_addc_u32 s15, s15, (.LBB1_3914-.Lpost_getpc4782)>>32
	s_setpc_b64 s[14:15]
.LBB1_8012:
	v_mov_b32_e32 v3, 0
	v_cmp_ne_u16_sdwa s[8:9], v12, v3 src0_sel:BYTE_0 src1_sel:DWORD
	s_andn2_b64 s[4:5], s[4:5], exec
	s_and_b64 s[8:9], s[8:9], exec
	s_or_b64 s[4:5], s[4:5], s[8:9]
	s_or_b64 exec, exec, s[6:7]
	s_and_saveexec_b64 s[6:7], s[4:5]
	s_cbranch_execz .LBB1_16041
; %bb.17759:
	s_getpc_b64 s[14:15]
.Lpost_getpc4783:
	s_add_u32 s14, s14, (.LBB1_3915-.Lpost_getpc4783)&4294967295
	s_addc_u32 s15, s15, (.LBB1_3915-.Lpost_getpc4783)>>32
	s_setpc_b64 s[14:15]
.LBB1_16041:
	s_getpc_b64 s[14:15]
.Lpost_getpc3924:
	s_add_u32 s14, s14, (.LBB1_3916-.Lpost_getpc3924)&4294967295
	s_addc_u32 s15, s15, (.LBB1_3916-.Lpost_getpc3924)>>32
	s_setpc_b64 s[14:15]
.LBB1_8013:
	s_movk_i32 s4, 0x80
	v_cmp_eq_u16_sdwa s[12:13], v12, s4 src0_sel:BYTE_0 src1_sel:DWORD
	s_mov_b64 s[4:5], -1
                                        ; implicit-def: $sgpr10
	s_and_saveexec_b64 s[8:9], s[12:13]
; %bb.8014:
	s_mov_b32 s10, 0x7f800001
	s_xor_b64 s[4:5], exec, -1
; %bb.8015:
	s_or_b64 exec, exec, s[8:9]
	s_and_b64 s[4:5], s[4:5], exec
	s_or_saveexec_b64 s[6:7], s[6:7]
	v_mov_b32_e32 v13, s10
	s_xor_b64 exec, exec, s[6:7]
	s_cbranch_execnz .LBB1_8016
; %bb.17761:
	s_getpc_b64 s[14:15]
.Lpost_getpc4784:
	s_add_u32 s14, s14, (.LBB1_3918-.Lpost_getpc4784)&4294967295
	s_addc_u32 s15, s15, (.LBB1_3918-.Lpost_getpc4784)>>32
	s_setpc_b64 s[14:15]
.LBB1_8016:
	v_mov_b32_e32 v13, 0
	v_cmp_ne_u16_sdwa s[8:9], v12, v13 src0_sel:BYTE_0 src1_sel:DWORD
	s_andn2_b64 s[4:5], s[4:5], exec
	s_and_b64 s[8:9], s[8:9], exec
	s_or_b64 s[4:5], s[4:5], s[8:9]
	s_or_b64 exec, exec, s[6:7]
	s_and_saveexec_b64 s[6:7], s[4:5]
	s_cbranch_execz .LBB1_16043
; %bb.17763:
	s_getpc_b64 s[14:15]
.Lpost_getpc4785:
	s_add_u32 s14, s14, (.LBB1_3919-.Lpost_getpc4785)&4294967295
	s_addc_u32 s15, s15, (.LBB1_3919-.Lpost_getpc4785)>>32
	s_setpc_b64 s[14:15]
.LBB1_16043:
	s_getpc_b64 s[14:15]
.Lpost_getpc3925:
	s_add_u32 s14, s14, (.LBB1_3920-.Lpost_getpc3925)&4294967295
	s_addc_u32 s15, s15, (.LBB1_3920-.Lpost_getpc3925)>>32
	s_setpc_b64 s[14:15]
.LBB1_8017:
	s_movk_i32 s4, 0x80
	v_cmp_eq_u16_e32 vcc, s4, v12
	s_mov_b64 s[4:5], -1
                                        ; implicit-def: $sgpr10
	s_and_saveexec_b64 s[8:9], vcc
; %bb.8018:
	s_mov_b32 s10, 0x7f800001
	s_xor_b64 s[4:5], exec, -1
; %bb.8019:
	s_or_b64 exec, exec, s[8:9]
	s_and_b64 s[4:5], s[4:5], exec
                                        ; implicit-def: $vgpr12
	s_or_saveexec_b64 s[6:7], s[6:7]
	v_mov_b32_e32 v3, s10
	s_xor_b64 exec, exec, s[6:7]
	s_cbranch_execnz .LBB1_8020
; %bb.17765:
	s_getpc_b64 s[14:15]
.Lpost_getpc4786:
	s_add_u32 s14, s14, (.LBB1_3922-.Lpost_getpc4786)&4294967295
	s_addc_u32 s15, s15, (.LBB1_3922-.Lpost_getpc4786)>>32
	s_setpc_b64 s[14:15]
.LBB1_8020:
	v_cmp_ne_u16_e32 vcc, 0, v12
	s_andn2_b64 s[4:5], s[4:5], exec
	s_and_b64 s[8:9], vcc, exec
	v_mov_b32_e32 v3, 0
	s_or_b64 s[4:5], s[4:5], s[8:9]
	s_or_b64 exec, exec, s[6:7]
	s_and_saveexec_b64 s[6:7], s[4:5]
	s_cbranch_execz .LBB1_16045
; %bb.17767:
	s_getpc_b64 s[14:15]
.Lpost_getpc4787:
	s_add_u32 s14, s14, (.LBB1_3923-.Lpost_getpc4787)&4294967295
	s_addc_u32 s15, s15, (.LBB1_3923-.Lpost_getpc4787)>>32
	s_setpc_b64 s[14:15]
.LBB1_16045:
	s_getpc_b64 s[14:15]
.Lpost_getpc3926:
	s_add_u32 s14, s14, (.LBB1_3924-.Lpost_getpc3926)&4294967295
	s_addc_u32 s15, s15, (.LBB1_3924-.Lpost_getpc3926)>>32
	s_setpc_b64 s[14:15]
.LBB1_8021:
	s_movk_i32 s4, 0x80
	v_cmp_eq_u16_e32 vcc, s4, v12
	s_mov_b64 s[4:5], -1
                                        ; implicit-def: $sgpr10
	s_and_saveexec_b64 s[8:9], vcc
; %bb.8022:
	s_mov_b32 s10, 0x7f800001
	s_xor_b64 s[4:5], exec, -1
; %bb.8023:
	s_or_b64 exec, exec, s[8:9]
	s_and_b64 s[4:5], s[4:5], exec
                                        ; implicit-def: $vgpr12
	s_or_saveexec_b64 s[6:7], s[6:7]
	v_mov_b32_e32 v13, s10
	s_xor_b64 exec, exec, s[6:7]
	s_cbranch_execnz .LBB1_8024
; %bb.17769:
	s_getpc_b64 s[14:15]
.Lpost_getpc4788:
	s_add_u32 s14, s14, (.LBB1_3926-.Lpost_getpc4788)&4294967295
	s_addc_u32 s15, s15, (.LBB1_3926-.Lpost_getpc4788)>>32
	s_setpc_b64 s[14:15]
.LBB1_8024:
	v_cmp_ne_u16_e32 vcc, 0, v12
	s_andn2_b64 s[4:5], s[4:5], exec
	s_and_b64 s[8:9], vcc, exec
	v_mov_b32_e32 v13, 0
	s_or_b64 s[4:5], s[4:5], s[8:9]
	s_or_b64 exec, exec, s[6:7]
	s_and_saveexec_b64 s[6:7], s[4:5]
	s_cbranch_execz .LBB1_16047
; %bb.17771:
	s_getpc_b64 s[14:15]
.Lpost_getpc4789:
	s_add_u32 s14, s14, (.LBB1_3927-.Lpost_getpc4789)&4294967295
	s_addc_u32 s15, s15, (.LBB1_3927-.Lpost_getpc4789)>>32
	s_setpc_b64 s[14:15]
.LBB1_16047:
	s_getpc_b64 s[14:15]
.Lpost_getpc3927:
	s_add_u32 s14, s14, (.LBB1_3928-.Lpost_getpc3927)&4294967295
	s_addc_u32 s15, s15, (.LBB1_3928-.Lpost_getpc3927)>>32
	s_setpc_b64 s[14:15]
.LBB1_8025:
	s_movk_i32 s4, 0x80
	v_cmp_eq_u16_sdwa s[12:13], v18, s4 src0_sel:BYTE_3 src1_sel:DWORD
	s_mov_b64 s[4:5], -1
                                        ; implicit-def: $sgpr10
	s_and_saveexec_b64 s[8:9], s[12:13]
; %bb.8026:
	s_mov_b32 s10, 0x7f800001
	s_xor_b64 s[4:5], exec, -1
; %bb.8027:
	s_or_b64 exec, exec, s[8:9]
	s_and_b64 s[4:5], s[4:5], exec
	s_or_saveexec_b64 s[6:7], s[6:7]
	v_mov_b32_e32 v3, s10
	s_xor_b64 exec, exec, s[6:7]
	s_cbranch_execnz .LBB1_8028
; %bb.17773:
	s_getpc_b64 s[14:15]
.Lpost_getpc4790:
	s_add_u32 s14, s14, (.LBB1_3930-.Lpost_getpc4790)&4294967295
	s_addc_u32 s15, s15, (.LBB1_3930-.Lpost_getpc4790)>>32
	s_setpc_b64 s[14:15]
.LBB1_8028:
	v_mov_b32_e32 v3, 0
	v_cmp_ne_u16_sdwa s[8:9], v18, v3 src0_sel:BYTE_3 src1_sel:DWORD
	s_andn2_b64 s[4:5], s[4:5], exec
	s_and_b64 s[8:9], s[8:9], exec
	s_or_b64 s[4:5], s[4:5], s[8:9]
	s_or_b64 exec, exec, s[6:7]
	s_and_saveexec_b64 s[6:7], s[4:5]
	s_cbranch_execz .LBB1_16049
; %bb.17775:
	s_getpc_b64 s[14:15]
.Lpost_getpc4791:
	s_add_u32 s14, s14, (.LBB1_3931-.Lpost_getpc4791)&4294967295
	s_addc_u32 s15, s15, (.LBB1_3931-.Lpost_getpc4791)>>32
	s_setpc_b64 s[14:15]
.LBB1_16049:
	s_getpc_b64 s[14:15]
.Lpost_getpc3928:
	s_add_u32 s14, s14, (.LBB1_3932-.Lpost_getpc3928)&4294967295
	s_addc_u32 s15, s15, (.LBB1_3932-.Lpost_getpc3928)>>32
	s_setpc_b64 s[14:15]
.LBB1_8029:
	s_movk_i32 s4, 0x80
	v_cmp_eq_u16_sdwa s[12:13], v2, s4 src0_sel:BYTE_3 src1_sel:DWORD
	s_mov_b64 s[4:5], -1
                                        ; implicit-def: $sgpr10
	s_and_saveexec_b64 s[8:9], s[12:13]
; %bb.8030:
	s_mov_b32 s10, 0x7f800001
	s_xor_b64 s[4:5], exec, -1
; %bb.8031:
	s_or_b64 exec, exec, s[8:9]
	s_and_b64 s[4:5], s[4:5], exec
	s_or_saveexec_b64 s[6:7], s[6:7]
	v_mov_b32_e32 v12, s10
	s_xor_b64 exec, exec, s[6:7]
	s_cbranch_execnz .LBB1_8032
; %bb.17777:
	s_getpc_b64 s[14:15]
.Lpost_getpc4792:
	s_add_u32 s14, s14, (.LBB1_3934-.Lpost_getpc4792)&4294967295
	s_addc_u32 s15, s15, (.LBB1_3934-.Lpost_getpc4792)>>32
	s_setpc_b64 s[14:15]
.LBB1_8032:
	v_mov_b32_e32 v12, 0
	v_cmp_ne_u16_sdwa s[8:9], v2, v12 src0_sel:BYTE_3 src1_sel:DWORD
	s_andn2_b64 s[4:5], s[4:5], exec
	s_and_b64 s[8:9], s[8:9], exec
	s_or_b64 s[4:5], s[4:5], s[8:9]
	s_or_b64 exec, exec, s[6:7]
	s_and_saveexec_b64 s[6:7], s[4:5]
	s_cbranch_execz .LBB1_16051
; %bb.17779:
	s_getpc_b64 s[14:15]
.Lpost_getpc4793:
	s_add_u32 s14, s14, (.LBB1_3935-.Lpost_getpc4793)&4294967295
	s_addc_u32 s15, s15, (.LBB1_3935-.Lpost_getpc4793)>>32
	s_setpc_b64 s[14:15]
.LBB1_16051:
	s_getpc_b64 s[14:15]
.Lpost_getpc3929:
	s_add_u32 s14, s14, (.LBB1_3936-.Lpost_getpc3929)&4294967295
	s_addc_u32 s15, s15, (.LBB1_3936-.Lpost_getpc3929)>>32
	s_setpc_b64 s[14:15]
.LBB1_8033:
	s_movk_i32 s4, 0x80
	v_cmp_eq_u16_sdwa s[12:13], v19, s4 src0_sel:BYTE_0 src1_sel:DWORD
	s_mov_b64 s[4:5], -1
                                        ; implicit-def: $sgpr10
	s_and_saveexec_b64 s[8:9], s[12:13]
; %bb.8034:
	s_mov_b32 s10, 0x7f800001
	s_xor_b64 s[4:5], exec, -1
; %bb.8035:
	s_or_b64 exec, exec, s[8:9]
	s_and_b64 s[4:5], s[4:5], exec
	s_or_saveexec_b64 s[6:7], s[6:7]
	v_mov_b32_e32 v2, s10
	s_xor_b64 exec, exec, s[6:7]
	s_cbranch_execnz .LBB1_8036
; %bb.17781:
	s_getpc_b64 s[14:15]
.Lpost_getpc4794:
	s_add_u32 s14, s14, (.LBB1_3938-.Lpost_getpc4794)&4294967295
	s_addc_u32 s15, s15, (.LBB1_3938-.Lpost_getpc4794)>>32
	s_setpc_b64 s[14:15]
.LBB1_8036:
	v_mov_b32_e32 v2, 0
	v_cmp_ne_u16_sdwa s[8:9], v19, v2 src0_sel:BYTE_0 src1_sel:DWORD
	s_andn2_b64 s[4:5], s[4:5], exec
	s_and_b64 s[8:9], s[8:9], exec
	s_or_b64 s[4:5], s[4:5], s[8:9]
	s_or_b64 exec, exec, s[6:7]
	s_and_saveexec_b64 s[6:7], s[4:5]
	s_cbranch_execz .LBB1_16053
; %bb.17783:
	s_getpc_b64 s[14:15]
.Lpost_getpc4795:
	s_add_u32 s14, s14, (.LBB1_3939-.Lpost_getpc4795)&4294967295
	s_addc_u32 s15, s15, (.LBB1_3939-.Lpost_getpc4795)>>32
	s_setpc_b64 s[14:15]
.LBB1_16053:
	s_getpc_b64 s[14:15]
.Lpost_getpc3930:
	s_add_u32 s14, s14, (.LBB1_3940-.Lpost_getpc3930)&4294967295
	s_addc_u32 s15, s15, (.LBB1_3940-.Lpost_getpc3930)>>32
	s_setpc_b64 s[14:15]
.LBB1_8037:
	s_movk_i32 s4, 0x80
	v_cmp_eq_u16_sdwa s[12:13], v15, s4 src0_sel:BYTE_0 src1_sel:DWORD
	s_mov_b64 s[4:5], -1
                                        ; implicit-def: $sgpr10
	s_and_saveexec_b64 s[8:9], s[12:13]
; %bb.8038:
	s_mov_b32 s10, 0x7f800001
	s_xor_b64 s[4:5], exec, -1
; %bb.8039:
	s_or_b64 exec, exec, s[8:9]
	s_and_b64 s[4:5], s[4:5], exec
	s_or_saveexec_b64 s[6:7], s[6:7]
	v_mov_b32_e32 v3, s10
	s_xor_b64 exec, exec, s[6:7]
	s_cbranch_execnz .LBB1_8040
; %bb.17785:
	s_getpc_b64 s[14:15]
.Lpost_getpc4796:
	s_add_u32 s14, s14, (.LBB1_3942-.Lpost_getpc4796)&4294967295
	s_addc_u32 s15, s15, (.LBB1_3942-.Lpost_getpc4796)>>32
	s_setpc_b64 s[14:15]
.LBB1_8040:
	v_mov_b32_e32 v3, 0
	v_cmp_ne_u16_sdwa s[8:9], v15, v3 src0_sel:BYTE_0 src1_sel:DWORD
	s_andn2_b64 s[4:5], s[4:5], exec
	s_and_b64 s[8:9], s[8:9], exec
	s_or_b64 s[4:5], s[4:5], s[8:9]
	s_or_b64 exec, exec, s[6:7]
	s_and_saveexec_b64 s[6:7], s[4:5]
	s_cbranch_execz .LBB1_16055
; %bb.17787:
	s_getpc_b64 s[14:15]
.Lpost_getpc4797:
	s_add_u32 s14, s14, (.LBB1_3943-.Lpost_getpc4797)&4294967295
	s_addc_u32 s15, s15, (.LBB1_3943-.Lpost_getpc4797)>>32
	s_setpc_b64 s[14:15]
.LBB1_16055:
	s_getpc_b64 s[14:15]
.Lpost_getpc3931:
	s_add_u32 s14, s14, (.LBB1_3944-.Lpost_getpc3931)&4294967295
	s_addc_u32 s15, s15, (.LBB1_3944-.Lpost_getpc3931)>>32
	s_setpc_b64 s[14:15]
.LBB1_8041:
	s_movk_i32 s4, 0x80
	v_cmp_eq_u16_sdwa s[12:13], v3, s4 src0_sel:BYTE_0 src1_sel:DWORD
	s_mov_b64 s[4:5], -1
                                        ; implicit-def: $sgpr10
	s_and_saveexec_b64 s[8:9], s[12:13]
; %bb.8042:
	s_mov_b32 s10, 0x7f800001
	s_xor_b64 s[4:5], exec, -1
; %bb.8043:
	s_or_b64 exec, exec, s[8:9]
	s_and_b64 s[4:5], s[4:5], exec
	s_or_saveexec_b64 s[6:7], s[6:7]
	v_mov_b32_e32 v2, s10
	s_xor_b64 exec, exec, s[6:7]
	s_cbranch_execnz .LBB1_8044
; %bb.17789:
	s_getpc_b64 s[14:15]
.Lpost_getpc4798:
	s_add_u32 s14, s14, (.LBB1_3946-.Lpost_getpc4798)&4294967295
	s_addc_u32 s15, s15, (.LBB1_3946-.Lpost_getpc4798)>>32
	s_setpc_b64 s[14:15]
.LBB1_8044:
	v_mov_b32_e32 v2, 0
	v_cmp_ne_u16_sdwa s[8:9], v3, v2 src0_sel:BYTE_0 src1_sel:DWORD
	s_andn2_b64 s[4:5], s[4:5], exec
	s_and_b64 s[8:9], s[8:9], exec
	s_or_b64 s[4:5], s[4:5], s[8:9]
	s_or_b64 exec, exec, s[6:7]
	s_and_saveexec_b64 s[6:7], s[4:5]
	s_cbranch_execz .LBB1_16057
; %bb.17791:
	s_getpc_b64 s[14:15]
.Lpost_getpc4799:
	s_add_u32 s14, s14, (.LBB1_3947-.Lpost_getpc4799)&4294967295
	s_addc_u32 s15, s15, (.LBB1_3947-.Lpost_getpc4799)>>32
	s_setpc_b64 s[14:15]
.LBB1_16057:
	s_getpc_b64 s[14:15]
.Lpost_getpc3932:
	s_add_u32 s14, s14, (.LBB1_3948-.Lpost_getpc3932)&4294967295
	s_addc_u32 s15, s15, (.LBB1_3948-.Lpost_getpc3932)>>32
	s_setpc_b64 s[14:15]
.LBB1_8045:
	s_movk_i32 s4, 0x80
	v_cmp_eq_u16_sdwa s[12:13], v3, s4 src0_sel:BYTE_0 src1_sel:DWORD
	s_mov_b64 s[4:5], -1
                                        ; implicit-def: $sgpr10
	s_and_saveexec_b64 s[8:9], s[12:13]
; %bb.8046:
	s_mov_b32 s10, 0x7f800001
	s_xor_b64 s[4:5], exec, -1
; %bb.8047:
	s_or_b64 exec, exec, s[8:9]
	s_and_b64 s[4:5], s[4:5], exec
	s_or_saveexec_b64 s[6:7], s[6:7]
	v_mov_b32_e32 v12, s10
	s_xor_b64 exec, exec, s[6:7]
	s_cbranch_execnz .LBB1_8048
; %bb.17793:
	s_getpc_b64 s[14:15]
.Lpost_getpc4800:
	s_add_u32 s14, s14, (.LBB1_3950-.Lpost_getpc4800)&4294967295
	s_addc_u32 s15, s15, (.LBB1_3950-.Lpost_getpc4800)>>32
	s_setpc_b64 s[14:15]
.LBB1_8048:
	v_mov_b32_e32 v12, 0
	v_cmp_ne_u16_sdwa s[8:9], v3, v12 src0_sel:BYTE_0 src1_sel:DWORD
	s_andn2_b64 s[4:5], s[4:5], exec
	s_and_b64 s[8:9], s[8:9], exec
	s_or_b64 s[4:5], s[4:5], s[8:9]
	s_or_b64 exec, exec, s[6:7]
	s_and_saveexec_b64 s[6:7], s[4:5]
	s_cbranch_execz .LBB1_16059
; %bb.17795:
	s_getpc_b64 s[14:15]
.Lpost_getpc4801:
	s_add_u32 s14, s14, (.LBB1_3951-.Lpost_getpc4801)&4294967295
	s_addc_u32 s15, s15, (.LBB1_3951-.Lpost_getpc4801)>>32
	s_setpc_b64 s[14:15]
.LBB1_16059:
	s_getpc_b64 s[14:15]
.Lpost_getpc3933:
	s_add_u32 s14, s14, (.LBB1_3952-.Lpost_getpc3933)&4294967295
	s_addc_u32 s15, s15, (.LBB1_3952-.Lpost_getpc3933)>>32
	s_setpc_b64 s[14:15]
.LBB1_8049:
	s_movk_i32 s4, 0x80
	v_cmp_eq_u16_e32 vcc, s4, v3
	s_mov_b64 s[4:5], -1
                                        ; implicit-def: $sgpr10
	s_and_saveexec_b64 s[8:9], vcc
; %bb.8050:
	s_mov_b32 s10, 0x7f800001
	s_xor_b64 s[4:5], exec, -1
; %bb.8051:
	s_or_b64 exec, exec, s[8:9]
	s_and_b64 s[4:5], s[4:5], exec
                                        ; implicit-def: $vgpr3
	s_or_saveexec_b64 s[6:7], s[6:7]
	v_mov_b32_e32 v2, s10
	s_xor_b64 exec, exec, s[6:7]
	s_cbranch_execnz .LBB1_8052
; %bb.17797:
	s_getpc_b64 s[14:15]
.Lpost_getpc4802:
	s_add_u32 s14, s14, (.LBB1_3954-.Lpost_getpc4802)&4294967295
	s_addc_u32 s15, s15, (.LBB1_3954-.Lpost_getpc4802)>>32
	s_setpc_b64 s[14:15]
.LBB1_8052:
	v_cmp_ne_u16_e32 vcc, 0, v3
	s_andn2_b64 s[4:5], s[4:5], exec
	s_and_b64 s[8:9], vcc, exec
	v_mov_b32_e32 v2, 0
	s_or_b64 s[4:5], s[4:5], s[8:9]
	s_or_b64 exec, exec, s[6:7]
	s_and_saveexec_b64 s[6:7], s[4:5]
	s_cbranch_execz .LBB1_16061
; %bb.17799:
	s_getpc_b64 s[14:15]
.Lpost_getpc4803:
	s_add_u32 s14, s14, (.LBB1_3955-.Lpost_getpc4803)&4294967295
	s_addc_u32 s15, s15, (.LBB1_3955-.Lpost_getpc4803)>>32
	s_setpc_b64 s[14:15]
.LBB1_16061:
	s_getpc_b64 s[14:15]
.Lpost_getpc3934:
	s_add_u32 s14, s14, (.LBB1_3956-.Lpost_getpc3934)&4294967295
	s_addc_u32 s15, s15, (.LBB1_3956-.Lpost_getpc3934)>>32
	s_setpc_b64 s[14:15]
.LBB1_8053:
	s_movk_i32 s4, 0x80
	v_cmp_eq_u16_e32 vcc, s4, v3
	s_mov_b64 s[4:5], -1
                                        ; implicit-def: $sgpr10
	s_and_saveexec_b64 s[8:9], vcc
; %bb.8054:
	s_mov_b32 s10, 0x7f800001
	s_xor_b64 s[4:5], exec, -1
; %bb.8055:
	s_or_b64 exec, exec, s[8:9]
	s_and_b64 s[4:5], s[4:5], exec
                                        ; implicit-def: $vgpr3
	s_or_saveexec_b64 s[6:7], s[6:7]
	v_mov_b32_e32 v12, s10
	s_xor_b64 exec, exec, s[6:7]
	s_cbranch_execnz .LBB1_8056
; %bb.17801:
	s_getpc_b64 s[14:15]
.Lpost_getpc4804:
	s_add_u32 s14, s14, (.LBB1_3958-.Lpost_getpc4804)&4294967295
	s_addc_u32 s15, s15, (.LBB1_3958-.Lpost_getpc4804)>>32
	s_setpc_b64 s[14:15]
.LBB1_8056:
	v_cmp_ne_u16_e32 vcc, 0, v3
	s_andn2_b64 s[4:5], s[4:5], exec
	s_and_b64 s[8:9], vcc, exec
	v_mov_b32_e32 v12, 0
	s_or_b64 s[4:5], s[4:5], s[8:9]
	s_or_b64 exec, exec, s[6:7]
	s_and_saveexec_b64 s[6:7], s[4:5]
	s_cbranch_execz .LBB1_16063
; %bb.17803:
	s_getpc_b64 s[14:15]
.Lpost_getpc4805:
	s_add_u32 s14, s14, (.LBB1_3959-.Lpost_getpc4805)&4294967295
	s_addc_u32 s15, s15, (.LBB1_3959-.Lpost_getpc4805)>>32
	s_setpc_b64 s[14:15]
.LBB1_16063:
	s_getpc_b64 s[14:15]
.Lpost_getpc3935:
	s_add_u32 s14, s14, (.LBB1_3960-.Lpost_getpc3935)&4294967295
	s_addc_u32 s15, s15, (.LBB1_3960-.Lpost_getpc3935)>>32
	s_setpc_b64 s[14:15]
.LBB1_8057:
	s_movk_i32 s4, 0x80
	v_cmp_eq_u16_sdwa s[12:13], v19, s4 src0_sel:BYTE_3 src1_sel:DWORD
	s_mov_b64 s[4:5], -1
                                        ; implicit-def: $sgpr10
	s_and_saveexec_b64 s[8:9], s[12:13]
; %bb.8058:
	s_mov_b32 s10, 0x7f800001
	s_xor_b64 s[4:5], exec, -1
; %bb.8059:
	s_or_b64 exec, exec, s[8:9]
	s_and_b64 s[4:5], s[4:5], exec
	s_or_saveexec_b64 s[6:7], s[6:7]
	v_mov_b32_e32 v2, s10
	s_xor_b64 exec, exec, s[6:7]
	s_cbranch_execnz .LBB1_8060
; %bb.17805:
	s_getpc_b64 s[14:15]
.Lpost_getpc4806:
	s_add_u32 s14, s14, (.LBB1_3962-.Lpost_getpc4806)&4294967295
	s_addc_u32 s15, s15, (.LBB1_3962-.Lpost_getpc4806)>>32
	s_setpc_b64 s[14:15]
.LBB1_8060:
	v_mov_b32_e32 v2, 0
	v_cmp_ne_u16_sdwa s[8:9], v19, v2 src0_sel:BYTE_3 src1_sel:DWORD
	s_andn2_b64 s[4:5], s[4:5], exec
	s_and_b64 s[8:9], s[8:9], exec
	s_or_b64 s[4:5], s[4:5], s[8:9]
	s_or_b64 exec, exec, s[6:7]
	s_and_saveexec_b64 s[6:7], s[4:5]
	s_cbranch_execz .LBB1_16065
; %bb.17807:
	s_getpc_b64 s[14:15]
.Lpost_getpc4807:
	s_add_u32 s14, s14, (.LBB1_3963-.Lpost_getpc4807)&4294967295
	s_addc_u32 s15, s15, (.LBB1_3963-.Lpost_getpc4807)>>32
	s_setpc_b64 s[14:15]
.LBB1_16065:
	s_getpc_b64 s[14:15]
.Lpost_getpc3936:
	s_add_u32 s14, s14, (.LBB1_3964-.Lpost_getpc3936)&4294967295
	s_addc_u32 s15, s15, (.LBB1_3964-.Lpost_getpc3936)>>32
	s_setpc_b64 s[14:15]
.LBB1_8061:
	s_movk_i32 s4, 0x80
	v_cmp_eq_u16_sdwa s[12:13], v15, s4 src0_sel:BYTE_3 src1_sel:DWORD
	s_mov_b64 s[4:5], -1
                                        ; implicit-def: $sgpr10
	s_and_saveexec_b64 s[8:9], s[12:13]
; %bb.8062:
	s_mov_b32 s10, 0x7f800001
	s_xor_b64 s[4:5], exec, -1
; %bb.8063:
	s_or_b64 exec, exec, s[8:9]
	s_and_b64 s[4:5], s[4:5], exec
	s_or_saveexec_b64 s[6:7], s[6:7]
	v_mov_b32_e32 v3, s10
	s_xor_b64 exec, exec, s[6:7]
	s_cbranch_execnz .LBB1_8064
; %bb.17809:
	s_getpc_b64 s[14:15]
.Lpost_getpc4808:
	s_add_u32 s14, s14, (.LBB1_3966-.Lpost_getpc4808)&4294967295
	s_addc_u32 s15, s15, (.LBB1_3966-.Lpost_getpc4808)>>32
	s_setpc_b64 s[14:15]
.LBB1_8064:
	v_mov_b32_e32 v3, 0
	v_cmp_ne_u16_sdwa s[8:9], v15, v3 src0_sel:BYTE_3 src1_sel:DWORD
	s_andn2_b64 s[4:5], s[4:5], exec
	s_and_b64 s[8:9], s[8:9], exec
	s_or_b64 s[4:5], s[4:5], s[8:9]
	s_or_b64 exec, exec, s[6:7]
	s_and_saveexec_b64 s[6:7], s[4:5]
	s_cbranch_execz .LBB1_16067
; %bb.17811:
	s_getpc_b64 s[14:15]
.Lpost_getpc4809:
	s_add_u32 s14, s14, (.LBB1_3967-.Lpost_getpc4809)&4294967295
	s_addc_u32 s15, s15, (.LBB1_3967-.Lpost_getpc4809)>>32
	s_setpc_b64 s[14:15]
.LBB1_16067:
	s_getpc_b64 s[14:15]
.Lpost_getpc3937:
	s_add_u32 s14, s14, (.LBB1_3968-.Lpost_getpc3937)&4294967295
	s_addc_u32 s15, s15, (.LBB1_3968-.Lpost_getpc3937)>>32
	s_setpc_b64 s[14:15]
.LBB1_8065:
	s_movk_i32 s4, 0x80
	v_cmp_eq_u16_sdwa s[12:13], v4, s4 src0_sel:BYTE_0 src1_sel:DWORD
	s_mov_b64 s[4:5], -1
                                        ; implicit-def: $sgpr10
	s_and_saveexec_b64 s[8:9], s[12:13]
; %bb.8066:
	s_mov_b32 s10, 0x7f800001
	s_xor_b64 s[4:5], exec, -1
; %bb.8067:
	s_or_b64 exec, exec, s[8:9]
	s_and_b64 s[4:5], s[4:5], exec
	s_or_saveexec_b64 s[6:7], s[6:7]
	v_mov_b32_e32 v8, s10
	s_xor_b64 exec, exec, s[6:7]
	s_cbranch_execnz .LBB1_8068
; %bb.17813:
	s_getpc_b64 s[14:15]
.Lpost_getpc4810:
	s_add_u32 s14, s14, (.LBB1_3970-.Lpost_getpc4810)&4294967295
	s_addc_u32 s15, s15, (.LBB1_3970-.Lpost_getpc4810)>>32
	s_setpc_b64 s[14:15]
.LBB1_8068:
	v_mov_b32_e32 v8, 0
	v_cmp_ne_u16_sdwa s[8:9], v4, v8 src0_sel:BYTE_0 src1_sel:DWORD
	s_andn2_b64 s[4:5], s[4:5], exec
	s_and_b64 s[8:9], s[8:9], exec
	s_or_b64 s[4:5], s[4:5], s[8:9]
	s_or_b64 exec, exec, s[6:7]
	s_and_saveexec_b64 s[6:7], s[4:5]
	s_cbranch_execz .LBB1_16069
; %bb.17815:
	s_getpc_b64 s[14:15]
.Lpost_getpc4811:
	s_add_u32 s14, s14, (.LBB1_3971-.Lpost_getpc4811)&4294967295
	s_addc_u32 s15, s15, (.LBB1_3971-.Lpost_getpc4811)>>32
	s_setpc_b64 s[14:15]
.LBB1_16069:
	s_getpc_b64 s[14:15]
.Lpost_getpc3938:
	s_add_u32 s14, s14, (.LBB1_3972-.Lpost_getpc3938)&4294967295
	s_addc_u32 s15, s15, (.LBB1_3972-.Lpost_getpc3938)>>32
	s_setpc_b64 s[14:15]
.LBB1_8069:
	s_movk_i32 s4, 0x80
	v_cmp_eq_u16_sdwa s[12:13], v0, s4 src0_sel:BYTE_0 src1_sel:DWORD
	s_mov_b64 s[4:5], -1
                                        ; implicit-def: $sgpr10
	s_and_saveexec_b64 s[8:9], s[12:13]
; %bb.8070:
	s_mov_b32 s10, 0x7f800001
	s_xor_b64 s[4:5], exec, -1
; %bb.8071:
	s_or_b64 exec, exec, s[8:9]
	s_and_b64 s[4:5], s[4:5], exec
	s_or_saveexec_b64 s[6:7], s[6:7]
	v_mov_b32_e32 v9, s10
	s_xor_b64 exec, exec, s[6:7]
	s_cbranch_execnz .LBB1_8072
; %bb.17817:
	s_getpc_b64 s[14:15]
.Lpost_getpc4812:
	s_add_u32 s14, s14, (.LBB1_3974-.Lpost_getpc4812)&4294967295
	s_addc_u32 s15, s15, (.LBB1_3974-.Lpost_getpc4812)>>32
	s_setpc_b64 s[14:15]
.LBB1_8072:
	v_mov_b32_e32 v9, 0
	v_cmp_ne_u16_sdwa s[8:9], v0, v9 src0_sel:BYTE_0 src1_sel:DWORD
	s_andn2_b64 s[4:5], s[4:5], exec
	s_and_b64 s[8:9], s[8:9], exec
	s_or_b64 s[4:5], s[4:5], s[8:9]
	s_or_b64 exec, exec, s[6:7]
	s_and_saveexec_b64 s[6:7], s[4:5]
	s_cbranch_execz .LBB1_16071
; %bb.17819:
	s_getpc_b64 s[14:15]
.Lpost_getpc4813:
	s_add_u32 s14, s14, (.LBB1_3975-.Lpost_getpc4813)&4294967295
	s_addc_u32 s15, s15, (.LBB1_3975-.Lpost_getpc4813)>>32
	s_setpc_b64 s[14:15]
.LBB1_16071:
	s_getpc_b64 s[14:15]
.Lpost_getpc3939:
	s_add_u32 s14, s14, (.LBB1_3976-.Lpost_getpc3939)&4294967295
	s_addc_u32 s15, s15, (.LBB1_3976-.Lpost_getpc3939)>>32
	s_setpc_b64 s[14:15]
.LBB1_8073:
	s_movk_i32 s4, 0x80
	v_cmp_eq_u16_sdwa s[12:13], v9, s4 src0_sel:BYTE_0 src1_sel:DWORD
	s_mov_b64 s[4:5], -1
                                        ; implicit-def: $sgpr10
	s_and_saveexec_b64 s[8:9], s[12:13]
; %bb.8074:
	s_mov_b32 s10, 0x7f800001
	s_xor_b64 s[4:5], exec, -1
; %bb.8075:
	s_or_b64 exec, exec, s[8:9]
	s_and_b64 s[4:5], s[4:5], exec
	s_or_saveexec_b64 s[6:7], s[6:7]
	v_mov_b32_e32 v8, s10
	s_xor_b64 exec, exec, s[6:7]
	s_cbranch_execnz .LBB1_8076
; %bb.17821:
	s_getpc_b64 s[14:15]
.Lpost_getpc4814:
	s_add_u32 s14, s14, (.LBB1_3978-.Lpost_getpc4814)&4294967295
	s_addc_u32 s15, s15, (.LBB1_3978-.Lpost_getpc4814)>>32
	s_setpc_b64 s[14:15]
.LBB1_8076:
	v_mov_b32_e32 v8, 0
	v_cmp_ne_u16_sdwa s[8:9], v9, v8 src0_sel:BYTE_0 src1_sel:DWORD
	s_andn2_b64 s[4:5], s[4:5], exec
	s_and_b64 s[8:9], s[8:9], exec
	s_or_b64 s[4:5], s[4:5], s[8:9]
	s_or_b64 exec, exec, s[6:7]
	s_and_saveexec_b64 s[6:7], s[4:5]
	s_cbranch_execz .LBB1_16073
; %bb.17823:
	s_getpc_b64 s[14:15]
.Lpost_getpc4815:
	s_add_u32 s14, s14, (.LBB1_3979-.Lpost_getpc4815)&4294967295
	s_addc_u32 s15, s15, (.LBB1_3979-.Lpost_getpc4815)>>32
	s_setpc_b64 s[14:15]
.LBB1_16073:
	s_getpc_b64 s[14:15]
.Lpost_getpc3940:
	s_add_u32 s14, s14, (.LBB1_3980-.Lpost_getpc3940)&4294967295
	s_addc_u32 s15, s15, (.LBB1_3980-.Lpost_getpc3940)>>32
	s_setpc_b64 s[14:15]
.LBB1_8077:
	s_movk_i32 s4, 0x80
	v_cmp_eq_u16_sdwa s[12:13], v9, s4 src0_sel:BYTE_0 src1_sel:DWORD
	s_mov_b64 s[4:5], -1
                                        ; implicit-def: $sgpr10
	s_and_saveexec_b64 s[8:9], s[12:13]
; %bb.8078:
	s_mov_b32 s10, 0x7f800001
	s_xor_b64 s[4:5], exec, -1
; %bb.8079:
	s_or_b64 exec, exec, s[8:9]
	s_and_b64 s[4:5], s[4:5], exec
	s_or_saveexec_b64 s[6:7], s[6:7]
	v_mov_b32_e32 v13, s10
	s_xor_b64 exec, exec, s[6:7]
	s_cbranch_execnz .LBB1_8080
; %bb.17825:
	s_getpc_b64 s[14:15]
.Lpost_getpc4816:
	s_add_u32 s14, s14, (.LBB1_3982-.Lpost_getpc4816)&4294967295
	s_addc_u32 s15, s15, (.LBB1_3982-.Lpost_getpc4816)>>32
	s_setpc_b64 s[14:15]
.LBB1_8080:
	v_mov_b32_e32 v13, 0
	v_cmp_ne_u16_sdwa s[8:9], v9, v13 src0_sel:BYTE_0 src1_sel:DWORD
	s_andn2_b64 s[4:5], s[4:5], exec
	s_and_b64 s[8:9], s[8:9], exec
	s_or_b64 s[4:5], s[4:5], s[8:9]
	s_or_b64 exec, exec, s[6:7]
	s_and_saveexec_b64 s[6:7], s[4:5]
	s_cbranch_execz .LBB1_16075
; %bb.17827:
	s_getpc_b64 s[14:15]
.Lpost_getpc4817:
	s_add_u32 s14, s14, (.LBB1_3983-.Lpost_getpc4817)&4294967295
	s_addc_u32 s15, s15, (.LBB1_3983-.Lpost_getpc4817)>>32
	s_setpc_b64 s[14:15]
.LBB1_16075:
	s_getpc_b64 s[14:15]
.Lpost_getpc3941:
	s_add_u32 s14, s14, (.LBB1_3984-.Lpost_getpc3941)&4294967295
	s_addc_u32 s15, s15, (.LBB1_3984-.Lpost_getpc3941)>>32
	s_setpc_b64 s[14:15]
.LBB1_8081:
	s_movk_i32 s4, 0x80
	v_cmp_eq_u16_e32 vcc, s4, v9
	s_mov_b64 s[4:5], -1
                                        ; implicit-def: $sgpr10
	s_and_saveexec_b64 s[8:9], vcc
; %bb.8082:
	s_mov_b32 s10, 0x7f800001
	s_xor_b64 s[4:5], exec, -1
; %bb.8083:
	s_or_b64 exec, exec, s[8:9]
	s_and_b64 s[4:5], s[4:5], exec
                                        ; implicit-def: $vgpr9
	s_or_saveexec_b64 s[6:7], s[6:7]
	v_mov_b32_e32 v8, s10
	s_xor_b64 exec, exec, s[6:7]
	s_cbranch_execnz .LBB1_8084
; %bb.17829:
	s_getpc_b64 s[14:15]
.Lpost_getpc4818:
	s_add_u32 s14, s14, (.LBB1_3986-.Lpost_getpc4818)&4294967295
	s_addc_u32 s15, s15, (.LBB1_3986-.Lpost_getpc4818)>>32
	s_setpc_b64 s[14:15]
.LBB1_8084:
	v_cmp_ne_u16_e32 vcc, 0, v9
	s_andn2_b64 s[4:5], s[4:5], exec
	s_and_b64 s[8:9], vcc, exec
	v_mov_b32_e32 v8, 0
	s_or_b64 s[4:5], s[4:5], s[8:9]
	s_or_b64 exec, exec, s[6:7]
	s_and_saveexec_b64 s[6:7], s[4:5]
	s_cbranch_execz .LBB1_16077
; %bb.17831:
	s_getpc_b64 s[14:15]
.Lpost_getpc4819:
	s_add_u32 s14, s14, (.LBB1_3987-.Lpost_getpc4819)&4294967295
	s_addc_u32 s15, s15, (.LBB1_3987-.Lpost_getpc4819)>>32
	s_setpc_b64 s[14:15]
.LBB1_16077:
	s_getpc_b64 s[14:15]
.Lpost_getpc3942:
	s_add_u32 s14, s14, (.LBB1_3988-.Lpost_getpc3942)&4294967295
	s_addc_u32 s15, s15, (.LBB1_3988-.Lpost_getpc3942)>>32
	s_setpc_b64 s[14:15]
.LBB1_8085:
	s_movk_i32 s4, 0x80
	v_cmp_eq_u16_e32 vcc, s4, v9
	s_mov_b64 s[4:5], -1
                                        ; implicit-def: $sgpr10
	s_and_saveexec_b64 s[8:9], vcc
; %bb.8086:
	s_mov_b32 s10, 0x7f800001
	s_xor_b64 s[4:5], exec, -1
; %bb.8087:
	s_or_b64 exec, exec, s[8:9]
	s_and_b64 s[4:5], s[4:5], exec
                                        ; implicit-def: $vgpr9
	s_or_saveexec_b64 s[6:7], s[6:7]
	v_mov_b32_e32 v13, s10
	s_xor_b64 exec, exec, s[6:7]
	s_cbranch_execnz .LBB1_8088
; %bb.17833:
	s_getpc_b64 s[14:15]
.Lpost_getpc4820:
	s_add_u32 s14, s14, (.LBB1_3990-.Lpost_getpc4820)&4294967295
	s_addc_u32 s15, s15, (.LBB1_3990-.Lpost_getpc4820)>>32
	s_setpc_b64 s[14:15]
.LBB1_8088:
	v_cmp_ne_u16_e32 vcc, 0, v9
	s_andn2_b64 s[4:5], s[4:5], exec
	s_and_b64 s[8:9], vcc, exec
	v_mov_b32_e32 v13, 0
	s_or_b64 s[4:5], s[4:5], s[8:9]
	s_or_b64 exec, exec, s[6:7]
	s_and_saveexec_b64 s[6:7], s[4:5]
	s_cbranch_execz .LBB1_16079
; %bb.17835:
	s_getpc_b64 s[14:15]
.Lpost_getpc4821:
	s_add_u32 s14, s14, (.LBB1_3991-.Lpost_getpc4821)&4294967295
	s_addc_u32 s15, s15, (.LBB1_3991-.Lpost_getpc4821)>>32
	s_setpc_b64 s[14:15]
.LBB1_16079:
	s_getpc_b64 s[14:15]
.Lpost_getpc3943:
	s_add_u32 s14, s14, (.LBB1_3992-.Lpost_getpc3943)&4294967295
	s_addc_u32 s15, s15, (.LBB1_3992-.Lpost_getpc3943)>>32
	s_setpc_b64 s[14:15]
.LBB1_8089:
	s_movk_i32 s4, 0x80
	v_cmp_eq_u16_sdwa s[12:13], v4, s4 src0_sel:BYTE_3 src1_sel:DWORD
	s_mov_b64 s[4:5], -1
                                        ; implicit-def: $sgpr10
	s_and_saveexec_b64 s[8:9], s[12:13]
; %bb.8090:
	s_mov_b32 s10, 0x7f800001
	s_xor_b64 s[4:5], exec, -1
; %bb.8091:
	s_or_b64 exec, exec, s[8:9]
	s_and_b64 s[4:5], s[4:5], exec
	s_or_saveexec_b64 s[6:7], s[6:7]
	v_mov_b32_e32 v8, s10
	s_xor_b64 exec, exec, s[6:7]
	s_cbranch_execnz .LBB1_8092
; %bb.17837:
	s_getpc_b64 s[14:15]
.Lpost_getpc4822:
	s_add_u32 s14, s14, (.LBB1_3994-.Lpost_getpc4822)&4294967295
	s_addc_u32 s15, s15, (.LBB1_3994-.Lpost_getpc4822)>>32
	s_setpc_b64 s[14:15]
.LBB1_8092:
	v_mov_b32_e32 v8, 0
	v_cmp_ne_u16_sdwa s[8:9], v4, v8 src0_sel:BYTE_3 src1_sel:DWORD
	s_andn2_b64 s[4:5], s[4:5], exec
	s_and_b64 s[8:9], s[8:9], exec
	s_or_b64 s[4:5], s[4:5], s[8:9]
	s_or_b64 exec, exec, s[6:7]
	s_and_saveexec_b64 s[6:7], s[4:5]
	s_cbranch_execz .LBB1_16081
; %bb.17839:
	s_getpc_b64 s[14:15]
.Lpost_getpc4823:
	s_add_u32 s14, s14, (.LBB1_3995-.Lpost_getpc4823)&4294967295
	s_addc_u32 s15, s15, (.LBB1_3995-.Lpost_getpc4823)>>32
	s_setpc_b64 s[14:15]
.LBB1_16081:
	s_getpc_b64 s[14:15]
.Lpost_getpc3944:
	s_add_u32 s14, s14, (.LBB1_3996-.Lpost_getpc3944)&4294967295
	s_addc_u32 s15, s15, (.LBB1_3996-.Lpost_getpc3944)>>32
	s_setpc_b64 s[14:15]
.LBB1_8093:
	s_movk_i32 s4, 0x80
	v_cmp_eq_u16_sdwa s[12:13], v0, s4 src0_sel:BYTE_3 src1_sel:DWORD
	s_mov_b64 s[4:5], -1
                                        ; implicit-def: $sgpr10
	s_and_saveexec_b64 s[8:9], s[12:13]
; %bb.8094:
	s_mov_b32 s10, 0x7f800001
	s_xor_b64 s[4:5], exec, -1
; %bb.8095:
	s_or_b64 exec, exec, s[8:9]
	s_and_b64 s[4:5], s[4:5], exec
	s_or_saveexec_b64 s[6:7], s[6:7]
	v_mov_b32_e32 v4, s10
	s_xor_b64 exec, exec, s[6:7]
	s_cbranch_execnz .LBB1_8096
; %bb.17841:
	s_getpc_b64 s[14:15]
.Lpost_getpc4824:
	s_add_u32 s14, s14, (.LBB1_3998-.Lpost_getpc4824)&4294967295
	s_addc_u32 s15, s15, (.LBB1_3998-.Lpost_getpc4824)>>32
	s_setpc_b64 s[14:15]
.LBB1_8096:
	v_mov_b32_e32 v4, 0
	v_cmp_ne_u16_sdwa s[8:9], v0, v4 src0_sel:BYTE_3 src1_sel:DWORD
	s_andn2_b64 s[4:5], s[4:5], exec
	s_and_b64 s[8:9], s[8:9], exec
	s_or_b64 s[4:5], s[4:5], s[8:9]
	s_or_b64 exec, exec, s[6:7]
	s_and_saveexec_b64 s[6:7], s[4:5]
	s_cbranch_execz .LBB1_16083
; %bb.17843:
	s_getpc_b64 s[14:15]
.Lpost_getpc4825:
	s_add_u32 s14, s14, (.LBB1_3999-.Lpost_getpc4825)&4294967295
	s_addc_u32 s15, s15, (.LBB1_3999-.Lpost_getpc4825)>>32
	s_setpc_b64 s[14:15]
.LBB1_16083:
	s_getpc_b64 s[14:15]
.Lpost_getpc3945:
	s_add_u32 s14, s14, (.LBB1_4000-.Lpost_getpc3945)&4294967295
	s_addc_u32 s15, s15, (.LBB1_4000-.Lpost_getpc3945)>>32
	s_setpc_b64 s[14:15]
.LBB1_8097:
	s_movk_i32 s4, 0x80
	v_cmp_eq_u16_sdwa s[12:13], v5, s4 src0_sel:BYTE_0 src1_sel:DWORD
	s_mov_b64 s[4:5], -1
                                        ; implicit-def: $sgpr10
	s_and_saveexec_b64 s[8:9], s[12:13]
; %bb.8098:
	s_mov_b32 s10, 0x7f800001
	s_xor_b64 s[4:5], exec, -1
; %bb.8099:
	s_or_b64 exec, exec, s[8:9]
	s_and_b64 s[4:5], s[4:5], exec
	s_or_saveexec_b64 s[6:7], s[6:7]
	v_mov_b32_e32 v0, s10
	s_xor_b64 exec, exec, s[6:7]
	s_cbranch_execnz .LBB1_8100
; %bb.17845:
	s_getpc_b64 s[14:15]
.Lpost_getpc4826:
	s_add_u32 s14, s14, (.LBB1_4002-.Lpost_getpc4826)&4294967295
	s_addc_u32 s15, s15, (.LBB1_4002-.Lpost_getpc4826)>>32
	s_setpc_b64 s[14:15]
.LBB1_8100:
	v_mov_b32_e32 v0, 0
	v_cmp_ne_u16_sdwa s[8:9], v5, v0 src0_sel:BYTE_0 src1_sel:DWORD
	s_andn2_b64 s[4:5], s[4:5], exec
	s_and_b64 s[8:9], s[8:9], exec
	s_or_b64 s[4:5], s[4:5], s[8:9]
	s_or_b64 exec, exec, s[6:7]
	s_and_saveexec_b64 s[6:7], s[4:5]
	s_cbranch_execz .LBB1_16085
; %bb.17847:
	s_getpc_b64 s[14:15]
.Lpost_getpc4827:
	s_add_u32 s14, s14, (.LBB1_4003-.Lpost_getpc4827)&4294967295
	s_addc_u32 s15, s15, (.LBB1_4003-.Lpost_getpc4827)>>32
	s_setpc_b64 s[14:15]
.LBB1_16085:
	s_getpc_b64 s[14:15]
.Lpost_getpc3946:
	s_add_u32 s14, s14, (.LBB1_4004-.Lpost_getpc3946)&4294967295
	s_addc_u32 s15, s15, (.LBB1_4004-.Lpost_getpc3946)>>32
	s_setpc_b64 s[14:15]
.LBB1_8101:
	s_movk_i32 s4, 0x80
	v_cmp_eq_u16_sdwa s[12:13], v1, s4 src0_sel:BYTE_0 src1_sel:DWORD
	s_mov_b64 s[4:5], -1
                                        ; implicit-def: $sgpr10
	s_and_saveexec_b64 s[8:9], s[12:13]
; %bb.8102:
	s_mov_b32 s10, 0x7f800001
	s_xor_b64 s[4:5], exec, -1
; %bb.8103:
	s_or_b64 exec, exec, s[8:9]
	s_and_b64 s[4:5], s[4:5], exec
	s_or_saveexec_b64 s[6:7], s[6:7]
	v_mov_b32_e32 v4, s10
	s_xor_b64 exec, exec, s[6:7]
	s_cbranch_execnz .LBB1_8104
; %bb.17849:
	s_getpc_b64 s[14:15]
.Lpost_getpc4828:
	s_add_u32 s14, s14, (.LBB1_4006-.Lpost_getpc4828)&4294967295
	s_addc_u32 s15, s15, (.LBB1_4006-.Lpost_getpc4828)>>32
	s_setpc_b64 s[14:15]
.LBB1_8104:
	v_mov_b32_e32 v4, 0
	v_cmp_ne_u16_sdwa s[8:9], v1, v4 src0_sel:BYTE_0 src1_sel:DWORD
	s_andn2_b64 s[4:5], s[4:5], exec
	s_and_b64 s[8:9], s[8:9], exec
	s_or_b64 s[4:5], s[4:5], s[8:9]
	s_or_b64 exec, exec, s[6:7]
	s_and_saveexec_b64 s[6:7], s[4:5]
	s_cbranch_execz .LBB1_16087
; %bb.17851:
	s_getpc_b64 s[14:15]
.Lpost_getpc4829:
	s_add_u32 s14, s14, (.LBB1_4007-.Lpost_getpc4829)&4294967295
	s_addc_u32 s15, s15, (.LBB1_4007-.Lpost_getpc4829)>>32
	s_setpc_b64 s[14:15]
.LBB1_16087:
	s_getpc_b64 s[14:15]
.Lpost_getpc3947:
	s_add_u32 s14, s14, (.LBB1_4008-.Lpost_getpc3947)&4294967295
	s_addc_u32 s15, s15, (.LBB1_4008-.Lpost_getpc3947)>>32
	s_setpc_b64 s[14:15]
.LBB1_8105:
	s_movk_i32 s4, 0x80
	v_cmp_eq_u16_sdwa s[12:13], v4, s4 src0_sel:BYTE_0 src1_sel:DWORD
	s_mov_b64 s[4:5], -1
                                        ; implicit-def: $sgpr10
	s_and_saveexec_b64 s[8:9], s[12:13]
; %bb.8106:
	s_mov_b32 s10, 0x7f800001
	s_xor_b64 s[4:5], exec, -1
; %bb.8107:
	s_or_b64 exec, exec, s[8:9]
	s_and_b64 s[4:5], s[4:5], exec
	s_or_saveexec_b64 s[6:7], s[6:7]
	v_mov_b32_e32 v0, s10
	s_xor_b64 exec, exec, s[6:7]
	s_cbranch_execnz .LBB1_8108
; %bb.17853:
	s_getpc_b64 s[14:15]
.Lpost_getpc4830:
	s_add_u32 s14, s14, (.LBB1_4010-.Lpost_getpc4830)&4294967295
	s_addc_u32 s15, s15, (.LBB1_4010-.Lpost_getpc4830)>>32
	s_setpc_b64 s[14:15]
.LBB1_8108:
	v_mov_b32_e32 v0, 0
	v_cmp_ne_u16_sdwa s[8:9], v4, v0 src0_sel:BYTE_0 src1_sel:DWORD
	s_andn2_b64 s[4:5], s[4:5], exec
	s_and_b64 s[8:9], s[8:9], exec
	s_or_b64 s[4:5], s[4:5], s[8:9]
	s_or_b64 exec, exec, s[6:7]
	s_and_saveexec_b64 s[6:7], s[4:5]
	s_cbranch_execz .LBB1_16089
; %bb.17855:
	s_getpc_b64 s[14:15]
.Lpost_getpc4831:
	s_add_u32 s14, s14, (.LBB1_4011-.Lpost_getpc4831)&4294967295
	s_addc_u32 s15, s15, (.LBB1_4011-.Lpost_getpc4831)>>32
	s_setpc_b64 s[14:15]
.LBB1_16089:
	s_getpc_b64 s[14:15]
.Lpost_getpc3948:
	s_add_u32 s14, s14, (.LBB1_4012-.Lpost_getpc3948)&4294967295
	s_addc_u32 s15, s15, (.LBB1_4012-.Lpost_getpc3948)>>32
	s_setpc_b64 s[14:15]
.LBB1_8109:
	s_movk_i32 s4, 0x80
	v_cmp_eq_u16_sdwa s[12:13], v4, s4 src0_sel:BYTE_0 src1_sel:DWORD
	s_mov_b64 s[4:5], -1
                                        ; implicit-def: $sgpr10
	s_and_saveexec_b64 s[8:9], s[12:13]
; %bb.8110:
	s_mov_b32 s10, 0x7f800001
	s_xor_b64 s[4:5], exec, -1
; %bb.8111:
	s_or_b64 exec, exec, s[8:9]
	s_and_b64 s[4:5], s[4:5], exec
	s_or_saveexec_b64 s[6:7], s[6:7]
	v_mov_b32_e32 v8, s10
	s_xor_b64 exec, exec, s[6:7]
	s_cbranch_execnz .LBB1_8112
; %bb.17857:
	s_getpc_b64 s[14:15]
.Lpost_getpc4832:
	s_add_u32 s14, s14, (.LBB1_4014-.Lpost_getpc4832)&4294967295
	s_addc_u32 s15, s15, (.LBB1_4014-.Lpost_getpc4832)>>32
	s_setpc_b64 s[14:15]
.LBB1_8112:
	v_mov_b32_e32 v8, 0
	v_cmp_ne_u16_sdwa s[8:9], v4, v8 src0_sel:BYTE_0 src1_sel:DWORD
	s_andn2_b64 s[4:5], s[4:5], exec
	s_and_b64 s[8:9], s[8:9], exec
	s_or_b64 s[4:5], s[4:5], s[8:9]
	s_or_b64 exec, exec, s[6:7]
	s_and_saveexec_b64 s[6:7], s[4:5]
	s_cbranch_execz .LBB1_16091
; %bb.17859:
	s_getpc_b64 s[14:15]
.Lpost_getpc4833:
	s_add_u32 s14, s14, (.LBB1_4015-.Lpost_getpc4833)&4294967295
	s_addc_u32 s15, s15, (.LBB1_4015-.Lpost_getpc4833)>>32
	s_setpc_b64 s[14:15]
.LBB1_16091:
	s_getpc_b64 s[14:15]
.Lpost_getpc3949:
	s_add_u32 s14, s14, (.LBB1_4016-.Lpost_getpc3949)&4294967295
	s_addc_u32 s15, s15, (.LBB1_4016-.Lpost_getpc3949)>>32
	s_setpc_b64 s[14:15]
.LBB1_8113:
	s_movk_i32 s4, 0x80
	v_cmp_eq_u16_e32 vcc, s4, v4
	s_mov_b64 s[4:5], -1
                                        ; implicit-def: $sgpr10
	s_and_saveexec_b64 s[8:9], vcc
; %bb.8114:
	s_mov_b32 s10, 0x7f800001
	s_xor_b64 s[4:5], exec, -1
; %bb.8115:
	s_or_b64 exec, exec, s[8:9]
	s_and_b64 s[4:5], s[4:5], exec
                                        ; implicit-def: $vgpr4
	s_or_saveexec_b64 s[6:7], s[6:7]
	v_mov_b32_e32 v0, s10
	s_xor_b64 exec, exec, s[6:7]
	s_cbranch_execnz .LBB1_8116
; %bb.17861:
	s_getpc_b64 s[14:15]
.Lpost_getpc4834:
	s_add_u32 s14, s14, (.LBB1_4018-.Lpost_getpc4834)&4294967295
	s_addc_u32 s15, s15, (.LBB1_4018-.Lpost_getpc4834)>>32
	s_setpc_b64 s[14:15]
.LBB1_8116:
	v_cmp_ne_u16_e32 vcc, 0, v4
	s_andn2_b64 s[4:5], s[4:5], exec
	s_and_b64 s[8:9], vcc, exec
	v_mov_b32_e32 v0, 0
	s_or_b64 s[4:5], s[4:5], s[8:9]
	s_or_b64 exec, exec, s[6:7]
	s_and_saveexec_b64 s[6:7], s[4:5]
	s_cbranch_execz .LBB1_16093
; %bb.17863:
	s_getpc_b64 s[14:15]
.Lpost_getpc4835:
	s_add_u32 s14, s14, (.LBB1_4019-.Lpost_getpc4835)&4294967295
	s_addc_u32 s15, s15, (.LBB1_4019-.Lpost_getpc4835)>>32
	s_setpc_b64 s[14:15]
.LBB1_16093:
	s_getpc_b64 s[14:15]
.Lpost_getpc3950:
	s_add_u32 s14, s14, (.LBB1_4020-.Lpost_getpc3950)&4294967295
	s_addc_u32 s15, s15, (.LBB1_4020-.Lpost_getpc3950)>>32
	s_setpc_b64 s[14:15]
.LBB1_8117:
	s_movk_i32 s4, 0x80
	v_cmp_eq_u16_e32 vcc, s4, v4
	s_mov_b64 s[4:5], -1
                                        ; implicit-def: $sgpr10
	s_and_saveexec_b64 s[8:9], vcc
; %bb.8118:
	s_mov_b32 s10, 0x7f800001
	s_xor_b64 s[4:5], exec, -1
; %bb.8119:
	s_or_b64 exec, exec, s[8:9]
	s_and_b64 s[4:5], s[4:5], exec
                                        ; implicit-def: $vgpr4
	s_or_saveexec_b64 s[6:7], s[6:7]
	v_mov_b32_e32 v8, s10
	s_xor_b64 exec, exec, s[6:7]
	s_cbranch_execnz .LBB1_8120
; %bb.17865:
	s_getpc_b64 s[14:15]
.Lpost_getpc4836:
	s_add_u32 s14, s14, (.LBB1_4022-.Lpost_getpc4836)&4294967295
	s_addc_u32 s15, s15, (.LBB1_4022-.Lpost_getpc4836)>>32
	s_setpc_b64 s[14:15]
.LBB1_8120:
	v_cmp_ne_u16_e32 vcc, 0, v4
	s_andn2_b64 s[4:5], s[4:5], exec
	s_and_b64 s[8:9], vcc, exec
	v_mov_b32_e32 v8, 0
	s_or_b64 s[4:5], s[4:5], s[8:9]
	s_or_b64 exec, exec, s[6:7]
	s_and_saveexec_b64 s[6:7], s[4:5]
	s_cbranch_execz .LBB1_16095
; %bb.17867:
	s_getpc_b64 s[14:15]
.Lpost_getpc4837:
	s_add_u32 s14, s14, (.LBB1_4023-.Lpost_getpc4837)&4294967295
	s_addc_u32 s15, s15, (.LBB1_4023-.Lpost_getpc4837)>>32
	s_setpc_b64 s[14:15]
.LBB1_16095:
	s_getpc_b64 s[14:15]
.Lpost_getpc3951:
	s_add_u32 s14, s14, (.LBB1_4024-.Lpost_getpc3951)&4294967295
	s_addc_u32 s15, s15, (.LBB1_4024-.Lpost_getpc3951)>>32
	s_setpc_b64 s[14:15]
.LBB1_8121:
	s_movk_i32 s4, 0x80
	v_cmp_eq_u16_sdwa s[12:13], v5, s4 src0_sel:BYTE_3 src1_sel:DWORD
	s_mov_b64 s[4:5], -1
                                        ; implicit-def: $sgpr10
	s_and_saveexec_b64 s[8:9], s[12:13]
; %bb.8122:
	s_mov_b32 s10, 0x7f800001
	s_xor_b64 s[4:5], exec, -1
; %bb.8123:
	s_or_b64 exec, exec, s[8:9]
	s_and_b64 s[4:5], s[4:5], exec
	s_or_saveexec_b64 s[6:7], s[6:7]
	v_mov_b32_e32 v0, s10
	s_xor_b64 exec, exec, s[6:7]
	s_cbranch_execnz .LBB1_8124
; %bb.17869:
	s_getpc_b64 s[14:15]
.Lpost_getpc4838:
	s_add_u32 s14, s14, (.LBB1_4026-.Lpost_getpc4838)&4294967295
	s_addc_u32 s15, s15, (.LBB1_4026-.Lpost_getpc4838)>>32
	s_setpc_b64 s[14:15]
.LBB1_8124:
	v_mov_b32_e32 v0, 0
	v_cmp_ne_u16_sdwa s[8:9], v5, v0 src0_sel:BYTE_3 src1_sel:DWORD
	s_andn2_b64 s[4:5], s[4:5], exec
	s_and_b64 s[8:9], s[8:9], exec
	s_or_b64 s[4:5], s[4:5], s[8:9]
	s_or_b64 exec, exec, s[6:7]
	s_and_saveexec_b64 s[6:7], s[4:5]
	s_cbranch_execz .LBB1_16097
; %bb.17871:
	s_getpc_b64 s[14:15]
.Lpost_getpc4839:
	s_add_u32 s14, s14, (.LBB1_4027-.Lpost_getpc4839)&4294967295
	s_addc_u32 s15, s15, (.LBB1_4027-.Lpost_getpc4839)>>32
	s_setpc_b64 s[14:15]
.LBB1_16097:
	s_getpc_b64 s[14:15]
.Lpost_getpc3952:
	s_add_u32 s14, s14, (.LBB1_4028-.Lpost_getpc3952)&4294967295
	s_addc_u32 s15, s15, (.LBB1_4028-.Lpost_getpc3952)>>32
	s_setpc_b64 s[14:15]
.LBB1_8125:
	s_movk_i32 s4, 0x80
	v_cmp_eq_u16_sdwa s[12:13], v1, s4 src0_sel:BYTE_3 src1_sel:DWORD
	s_mov_b64 s[4:5], -1
                                        ; implicit-def: $sgpr10
	s_and_saveexec_b64 s[8:9], s[12:13]
; %bb.8126:
	s_mov_b32 s10, 0x7f800001
	s_xor_b64 s[4:5], exec, -1
; %bb.8127:
	s_or_b64 exec, exec, s[8:9]
	s_and_b64 s[4:5], s[4:5], exec
	s_or_saveexec_b64 s[6:7], s[6:7]
	v_mov_b32_e32 v4, s10
	s_xor_b64 exec, exec, s[6:7]
	s_cbranch_execnz .LBB1_8128
; %bb.17873:
	s_getpc_b64 s[14:15]
.Lpost_getpc4840:
	s_add_u32 s14, s14, (.LBB1_4030-.Lpost_getpc4840)&4294967295
	s_addc_u32 s15, s15, (.LBB1_4030-.Lpost_getpc4840)>>32
	s_setpc_b64 s[14:15]
.LBB1_8128:
	v_mov_b32_e32 v4, 0
	v_cmp_ne_u16_sdwa s[8:9], v1, v4 src0_sel:BYTE_3 src1_sel:DWORD
	s_andn2_b64 s[4:5], s[4:5], exec
	s_and_b64 s[8:9], s[8:9], exec
	s_or_b64 s[4:5], s[4:5], s[8:9]
	s_or_b64 exec, exec, s[6:7]
	s_and_saveexec_b64 s[6:7], s[4:5]
	s_cbranch_execz .LBB1_16099
; %bb.17875:
	s_getpc_b64 s[14:15]
.Lpost_getpc4841:
	s_add_u32 s14, s14, (.LBB1_4031-.Lpost_getpc4841)&4294967295
	s_addc_u32 s15, s15, (.LBB1_4031-.Lpost_getpc4841)>>32
	s_setpc_b64 s[14:15]
.LBB1_16099:
	s_getpc_b64 s[14:15]
.Lpost_getpc3953:
	s_add_u32 s14, s14, (.LBB1_4032-.Lpost_getpc3953)&4294967295
	s_addc_u32 s15, s15, (.LBB1_4032-.Lpost_getpc3953)>>32
	s_setpc_b64 s[14:15]
.LBB1_8129:
	s_movk_i32 s4, 0x80
	v_cmp_eq_u16_sdwa s[12:13], v6, s4 src0_sel:BYTE_0 src1_sel:DWORD
	s_mov_b64 s[4:5], -1
                                        ; implicit-def: $sgpr10
	s_and_saveexec_b64 s[8:9], s[12:13]
; %bb.8130:
	s_mov_b32 s10, 0x7f800001
	s_xor_b64 s[4:5], exec, -1
; %bb.8131:
	s_or_b64 exec, exec, s[8:9]
	s_and_b64 s[4:5], s[4:5], exec
	s_or_saveexec_b64 s[6:7], s[6:7]
	v_mov_b32_e32 v1, s10
	s_xor_b64 exec, exec, s[6:7]
	s_cbranch_execnz .LBB1_8132
; %bb.17877:
	s_getpc_b64 s[14:15]
.Lpost_getpc4842:
	s_add_u32 s14, s14, (.LBB1_4034-.Lpost_getpc4842)&4294967295
	s_addc_u32 s15, s15, (.LBB1_4034-.Lpost_getpc4842)>>32
	s_setpc_b64 s[14:15]
.LBB1_8132:
	v_mov_b32_e32 v1, 0
	v_cmp_ne_u16_sdwa s[8:9], v6, v1 src0_sel:BYTE_0 src1_sel:DWORD
	s_andn2_b64 s[4:5], s[4:5], exec
	s_and_b64 s[8:9], s[8:9], exec
	s_or_b64 s[4:5], s[4:5], s[8:9]
	s_or_b64 exec, exec, s[6:7]
	s_and_saveexec_b64 s[6:7], s[4:5]
	s_cbranch_execz .LBB1_16101
; %bb.17879:
	s_getpc_b64 s[14:15]
.Lpost_getpc4843:
	s_add_u32 s14, s14, (.LBB1_4035-.Lpost_getpc4843)&4294967295
	s_addc_u32 s15, s15, (.LBB1_4035-.Lpost_getpc4843)>>32
	s_setpc_b64 s[14:15]
.LBB1_16101:
	s_getpc_b64 s[14:15]
.Lpost_getpc3954:
	s_add_u32 s14, s14, (.LBB1_4036-.Lpost_getpc3954)&4294967295
	s_addc_u32 s15, s15, (.LBB1_4036-.Lpost_getpc3954)>>32
	s_setpc_b64 s[14:15]
.LBB1_8133:
	s_movk_i32 s4, 0x80
	v_cmp_eq_u16_sdwa s[12:13], v4, s4 src0_sel:BYTE_0 src1_sel:DWORD
	s_mov_b64 s[4:5], -1
                                        ; implicit-def: $sgpr10
	s_and_saveexec_b64 s[8:9], s[12:13]
; %bb.8134:
	s_mov_b32 s10, 0x7f800001
	s_xor_b64 s[4:5], exec, -1
; %bb.8135:
	s_or_b64 exec, exec, s[8:9]
	s_and_b64 s[4:5], s[4:5], exec
	s_or_saveexec_b64 s[6:7], s[6:7]
	v_mov_b32_e32 v2, s10
	s_xor_b64 exec, exec, s[6:7]
	s_cbranch_execnz .LBB1_8136
; %bb.17881:
	s_getpc_b64 s[14:15]
.Lpost_getpc4844:
	s_add_u32 s14, s14, (.LBB1_4038-.Lpost_getpc4844)&4294967295
	s_addc_u32 s15, s15, (.LBB1_4038-.Lpost_getpc4844)>>32
	s_setpc_b64 s[14:15]
.LBB1_8136:
	v_mov_b32_e32 v2, 0
	v_cmp_ne_u16_sdwa s[8:9], v4, v2 src0_sel:BYTE_0 src1_sel:DWORD
	s_andn2_b64 s[4:5], s[4:5], exec
	s_and_b64 s[8:9], s[8:9], exec
	s_or_b64 s[4:5], s[4:5], s[8:9]
	s_or_b64 exec, exec, s[6:7]
	v_or_b32_sdwa v0, v4, v0 dst_sel:DWORD dst_unused:UNUSED_PAD src0_sel:WORD_0 src1_sel:DWORD
	s_and_saveexec_b64 s[6:7], s[4:5]
	s_cbranch_execz .LBB1_16103
; %bb.17883:
	s_getpc_b64 s[14:15]
.Lpost_getpc4845:
	s_add_u32 s14, s14, (.LBB1_4039-.Lpost_getpc4845)&4294967295
	s_addc_u32 s15, s15, (.LBB1_4039-.Lpost_getpc4845)>>32
	s_setpc_b64 s[14:15]
.LBB1_16103:
	s_getpc_b64 s[14:15]
.Lpost_getpc3955:
	s_add_u32 s14, s14, (.LBB1_4040-.Lpost_getpc3955)&4294967295
	s_addc_u32 s15, s15, (.LBB1_4040-.Lpost_getpc3955)>>32
	s_setpc_b64 s[14:15]
.LBB1_8137:
	s_movk_i32 s4, 0x80
	v_cmp_eq_u16_sdwa s[12:13], v2, s4 src0_sel:BYTE_0 src1_sel:DWORD
	s_mov_b64 s[4:5], -1
                                        ; implicit-def: $sgpr10
	s_and_saveexec_b64 s[8:9], s[12:13]
; %bb.8138:
	s_mov_b32 s10, 0x7f800001
	s_xor_b64 s[4:5], exec, -1
; %bb.8139:
	s_or_b64 exec, exec, s[8:9]
	s_and_b64 s[4:5], s[4:5], exec
	s_or_saveexec_b64 s[6:7], s[6:7]
	v_mov_b32_e32 v1, s10
	s_xor_b64 exec, exec, s[6:7]
	s_cbranch_execnz .LBB1_8140
; %bb.17885:
	s_getpc_b64 s[14:15]
.Lpost_getpc4846:
	s_add_u32 s14, s14, (.LBB1_4042-.Lpost_getpc4846)&4294967295
	s_addc_u32 s15, s15, (.LBB1_4042-.Lpost_getpc4846)>>32
	s_setpc_b64 s[14:15]
.LBB1_8140:
	v_mov_b32_e32 v1, 0
	v_cmp_ne_u16_sdwa s[8:9], v2, v1 src0_sel:BYTE_0 src1_sel:DWORD
	s_andn2_b64 s[4:5], s[4:5], exec
	s_and_b64 s[8:9], s[8:9], exec
	s_or_b64 s[4:5], s[4:5], s[8:9]
	s_or_b64 exec, exec, s[6:7]
	s_and_saveexec_b64 s[6:7], s[4:5]
	s_cbranch_execz .LBB1_16105
; %bb.17887:
	s_getpc_b64 s[14:15]
.Lpost_getpc4847:
	s_add_u32 s14, s14, (.LBB1_4043-.Lpost_getpc4847)&4294967295
	s_addc_u32 s15, s15, (.LBB1_4043-.Lpost_getpc4847)>>32
	s_setpc_b64 s[14:15]
.LBB1_16105:
	s_getpc_b64 s[14:15]
.Lpost_getpc3956:
	s_add_u32 s14, s14, (.LBB1_4044-.Lpost_getpc3956)&4294967295
	s_addc_u32 s15, s15, (.LBB1_4044-.Lpost_getpc3956)>>32
	s_setpc_b64 s[14:15]
.LBB1_8141:
	s_movk_i32 s4, 0x80
	v_cmp_eq_u16_sdwa s[12:13], v2, s4 src0_sel:BYTE_0 src1_sel:DWORD
	s_mov_b64 s[4:5], -1
                                        ; implicit-def: $sgpr10
	s_and_saveexec_b64 s[8:9], s[12:13]
; %bb.8142:
	s_mov_b32 s10, 0x7f800001
	s_xor_b64 s[4:5], exec, -1
; %bb.8143:
	s_or_b64 exec, exec, s[8:9]
	s_and_b64 s[4:5], s[4:5], exec
	s_or_saveexec_b64 s[6:7], s[6:7]
	v_mov_b32_e32 v4, s10
	s_xor_b64 exec, exec, s[6:7]
	s_cbranch_execnz .LBB1_8144
; %bb.17889:
	s_getpc_b64 s[14:15]
.Lpost_getpc4848:
	s_add_u32 s14, s14, (.LBB1_4046-.Lpost_getpc4848)&4294967295
	s_addc_u32 s15, s15, (.LBB1_4046-.Lpost_getpc4848)>>32
	s_setpc_b64 s[14:15]
.LBB1_8144:
	v_mov_b32_e32 v4, 0
	v_cmp_ne_u16_sdwa s[8:9], v2, v4 src0_sel:BYTE_0 src1_sel:DWORD
	s_andn2_b64 s[4:5], s[4:5], exec
	s_and_b64 s[8:9], s[8:9], exec
	s_or_b64 s[4:5], s[4:5], s[8:9]
	s_or_b64 exec, exec, s[6:7]
	s_and_saveexec_b64 s[6:7], s[4:5]
	s_cbranch_execz .LBB1_16107
; %bb.17891:
	s_getpc_b64 s[14:15]
.Lpost_getpc4849:
	s_add_u32 s14, s14, (.LBB1_4047-.Lpost_getpc4849)&4294967295
	s_addc_u32 s15, s15, (.LBB1_4047-.Lpost_getpc4849)>>32
	s_setpc_b64 s[14:15]
.LBB1_16107:
	s_getpc_b64 s[14:15]
.Lpost_getpc3957:
	s_add_u32 s14, s14, (.LBB1_4048-.Lpost_getpc3957)&4294967295
	s_addc_u32 s15, s15, (.LBB1_4048-.Lpost_getpc3957)>>32
	s_setpc_b64 s[14:15]
.LBB1_8145:
	s_movk_i32 s4, 0x80
	v_cmp_eq_u16_e32 vcc, s4, v2
	s_mov_b64 s[4:5], -1
                                        ; implicit-def: $sgpr10
	s_and_saveexec_b64 s[8:9], vcc
; %bb.8146:
	s_mov_b32 s10, 0x7f800001
	s_xor_b64 s[4:5], exec, -1
; %bb.8147:
	s_or_b64 exec, exec, s[8:9]
	s_and_b64 s[4:5], s[4:5], exec
                                        ; implicit-def: $vgpr2
	s_or_saveexec_b64 s[6:7], s[6:7]
	v_mov_b32_e32 v1, s10
	s_xor_b64 exec, exec, s[6:7]
	s_cbranch_execnz .LBB1_8148
; %bb.17893:
	s_getpc_b64 s[14:15]
.Lpost_getpc4850:
	s_add_u32 s14, s14, (.LBB1_4050-.Lpost_getpc4850)&4294967295
	s_addc_u32 s15, s15, (.LBB1_4050-.Lpost_getpc4850)>>32
	s_setpc_b64 s[14:15]
.LBB1_8148:
	v_cmp_ne_u16_e32 vcc, 0, v2
	s_andn2_b64 s[4:5], s[4:5], exec
	s_and_b64 s[8:9], vcc, exec
	v_mov_b32_e32 v1, 0
	s_or_b64 s[4:5], s[4:5], s[8:9]
	s_or_b64 exec, exec, s[6:7]
	s_and_saveexec_b64 s[6:7], s[4:5]
	s_cbranch_execz .LBB1_16109
; %bb.17895:
	s_getpc_b64 s[14:15]
.Lpost_getpc4851:
	s_add_u32 s14, s14, (.LBB1_4051-.Lpost_getpc4851)&4294967295
	s_addc_u32 s15, s15, (.LBB1_4051-.Lpost_getpc4851)>>32
	s_setpc_b64 s[14:15]
.LBB1_16109:
	s_getpc_b64 s[14:15]
.Lpost_getpc3958:
	s_add_u32 s14, s14, (.LBB1_4052-.Lpost_getpc3958)&4294967295
	s_addc_u32 s15, s15, (.LBB1_4052-.Lpost_getpc3958)>>32
	s_setpc_b64 s[14:15]
.LBB1_8149:
	s_movk_i32 s4, 0x80
	v_cmp_eq_u16_e32 vcc, s4, v2
	s_mov_b64 s[4:5], -1
                                        ; implicit-def: $sgpr10
	s_and_saveexec_b64 s[8:9], vcc
; %bb.8150:
	s_mov_b32 s10, 0x7f800001
	s_xor_b64 s[4:5], exec, -1
; %bb.8151:
	s_or_b64 exec, exec, s[8:9]
	s_and_b64 s[4:5], s[4:5], exec
                                        ; implicit-def: $vgpr2
	s_or_saveexec_b64 s[6:7], s[6:7]
	v_mov_b32_e32 v4, s10
	s_xor_b64 exec, exec, s[6:7]
	s_cbranch_execnz .LBB1_8152
; %bb.17897:
	s_getpc_b64 s[14:15]
.Lpost_getpc4852:
	s_add_u32 s14, s14, (.LBB1_4054-.Lpost_getpc4852)&4294967295
	s_addc_u32 s15, s15, (.LBB1_4054-.Lpost_getpc4852)>>32
	s_setpc_b64 s[14:15]
.LBB1_8152:
	v_cmp_ne_u16_e32 vcc, 0, v2
	s_andn2_b64 s[4:5], s[4:5], exec
	s_and_b64 s[8:9], vcc, exec
	v_mov_b32_e32 v4, 0
	s_or_b64 s[4:5], s[4:5], s[8:9]
	s_or_b64 exec, exec, s[6:7]
	s_and_saveexec_b64 s[6:7], s[4:5]
	s_cbranch_execz .LBB1_16111
; %bb.17899:
	s_getpc_b64 s[14:15]
.Lpost_getpc4853:
	s_add_u32 s14, s14, (.LBB1_4055-.Lpost_getpc4853)&4294967295
	s_addc_u32 s15, s15, (.LBB1_4055-.Lpost_getpc4853)>>32
	s_setpc_b64 s[14:15]
.LBB1_16111:
	s_getpc_b64 s[14:15]
.Lpost_getpc3959:
	s_add_u32 s14, s14, (.LBB1_4056-.Lpost_getpc3959)&4294967295
	s_addc_u32 s15, s15, (.LBB1_4056-.Lpost_getpc3959)>>32
	s_setpc_b64 s[14:15]
.LBB1_8153:
	s_movk_i32 s4, 0x80
	v_cmp_eq_u16_sdwa s[12:13], v6, s4 src0_sel:BYTE_3 src1_sel:DWORD
	s_mov_b64 s[4:5], -1
                                        ; implicit-def: $sgpr10
	s_and_saveexec_b64 s[8:9], s[12:13]
; %bb.8154:
	s_mov_b32 s10, 0x7f800001
	s_xor_b64 s[4:5], exec, -1
; %bb.8155:
	s_or_b64 exec, exec, s[8:9]
	s_and_b64 s[4:5], s[4:5], exec
	s_or_saveexec_b64 s[6:7], s[6:7]
	v_mov_b32_e32 v1, s10
	s_xor_b64 exec, exec, s[6:7]
	s_cbranch_execnz .LBB1_8156
; %bb.17901:
	s_getpc_b64 s[14:15]
.Lpost_getpc4854:
	s_add_u32 s14, s14, (.LBB1_4058-.Lpost_getpc4854)&4294967295
	s_addc_u32 s15, s15, (.LBB1_4058-.Lpost_getpc4854)>>32
	s_setpc_b64 s[14:15]
.LBB1_8156:
	v_mov_b32_e32 v1, 0
	v_cmp_ne_u16_sdwa s[8:9], v6, v1 src0_sel:BYTE_3 src1_sel:DWORD
	s_andn2_b64 s[4:5], s[4:5], exec
	s_and_b64 s[8:9], s[8:9], exec
	s_or_b64 s[4:5], s[4:5], s[8:9]
	s_or_b64 exec, exec, s[6:7]
	s_and_saveexec_b64 s[6:7], s[4:5]
	s_cbranch_execz .LBB1_16113
; %bb.17903:
	s_getpc_b64 s[14:15]
.Lpost_getpc4855:
	s_add_u32 s14, s14, (.LBB1_4059-.Lpost_getpc4855)&4294967295
	s_addc_u32 s15, s15, (.LBB1_4059-.Lpost_getpc4855)>>32
	s_setpc_b64 s[14:15]
.LBB1_16113:
	s_getpc_b64 s[14:15]
.Lpost_getpc3960:
	s_add_u32 s14, s14, (.LBB1_4060-.Lpost_getpc3960)&4294967295
	s_addc_u32 s15, s15, (.LBB1_4060-.Lpost_getpc3960)>>32
	s_setpc_b64 s[14:15]
.LBB1_8157:
	s_movk_i32 s4, 0x80
	v_cmp_eq_u16_sdwa s[12:13], v0, s4 src0_sel:BYTE_3 src1_sel:DWORD
	s_mov_b64 s[4:5], -1
                                        ; implicit-def: $sgpr10
	s_and_saveexec_b64 s[8:9], s[12:13]
; %bb.8158:
	s_mov_b32 s10, 0x7f800001
	s_xor_b64 s[4:5], exec, -1
; %bb.8159:
	s_or_b64 exec, exec, s[8:9]
	s_and_b64 s[4:5], s[4:5], exec
	s_or_saveexec_b64 s[6:7], s[6:7]
	v_mov_b32_e32 v2, s10
	s_xor_b64 exec, exec, s[6:7]
	s_cbranch_execnz .LBB1_8160
; %bb.17905:
	s_getpc_b64 s[14:15]
.Lpost_getpc4856:
	s_add_u32 s14, s14, (.LBB1_4062-.Lpost_getpc4856)&4294967295
	s_addc_u32 s15, s15, (.LBB1_4062-.Lpost_getpc4856)>>32
	s_setpc_b64 s[14:15]
.LBB1_8160:
	v_mov_b32_e32 v2, 0
	v_cmp_ne_u16_sdwa s[8:9], v0, v2 src0_sel:BYTE_3 src1_sel:DWORD
	s_andn2_b64 s[4:5], s[4:5], exec
	s_and_b64 s[8:9], s[8:9], exec
	s_or_b64 s[4:5], s[4:5], s[8:9]
	s_or_b64 exec, exec, s[6:7]
	s_and_saveexec_b64 s[6:7], s[4:5]
	s_cbranch_execz .LBB1_16115
; %bb.17907:
	s_getpc_b64 s[14:15]
.Lpost_getpc4857:
	s_add_u32 s14, s14, (.LBB1_4063-.Lpost_getpc4857)&4294967295
	s_addc_u32 s15, s15, (.LBB1_4063-.Lpost_getpc4857)>>32
	s_setpc_b64 s[14:15]
.LBB1_16115:
	s_getpc_b64 s[14:15]
.Lpost_getpc3961:
	s_add_u32 s14, s14, (.LBB1_4064-.Lpost_getpc3961)&4294967295
	s_addc_u32 s15, s15, (.LBB1_4064-.Lpost_getpc3961)>>32
	s_setpc_b64 s[14:15]
.LBB1_8161:
	s_movk_i32 s4, 0x80
	v_cmp_eq_u16_sdwa s[12:13], v7, s4 src0_sel:BYTE_0 src1_sel:DWORD
	s_mov_b64 s[4:5], -1
                                        ; implicit-def: $sgpr10
	s_and_saveexec_b64 s[8:9], s[12:13]
; %bb.8162:
	s_mov_b32 s10, 0x7f800001
	s_xor_b64 s[4:5], exec, -1
; %bb.8163:
	s_or_b64 exec, exec, s[8:9]
	s_and_b64 s[4:5], s[4:5], exec
	s_or_saveexec_b64 s[6:7], s[6:7]
	v_mov_b32_e32 v0, s10
	s_xor_b64 exec, exec, s[6:7]
	s_cbranch_execnz .LBB1_8164
; %bb.17909:
	s_getpc_b64 s[14:15]
.Lpost_getpc4858:
	s_add_u32 s14, s14, (.LBB1_4066-.Lpost_getpc4858)&4294967295
	s_addc_u32 s15, s15, (.LBB1_4066-.Lpost_getpc4858)>>32
	s_setpc_b64 s[14:15]
.LBB1_8164:
	v_mov_b32_e32 v0, 0
	v_cmp_ne_u16_sdwa s[8:9], v7, v0 src0_sel:BYTE_0 src1_sel:DWORD
	s_andn2_b64 s[4:5], s[4:5], exec
	s_and_b64 s[8:9], s[8:9], exec
	s_or_b64 s[4:5], s[4:5], s[8:9]
	s_or_b64 exec, exec, s[6:7]
	s_and_saveexec_b64 s[6:7], s[4:5]
	s_cbranch_execz .LBB1_16117
; %bb.17911:
	s_getpc_b64 s[14:15]
.Lpost_getpc4859:
	s_add_u32 s14, s14, (.LBB1_4067-.Lpost_getpc4859)&4294967295
	s_addc_u32 s15, s15, (.LBB1_4067-.Lpost_getpc4859)>>32
	s_setpc_b64 s[14:15]
.LBB1_16117:
	s_getpc_b64 s[14:15]
.Lpost_getpc3962:
	s_add_u32 s14, s14, (.LBB1_4068-.Lpost_getpc3962)&4294967295
	s_addc_u32 s15, s15, (.LBB1_4068-.Lpost_getpc3962)>>32
	s_setpc_b64 s[14:15]
.LBB1_8165:
	s_movk_i32 s4, 0x80
	v_cmp_eq_u16_sdwa s[12:13], v3, s4 src0_sel:BYTE_0 src1_sel:DWORD
	s_mov_b64 s[4:5], -1
                                        ; implicit-def: $sgpr10
	s_and_saveexec_b64 s[8:9], s[12:13]
; %bb.8166:
	s_mov_b32 s10, 0x7f800001
	s_xor_b64 s[4:5], exec, -1
; %bb.8167:
	s_or_b64 exec, exec, s[8:9]
	s_and_b64 s[4:5], s[4:5], exec
	s_or_saveexec_b64 s[6:7], s[6:7]
	v_mov_b32_e32 v1, s10
	s_xor_b64 exec, exec, s[6:7]
	s_cbranch_execnz .LBB1_8168
; %bb.17913:
	s_getpc_b64 s[14:15]
.Lpost_getpc4860:
	s_add_u32 s14, s14, (.LBB1_4070-.Lpost_getpc4860)&4294967295
	s_addc_u32 s15, s15, (.LBB1_4070-.Lpost_getpc4860)>>32
	s_setpc_b64 s[14:15]
.LBB1_8168:
	v_mov_b32_e32 v1, 0
	v_cmp_ne_u16_sdwa s[8:9], v3, v1 src0_sel:BYTE_0 src1_sel:DWORD
	s_andn2_b64 s[4:5], s[4:5], exec
	s_and_b64 s[8:9], s[8:9], exec
	s_or_b64 s[4:5], s[4:5], s[8:9]
	s_or_b64 exec, exec, s[6:7]
	s_and_saveexec_b64 s[6:7], s[4:5]
	s_cbranch_execz .LBB1_16119
; %bb.17915:
	s_getpc_b64 s[14:15]
.Lpost_getpc4861:
	s_add_u32 s14, s14, (.LBB1_4071-.Lpost_getpc4861)&4294967295
	s_addc_u32 s15, s15, (.LBB1_4071-.Lpost_getpc4861)>>32
	s_setpc_b64 s[14:15]
.LBB1_16119:
	s_getpc_b64 s[14:15]
.Lpost_getpc3963:
	s_add_u32 s14, s14, (.LBB1_4072-.Lpost_getpc3963)&4294967295
	s_addc_u32 s15, s15, (.LBB1_4072-.Lpost_getpc3963)>>32
	s_setpc_b64 s[14:15]
.LBB1_8169:
	s_movk_i32 s4, 0x80
	v_cmp_eq_u16_sdwa s[12:13], v1, s4 src0_sel:BYTE_0 src1_sel:DWORD
	s_mov_b64 s[4:5], -1
                                        ; implicit-def: $sgpr10
	s_and_saveexec_b64 s[8:9], s[12:13]
; %bb.8170:
	s_mov_b32 s10, 0x7f800001
	s_xor_b64 s[4:5], exec, -1
; %bb.8171:
	s_or_b64 exec, exec, s[8:9]
	s_and_b64 s[4:5], s[4:5], exec
	s_or_saveexec_b64 s[6:7], s[6:7]
	v_mov_b32_e32 v0, s10
	s_xor_b64 exec, exec, s[6:7]
	s_cbranch_execnz .LBB1_8172
; %bb.17917:
	s_getpc_b64 s[14:15]
.Lpost_getpc4862:
	s_add_u32 s14, s14, (.LBB1_4074-.Lpost_getpc4862)&4294967295
	s_addc_u32 s15, s15, (.LBB1_4074-.Lpost_getpc4862)>>32
	s_setpc_b64 s[14:15]
.LBB1_8172:
	v_mov_b32_e32 v0, 0
	v_cmp_ne_u16_sdwa s[8:9], v1, v0 src0_sel:BYTE_0 src1_sel:DWORD
	s_andn2_b64 s[4:5], s[4:5], exec
	s_and_b64 s[8:9], s[8:9], exec
	s_or_b64 s[4:5], s[4:5], s[8:9]
	s_or_b64 exec, exec, s[6:7]
	s_and_saveexec_b64 s[6:7], s[4:5]
	s_cbranch_execz .LBB1_16121
; %bb.17919:
	s_getpc_b64 s[14:15]
.Lpost_getpc4863:
	s_add_u32 s14, s14, (.LBB1_4075-.Lpost_getpc4863)&4294967295
	s_addc_u32 s15, s15, (.LBB1_4075-.Lpost_getpc4863)>>32
	s_setpc_b64 s[14:15]
.LBB1_16121:
	s_getpc_b64 s[14:15]
.Lpost_getpc3964:
	s_add_u32 s14, s14, (.LBB1_4076-.Lpost_getpc3964)&4294967295
	s_addc_u32 s15, s15, (.LBB1_4076-.Lpost_getpc3964)>>32
	s_setpc_b64 s[14:15]
.LBB1_8173:
	s_movk_i32 s4, 0x80
	v_cmp_eq_u16_sdwa s[12:13], v1, s4 src0_sel:BYTE_0 src1_sel:DWORD
	s_mov_b64 s[4:5], -1
                                        ; implicit-def: $sgpr10
	s_and_saveexec_b64 s[8:9], s[12:13]
; %bb.8174:
	s_mov_b32 s10, 0x7f800001
	s_xor_b64 s[4:5], exec, -1
; %bb.8175:
	s_or_b64 exec, exec, s[8:9]
	s_and_b64 s[4:5], s[4:5], exec
	s_or_saveexec_b64 s[6:7], s[6:7]
	v_mov_b32_e32 v2, s10
	s_xor_b64 exec, exec, s[6:7]
	s_cbranch_execnz .LBB1_8176
; %bb.17921:
	s_getpc_b64 s[14:15]
.Lpost_getpc4864:
	s_add_u32 s14, s14, (.LBB1_4078-.Lpost_getpc4864)&4294967295
	s_addc_u32 s15, s15, (.LBB1_4078-.Lpost_getpc4864)>>32
	s_setpc_b64 s[14:15]
.LBB1_8176:
	v_mov_b32_e32 v2, 0
	v_cmp_ne_u16_sdwa s[8:9], v1, v2 src0_sel:BYTE_0 src1_sel:DWORD
	s_andn2_b64 s[4:5], s[4:5], exec
	s_and_b64 s[8:9], s[8:9], exec
	s_or_b64 s[4:5], s[4:5], s[8:9]
	s_or_b64 exec, exec, s[6:7]
	s_and_saveexec_b64 s[6:7], s[4:5]
	s_cbranch_execz .LBB1_16123
; %bb.17923:
	s_getpc_b64 s[14:15]
.Lpost_getpc4865:
	s_add_u32 s14, s14, (.LBB1_4079-.Lpost_getpc4865)&4294967295
	s_addc_u32 s15, s15, (.LBB1_4079-.Lpost_getpc4865)>>32
	s_setpc_b64 s[14:15]
.LBB1_16123:
	s_getpc_b64 s[14:15]
.Lpost_getpc3965:
	s_add_u32 s14, s14, (.LBB1_4080-.Lpost_getpc3965)&4294967295
	s_addc_u32 s15, s15, (.LBB1_4080-.Lpost_getpc3965)>>32
	s_setpc_b64 s[14:15]
.LBB1_8177:
	s_movk_i32 s4, 0x80
	v_cmp_eq_u16_e32 vcc, s4, v1
	s_mov_b64 s[4:5], -1
                                        ; implicit-def: $sgpr10
	s_and_saveexec_b64 s[8:9], vcc
; %bb.8178:
	s_mov_b32 s10, 0x7f800001
	s_xor_b64 s[4:5], exec, -1
; %bb.8179:
	s_or_b64 exec, exec, s[8:9]
	s_and_b64 s[4:5], s[4:5], exec
                                        ; implicit-def: $vgpr1
	s_or_saveexec_b64 s[6:7], s[6:7]
	v_mov_b32_e32 v0, s10
	s_xor_b64 exec, exec, s[6:7]
	s_cbranch_execnz .LBB1_8180
; %bb.17925:
	s_getpc_b64 s[14:15]
.Lpost_getpc4866:
	s_add_u32 s14, s14, (.LBB1_4082-.Lpost_getpc4866)&4294967295
	s_addc_u32 s15, s15, (.LBB1_4082-.Lpost_getpc4866)>>32
	s_setpc_b64 s[14:15]
.LBB1_8180:
	v_cmp_ne_u16_e32 vcc, 0, v1
	s_andn2_b64 s[4:5], s[4:5], exec
	s_and_b64 s[8:9], vcc, exec
	v_mov_b32_e32 v0, 0
	s_or_b64 s[4:5], s[4:5], s[8:9]
	s_or_b64 exec, exec, s[6:7]
	s_and_saveexec_b64 s[6:7], s[4:5]
	s_cbranch_execz .LBB1_16125
; %bb.17927:
	s_getpc_b64 s[14:15]
.Lpost_getpc4867:
	s_add_u32 s14, s14, (.LBB1_4083-.Lpost_getpc4867)&4294967295
	s_addc_u32 s15, s15, (.LBB1_4083-.Lpost_getpc4867)>>32
	s_setpc_b64 s[14:15]
.LBB1_16125:
	s_getpc_b64 s[14:15]
.Lpost_getpc3966:
	s_add_u32 s14, s14, (.LBB1_4084-.Lpost_getpc3966)&4294967295
	s_addc_u32 s15, s15, (.LBB1_4084-.Lpost_getpc3966)>>32
	s_setpc_b64 s[14:15]
.LBB1_8181:
	s_movk_i32 s4, 0x80
	v_cmp_eq_u16_e32 vcc, s4, v1
	s_mov_b64 s[4:5], -1
                                        ; implicit-def: $sgpr10
	s_and_saveexec_b64 s[8:9], vcc
; %bb.8182:
	s_mov_b32 s10, 0x7f800001
	s_xor_b64 s[4:5], exec, -1
; %bb.8183:
	s_or_b64 exec, exec, s[8:9]
	s_and_b64 s[4:5], s[4:5], exec
                                        ; implicit-def: $vgpr1
	s_or_saveexec_b64 s[6:7], s[6:7]
	v_mov_b32_e32 v2, s10
	s_xor_b64 exec, exec, s[6:7]
	s_cbranch_execnz .LBB1_8184
; %bb.17929:
	s_getpc_b64 s[14:15]
.Lpost_getpc4868:
	s_add_u32 s14, s14, (.LBB1_4086-.Lpost_getpc4868)&4294967295
	s_addc_u32 s15, s15, (.LBB1_4086-.Lpost_getpc4868)>>32
	s_setpc_b64 s[14:15]
.LBB1_8184:
	v_cmp_ne_u16_e32 vcc, 0, v1
	s_andn2_b64 s[4:5], s[4:5], exec
	s_and_b64 s[8:9], vcc, exec
	v_mov_b32_e32 v2, 0
	s_or_b64 s[4:5], s[4:5], s[8:9]
	s_or_b64 exec, exec, s[6:7]
	s_and_saveexec_b64 s[6:7], s[4:5]
	s_cbranch_execz .LBB1_16127
; %bb.17931:
	s_getpc_b64 s[14:15]
.Lpost_getpc4869:
	s_add_u32 s14, s14, (.LBB1_4087-.Lpost_getpc4869)&4294967295
	s_addc_u32 s15, s15, (.LBB1_4087-.Lpost_getpc4869)>>32
	s_setpc_b64 s[14:15]
.LBB1_16127:
	s_getpc_b64 s[14:15]
.Lpost_getpc3967:
	s_add_u32 s14, s14, (.LBB1_4088-.Lpost_getpc3967)&4294967295
	s_addc_u32 s15, s15, (.LBB1_4088-.Lpost_getpc3967)>>32
	s_setpc_b64 s[14:15]
.LBB1_8185:
	s_movk_i32 s4, 0x80
	v_cmp_eq_u16_sdwa s[12:13], v7, s4 src0_sel:BYTE_3 src1_sel:DWORD
	s_mov_b64 s[4:5], -1
                                        ; implicit-def: $sgpr10
	s_and_saveexec_b64 s[8:9], s[12:13]
; %bb.8186:
	s_mov_b32 s10, 0x7f800001
	s_xor_b64 s[4:5], exec, -1
; %bb.8187:
	s_or_b64 exec, exec, s[8:9]
	s_and_b64 s[4:5], s[4:5], exec
	s_or_saveexec_b64 s[6:7], s[6:7]
	v_mov_b32_e32 v0, s10
	s_xor_b64 exec, exec, s[6:7]
	s_cbranch_execnz .LBB1_8188
; %bb.17933:
	s_getpc_b64 s[14:15]
.Lpost_getpc4870:
	s_add_u32 s14, s14, (.LBB1_4090-.Lpost_getpc4870)&4294967295
	s_addc_u32 s15, s15, (.LBB1_4090-.Lpost_getpc4870)>>32
	s_setpc_b64 s[14:15]
.LBB1_8188:
	v_mov_b32_e32 v0, 0
	v_cmp_ne_u16_sdwa s[8:9], v7, v0 src0_sel:BYTE_3 src1_sel:DWORD
	s_andn2_b64 s[4:5], s[4:5], exec
	s_and_b64 s[8:9], s[8:9], exec
	s_or_b64 s[4:5], s[4:5], s[8:9]
	s_or_b64 exec, exec, s[6:7]
	s_and_saveexec_b64 s[6:7], s[4:5]
	s_cbranch_execz .LBB1_16129
; %bb.17935:
	s_getpc_b64 s[14:15]
.Lpost_getpc4871:
	s_add_u32 s14, s14, (.LBB1_4091-.Lpost_getpc4871)&4294967295
	s_addc_u32 s15, s15, (.LBB1_4091-.Lpost_getpc4871)>>32
	s_setpc_b64 s[14:15]
.LBB1_16129:
	s_getpc_b64 s[14:15]
.Lpost_getpc3968:
	s_add_u32 s14, s14, (.LBB1_4092-.Lpost_getpc3968)&4294967295
	s_addc_u32 s15, s15, (.LBB1_4092-.Lpost_getpc3968)>>32
	s_setpc_b64 s[14:15]
.LBB1_8189:
	s_movk_i32 s4, 0x80
	v_cmp_eq_u16_sdwa s[12:13], v3, s4 src0_sel:BYTE_3 src1_sel:DWORD
	s_mov_b64 s[4:5], -1
                                        ; implicit-def: $sgpr10
	s_and_saveexec_b64 s[8:9], s[12:13]
; %bb.8190:
	s_mov_b32 s10, 0x7f800001
	s_xor_b64 s[4:5], exec, -1
; %bb.8191:
	s_or_b64 exec, exec, s[8:9]
	s_and_b64 s[4:5], s[4:5], exec
	s_or_saveexec_b64 s[6:7], s[6:7]
	v_mov_b32_e32 v1, s10
	s_xor_b64 exec, exec, s[6:7]
	s_cbranch_execnz .LBB1_8192
; %bb.17937:
	s_getpc_b64 s[14:15]
.Lpost_getpc4872:
	s_add_u32 s14, s14, (.LBB1_4094-.Lpost_getpc4872)&4294967295
	s_addc_u32 s15, s15, (.LBB1_4094-.Lpost_getpc4872)>>32
	s_setpc_b64 s[14:15]
.LBB1_8192:
	v_mov_b32_e32 v1, 0
	v_cmp_ne_u16_sdwa s[8:9], v3, v1 src0_sel:BYTE_3 src1_sel:DWORD
	s_andn2_b64 s[4:5], s[4:5], exec
	s_and_b64 s[8:9], s[8:9], exec
	s_or_b64 s[4:5], s[4:5], s[8:9]
	s_or_b64 exec, exec, s[6:7]
	s_and_saveexec_b64 s[6:7], s[4:5]
	s_cbranch_execz .LBB1_16131
; %bb.17939:
	s_getpc_b64 s[14:15]
.Lpost_getpc4873:
	s_add_u32 s14, s14, (.LBB1_4095-.Lpost_getpc4873)&4294967295
	s_addc_u32 s15, s15, (.LBB1_4095-.Lpost_getpc4873)>>32
	s_setpc_b64 s[14:15]
.LBB1_16131:
	s_getpc_b64 s[14:15]
.Lpost_getpc3969:
	s_add_u32 s14, s14, (.LBB1_4096-.Lpost_getpc3969)&4294967295
	s_addc_u32 s15, s15, (.LBB1_4096-.Lpost_getpc3969)>>32
	s_setpc_b64 s[14:15]
.Lfunc_end1:
	.size	_ZNK2ck6detail7applierIiJLi0ELi1ELi2ELi3ELi4ELi5ELi6ELi7EEEclIZNKS_51BlockwiseGemmXdlops_k0mk1_k0nk1_m0n0m1n1m2m3m4n2_v1ILi256ENS_9f8_fnuz_tENS_10bf8_fnuz_tEfKNS_16TensorDescriptorINS_5TupleIJNS_5EmbedINS8_IJNS_17integral_constantIiLi4EEENSA_IiLi256EEENSA_IiLi16EEEEEENS8_IJNSA_IiLi4112EEESD_NSA_IiLi1EEEEEELb0EEEEEENS8_IJNS_8SequenceIJLi0EEEEEEENS8_IJNSK_IJLi1ELi2ELi3EEEEEEESN_NSA_IlLl16432EEEEEKNS7_INS8_IJNS9_INS8_IJSB_NSA_IiLi128EEESD_EEENS8_IJNSA_IiLi2064EEESD_SG_EEELb0EEEEEESM_SO_SN_NSA_IlLl8240EEEEELi16ELi16ELi8ELi4ELi16ES5_S6_E3RunINS_13DynamicBufferILNS_16AddressSpaceEnumE2ES5_SP_Lb1ELNS_22AmdBufferCoherenceEnumE0EiEENS13_ILS14_2ES6_SY_Lb1ELS15_0EiEENS_25StaticBufferTupleOfVectorILS14_4EfLi32ELi4ELb1ELb0EEEEEvRKT_RKT0_RT1_EUlS1A_E_EEvS1A_, .Lfunc_end1-_ZNK2ck6detail7applierIiJLi0ELi1ELi2ELi3ELi4ELi5ELi6ELi7EEEclIZNKS_51BlockwiseGemmXdlops_k0mk1_k0nk1_m0n0m1n1m2m3m4n2_v1ILi256ENS_9f8_fnuz_tENS_10bf8_fnuz_tEfKNS_16TensorDescriptorINS_5TupleIJNS_5EmbedINS8_IJNS_17integral_constantIiLi4EEENSA_IiLi256EEENSA_IiLi16EEEEEENS8_IJNSA_IiLi4112EEESD_NSA_IiLi1EEEEEELb0EEEEEENS8_IJNS_8SequenceIJLi0EEEEEEENS8_IJNSK_IJLi1ELi2ELi3EEEEEEESN_NSA_IlLl16432EEEEEKNS7_INS8_IJNS9_INS8_IJSB_NSA_IiLi128EEESD_EEENS8_IJNSA_IiLi2064EEESD_SG_EEELb0EEEEEESM_SO_SN_NSA_IlLl8240EEEEELi16ELi16ELi8ELi4ELi16ES5_S6_E3RunINS_13DynamicBufferILNS_16AddressSpaceEnumE2ES5_SP_Lb1ELNS_22AmdBufferCoherenceEnumE0EiEENS13_ILS14_2ES6_SY_Lb1ELS15_0EiEENS_25StaticBufferTupleOfVectorILS14_4EfLi32ELi4ELb1ELb0EEEEEvRKT_RKT0_RT1_EUlS1A_E_EEvS1A_
                                        ; -- End function
	.section	.AMDGPU.csdata,"",@progbits
; Function info:
; codeLenInByte = 390092
; NumSgprs: 36
; NumVgprs: 27
; NumAgprs: 4
; TotalNumVgprs: 32
; ScratchSize: 0
; MemoryBound: 1
	.section	.text._ZN2ck27kernel_gemm_xdl_cshuffle_v1INS_43GridwiseGemm_k0mk1_k0nk1_mn_xdl_cshuffle_v1INS_13tensor_layout4gemm8RowMajorENS3_11ColumnMajorES4_NS_9f8_fnuz_tENS_10bf8_fnuz_tEffDF16_NS_16tensor_operation12element_wise11PassThroughESA_SA_LNS8_6device18GemmSpecializationE0ELNS_25InMemoryDataOperationEnumE0ELi1ELi256ELi256ELi128ELi64ELi16ELi16ELi16ELi16ELi8ELi4ENS_8SequenceIJLi4ELi64ELi1EEEENSE_IJLi1ELi0ELi2EEEESG_Li2ELi16ELi16ELb0ELi1ESF_SG_SG_Li2ELi8ELi8ELb0ELi1ELi1ELi1ENSE_IJLi1ELi32ELi1ELi8EEEELi4ELNS_13LoopSchedulerE0ELNS_15PipelineVersionE0ES6_S7_EELb1EEEvNT_8ArgumentE,"axG",@progbits,_ZN2ck27kernel_gemm_xdl_cshuffle_v1INS_43GridwiseGemm_k0mk1_k0nk1_mn_xdl_cshuffle_v1INS_13tensor_layout4gemm8RowMajorENS3_11ColumnMajorES4_NS_9f8_fnuz_tENS_10bf8_fnuz_tEffDF16_NS_16tensor_operation12element_wise11PassThroughESA_SA_LNS8_6device18GemmSpecializationE0ELNS_25InMemoryDataOperationEnumE0ELi1ELi256ELi256ELi128ELi64ELi16ELi16ELi16ELi16ELi8ELi4ENS_8SequenceIJLi4ELi64ELi1EEEENSE_IJLi1ELi0ELi2EEEESG_Li2ELi16ELi16ELb0ELi1ESF_SG_SG_Li2ELi8ELi8ELb0ELi1ELi1ELi1ENSE_IJLi1ELi32ELi1ELi8EEEELi4ELNS_13LoopSchedulerE0ELNS_15PipelineVersionE0ES6_S7_EELb1EEEvNT_8ArgumentE,comdat
	.protected	_ZN2ck27kernel_gemm_xdl_cshuffle_v1INS_43GridwiseGemm_k0mk1_k0nk1_mn_xdl_cshuffle_v1INS_13tensor_layout4gemm8RowMajorENS3_11ColumnMajorES4_NS_9f8_fnuz_tENS_10bf8_fnuz_tEffDF16_NS_16tensor_operation12element_wise11PassThroughESA_SA_LNS8_6device18GemmSpecializationE0ELNS_25InMemoryDataOperationEnumE0ELi1ELi256ELi256ELi128ELi64ELi16ELi16ELi16ELi16ELi8ELi4ENS_8SequenceIJLi4ELi64ELi1EEEENSE_IJLi1ELi0ELi2EEEESG_Li2ELi16ELi16ELb0ELi1ESF_SG_SG_Li2ELi8ELi8ELb0ELi1ELi1ELi1ENSE_IJLi1ELi32ELi1ELi8EEEELi4ELNS_13LoopSchedulerE0ELNS_15PipelineVersionE0ES6_S7_EELb1EEEvNT_8ArgumentE ; -- Begin function _ZN2ck27kernel_gemm_xdl_cshuffle_v1INS_43GridwiseGemm_k0mk1_k0nk1_mn_xdl_cshuffle_v1INS_13tensor_layout4gemm8RowMajorENS3_11ColumnMajorES4_NS_9f8_fnuz_tENS_10bf8_fnuz_tEffDF16_NS_16tensor_operation12element_wise11PassThroughESA_SA_LNS8_6device18GemmSpecializationE0ELNS_25InMemoryDataOperationEnumE0ELi1ELi256ELi256ELi128ELi64ELi16ELi16ELi16ELi16ELi8ELi4ENS_8SequenceIJLi4ELi64ELi1EEEENSE_IJLi1ELi0ELi2EEEESG_Li2ELi16ELi16ELb0ELi1ESF_SG_SG_Li2ELi8ELi8ELb0ELi1ELi1ELi1ENSE_IJLi1ELi32ELi1ELi8EEEELi4ELNS_13LoopSchedulerE0ELNS_15PipelineVersionE0ES6_S7_EELb1EEEvNT_8ArgumentE
	.globl	_ZN2ck27kernel_gemm_xdl_cshuffle_v1INS_43GridwiseGemm_k0mk1_k0nk1_mn_xdl_cshuffle_v1INS_13tensor_layout4gemm8RowMajorENS3_11ColumnMajorES4_NS_9f8_fnuz_tENS_10bf8_fnuz_tEffDF16_NS_16tensor_operation12element_wise11PassThroughESA_SA_LNS8_6device18GemmSpecializationE0ELNS_25InMemoryDataOperationEnumE0ELi1ELi256ELi256ELi128ELi64ELi16ELi16ELi16ELi16ELi8ELi4ENS_8SequenceIJLi4ELi64ELi1EEEENSE_IJLi1ELi0ELi2EEEESG_Li2ELi16ELi16ELb0ELi1ESF_SG_SG_Li2ELi8ELi8ELb0ELi1ELi1ELi1ENSE_IJLi1ELi32ELi1ELi8EEEELi4ELNS_13LoopSchedulerE0ELNS_15PipelineVersionE0ES6_S7_EELb1EEEvNT_8ArgumentE
	.p2align	8
	.type	_ZN2ck27kernel_gemm_xdl_cshuffle_v1INS_43GridwiseGemm_k0mk1_k0nk1_mn_xdl_cshuffle_v1INS_13tensor_layout4gemm8RowMajorENS3_11ColumnMajorES4_NS_9f8_fnuz_tENS_10bf8_fnuz_tEffDF16_NS_16tensor_operation12element_wise11PassThroughESA_SA_LNS8_6device18GemmSpecializationE0ELNS_25InMemoryDataOperationEnumE0ELi1ELi256ELi256ELi128ELi64ELi16ELi16ELi16ELi16ELi8ELi4ENS_8SequenceIJLi4ELi64ELi1EEEENSE_IJLi1ELi0ELi2EEEESG_Li2ELi16ELi16ELb0ELi1ESF_SG_SG_Li2ELi8ELi8ELb0ELi1ELi1ELi1ENSE_IJLi1ELi32ELi1ELi8EEEELi4ELNS_13LoopSchedulerE0ELNS_15PipelineVersionE0ES6_S7_EELb1EEEvNT_8ArgumentE,@function
_ZN2ck27kernel_gemm_xdl_cshuffle_v1INS_43GridwiseGemm_k0mk1_k0nk1_mn_xdl_cshuffle_v1INS_13tensor_layout4gemm8RowMajorENS3_11ColumnMajorES4_NS_9f8_fnuz_tENS_10bf8_fnuz_tEffDF16_NS_16tensor_operation12element_wise11PassThroughESA_SA_LNS8_6device18GemmSpecializationE0ELNS_25InMemoryDataOperationEnumE0ELi1ELi256ELi256ELi128ELi64ELi16ELi16ELi16ELi16ELi8ELi4ENS_8SequenceIJLi4ELi64ELi1EEEENSE_IJLi1ELi0ELi2EEEESG_Li2ELi16ELi16ELb0ELi1ESF_SG_SG_Li2ELi8ELi8ELb0ELi1ELi1ELi1ENSE_IJLi1ELi32ELi1ELi8EEEELi4ELNS_13LoopSchedulerE0ELNS_15PipelineVersionE0ES6_S7_EELb1EEEvNT_8ArgumentE: ; @_ZN2ck27kernel_gemm_xdl_cshuffle_v1INS_43GridwiseGemm_k0mk1_k0nk1_mn_xdl_cshuffle_v1INS_13tensor_layout4gemm8RowMajorENS3_11ColumnMajorES4_NS_9f8_fnuz_tENS_10bf8_fnuz_tEffDF16_NS_16tensor_operation12element_wise11PassThroughESA_SA_LNS8_6device18GemmSpecializationE0ELNS_25InMemoryDataOperationEnumE0ELi1ELi256ELi256ELi128ELi64ELi16ELi16ELi16ELi16ELi8ELi4ENS_8SequenceIJLi4ELi64ELi1EEEENSE_IJLi1ELi0ELi2EEEESG_Li2ELi16ELi16ELb0ELi1ESF_SG_SG_Li2ELi8ELi8ELb0ELi1ELi1ELi1ENSE_IJLi1ELi32ELi1ELi8EEEELi4ELNS_13LoopSchedulerE0ELNS_15PipelineVersionE0ES6_S7_EELb1EEEvNT_8ArgumentE
; %bb.0:
	s_add_u32 flat_scratch_lo, s6, s9
	s_addc_u32 flat_scratch_hi, s7, 0
	s_add_u32 s0, s0, s9
	s_addc_u32 s1, s1, 0
	v_mov_b32_e32 v36, 0
	buffer_store_dword v36, off, s[0:3], 0 offset:44
	buffer_store_dword v36, off, s[0:3], 0 offset:40
	;; [unrolled: 1-line block ×104, first 2 shown]
	buffer_load_dword v16, off, s[0:3], 0 offset:308
	buffer_load_dword v17, off, s[0:3], 0 offset:304
	;; [unrolled: 1-line block ×46, first 2 shown]
	s_nop 0
	buffer_store_dword v36, off, s[0:3], 0 offset:260
	buffer_store_dword v36, off, s[0:3], 0 offset:256
	;; [unrolled: 1-line block ×21, first 2 shown]
	buffer_load_dword v66, off, s[0:3], 0 offset:476
	s_load_dwordx4 s[16:19], s[4:5], 0x10
	s_load_dwordx2 s[28:29], s[4:5], 0x20
	s_add_u32 s11, 0, 0
	v_mov_b32_e32 v27, v0
	v_and_b32_e32 v7, 63, v27
	s_waitcnt lgkmcnt(0)
	s_addc_u32 s33, s16, -1
	s_add_u32 s6, 0, 0
	s_addc_u32 s6, s17, -1
	s_add_i32 s9, s16, 0xff
	v_and_b32_e32 v9, 48, v27
	s_ashr_i32 s10, s9, 31
	v_lshrrev_b32_e32 v8, 7, v27
	v_sub_u32_e32 v7, v7, v9
	v_bfe_u32 v11, v27, 4, 2
	v_bfe_u32 v13, v27, 6, 1
	s_add_i32 s7, s17, 0x7f
	s_lshr_b32 s10, s10, 24
	v_lshl_add_u32 v10, v8, 4, v7
	v_mul_u32_u24_e32 v12, 0x1010, v11
	v_lshl_add_u32 v14, v13, 4, v7
	v_mul_u32_u24_e32 v15, 0x810, v11
	s_add_i32 s9, s9, s10
	s_ashr_i32 s10, s7, 31
	v_lshl_add_u32 v12, v10, 4, v12
	v_lshl_add_u32 v15, v14, 4, v15
	s_lshr_b32 s10, s10, 25
	s_add_i32 s7, s7, s10
	s_ashr_i32 s9, s9, 8
	s_ashr_i32 s10, s7, 7
	s_mul_i32 s7, s10, s9
	s_abs_i32 s7, s7
	v_cvt_f32_u32_e32 v0, s7
	s_sub_i32 s20, 0, s7
	s_ashr_i32 s16, s8, 31
	s_abs_i32 s8, s8
	buffer_store_dword v36, off, s[0:3], 0 offset:536
	buffer_store_dword v36, off, s[0:3], 0 offset:532
	buffer_store_dword v36, off, s[0:3], 0 offset:528
	buffer_store_dword v12, off, s[0:3], 0 offset:544
	buffer_store_dword v11, off, s[0:3], 0 offset:548
	buffer_store_dword v10, off, s[0:3], 0 offset:552
	buffer_store_dword v36, off, s[0:3], 0 offset:556
	buffer_store_dword v9, off, s[0:3], 0 offset:560
	buffer_store_dword v36, off, s[0:3], 0 offset:564
	buffer_store_dword v8, off, s[0:3], 0 offset:568
	buffer_store_dword v7, off, s[0:3], 0 offset:572
	buffer_store_dword v15, off, s[0:3], 0 offset:576
	buffer_store_dword v11, off, s[0:3], 0 offset:580
	buffer_store_dword v14, off, s[0:3], 0 offset:584
	buffer_store_dword v36, off, s[0:3], 0 offset:588
	buffer_store_dword v9, off, s[0:3], 0 offset:592
	buffer_store_dword v36, off, s[0:3], 0 offset:596
	buffer_store_dword v13, off, s[0:3], 0 offset:600
	buffer_store_dword v7, off, s[0:3], 0 offset:604
	s_waitcnt vmcnt(62)
	buffer_store_dword v18, off, s[0:3], 0 offset:876
	buffer_store_dword v19, off, s[0:3], 0 offset:872
	;; [unrolled: 1-line block ×3, first 2 shown]
	buffer_load_dword v7, off, s[0:3], 0 offset:284
	v_rcp_iflag_f32_e32 v0, v0
	v_and_b32_e32 v3, 0xfc, v27
	v_and_b32_e32 v2, 3, v27
	s_load_dwordx4 s[12:15], s[4:5], 0x48
	v_mul_f32_e32 v0, 0x4f7ffffe, v0
	v_cvt_u32_f32_e32 v0, v0
	v_lshlrev_b32_e32 v37, 4, v2
	s_mul_i32 s6, s6, s28
	s_mov_b64 s[36:37], src_private_base
	v_readfirstlane_b32 s21, v0
	s_mul_i32 s20, s20, s21
	s_mul_hi_u32 s20, s21, s20
	s_add_i32 s21, s21, s20
	s_mul_hi_u32 s20, s8, s21
	s_mul_i32 s20, s20, s7
	s_sub_i32 s8, s8, s20
	s_sub_i32 s20, s8, s7
	s_cmp_ge_u32 s8, s7
	s_cselect_b32 s8, s20, s8
	s_sub_i32 s20, s8, s7
	s_cmp_ge_u32 s8, s7
	s_cselect_b32 s8, s20, s8
	s_abs_i32 s20, s10
	v_cvt_f32_u32_e32 v0, s20
	s_sub_i32 s22, 0, s20
	s_xor_b32 s8, s8, s16
	s_sub_i32 s8, s8, s16
	v_rcp_iflag_f32_e32 v0, v0
	s_abs_i32 s21, s8
	s_xor_b32 s16, s8, s10
	s_ashr_i32 s16, s16, 31
	v_mul_f32_e32 v0, 0x4f7ffffe, v0
	v_cvt_u32_f32_e32 v0, v0
	s_mul_i32 s7, s33, s19
	s_mov_b32 s42, 32
	s_movk_i32 s36, 0x470
	v_readfirstlane_b32 s23, v0
	s_mul_i32 s22, s22, s23
	buffer_store_dword v21, off, s[0:3], 0 offset:864
	buffer_store_dword v29, off, s[0:3], 0 offset:892
	buffer_store_dword v30, off, s[0:3], 0 offset:888
	buffer_store_dword v16, off, s[0:3], 0 offset:884
	buffer_store_dword v17, off, s[0:3], 0 offset:880
	buffer_store_dword v24, off, s[0:3], 0 offset:908
	buffer_store_dword v25, off, s[0:3], 0 offset:904
	buffer_store_dword v26, off, s[0:3], 0 offset:900
	buffer_store_dword v28, off, s[0:3], 0 offset:896
	buffer_store_dword v40, off, s[0:3], 0 offset:924
	buffer_store_dword v41, off, s[0:3], 0 offset:920
	buffer_store_dword v22, off, s[0:3], 0 offset:916
	buffer_store_dword v23, off, s[0:3], 0 offset:912
	buffer_store_dword v33, off, s[0:3], 0 offset:940
	buffer_store_dword v34, off, s[0:3], 0 offset:936
	buffer_store_dword v35, off, s[0:3], 0 offset:932
	buffer_store_dword v39, off, s[0:3], 0 offset:928
	s_waitcnt vmcnt(62)
	buffer_store_dword v48, off, s[0:3], 0 offset:956
	buffer_store_dword v49, off, s[0:3], 0 offset:952
	;; [unrolled: 1-line block ×18, first 2 shown]
	buffer_load_dword v8, off, s[0:3], 0 offset:500
	buffer_load_dword v9, off, s[0:3], 0 offset:496
	;; [unrolled: 1-line block ×7, first 2 shown]
	s_mul_hi_u32 s22, s23, s22
	buffer_store_dword v50, off, s[0:3], 0 offset:1012
	buffer_load_dword v15, off, s[0:3], 0 offset:532
	buffer_load_dword v16, off, s[0:3], 0 offset:528
	;; [unrolled: 1-line block ×8, first 2 shown]
	s_nop 0
	buffer_store_dword v51, off, s[0:3], 0 offset:1008
	buffer_store_dword v60, off, s[0:3], 0 offset:1036
	;; [unrolled: 1-line block ×5, first 2 shown]
	s_waitcnt vmcnt(62)
	buffer_store_dword v66, off, s[0:3], 0 offset:1052
	buffer_load_dword v23, off, s[0:3], 0 offset:540
	buffer_load_dword v24, off, s[0:3], 0 offset:536
	;; [unrolled: 1-line block ×64, first 2 shown]
	s_add_i32 s23, s23, s22
	s_mul_hi_u32 s22, s21, s23
	s_mul_i32 s23, s22, s20
	s_sub_i32 s21, s21, s23
	s_add_i32 s23, s22, 1
	s_sub_i32 s24, s21, s20
	s_cmp_ge_u32 s21, s20
	s_cselect_b32 s22, s23, s22
	s_cselect_b32 s21, s24, s21
	s_add_i32 s23, s22, 1
	s_cmp_ge_u32 s21, s20
	s_cselect_b32 s20, s23, s22
	s_xor_b32 s20, s20, s16
	s_sub_i32 s16, s20, s16
	s_lshr_b32 s20, s9, 29
	s_add_i32 s20, s9, s20
	s_and_b32 s20, s20, -8
	s_sub_i32 s9, s9, s20
	s_cmp_ge_i32 s16, s20
	s_cselect_b32 s9, s9, 8
	s_abs_i32 s21, s9
	v_cvt_f32_u32_e32 v0, s21
	s_mul_i32 s20, s16, s10
	s_sub_i32 s8, s8, s20
	s_ashr_i32 s20, s16, 31
	v_rcp_iflag_f32_e32 v0, v0
	s_lshr_b32 s20, s20, 29
	s_add_i32 s20, s16, s20
	s_and_b32 s20, s20, -8
	v_mul_f32_e32 v0, 0x4f7ffffe, v0
	v_cvt_u32_f32_e32 v0, v0
	s_sub_i32 s20, s16, s20
	s_sub_i32 s23, 0, s21
	s_mul_i32 s10, s20, s10
	v_readfirstlane_b32 s24, v0
	s_mul_i32 s23, s23, s24
	s_add_i32 s10, s10, s8
	s_mul_hi_u32 s23, s24, s23
	s_abs_i32 s22, s10
	s_add_i32 s24, s24, s23
	s_mul_hi_u32 s23, s22, s24
	s_mul_i32 s24, s23, s21
	s_xor_b32 s8, s10, s9
	s_sub_i32 s22, s22, s24
	s_ashr_i32 s8, s8, 31
	s_add_i32 s24, s23, 1
	s_sub_i32 s25, s22, s21
	s_cmp_ge_u32 s22, s21
	s_cselect_b32 s23, s24, s23
	s_cselect_b32 s22, s25, s22
	s_add_i32 s24, s23, 1
	s_cmp_ge_u32 s22, s21
	s_cselect_b32 s21, s24, s23
	s_xor_b32 s21, s21, s8
	s_sub_i32 s8, s21, s8
	s_mul_i32 s9, s8, s9
	s_sub_i32 s9, s10, s9
	s_add_i32 s9, s9, s16
	s_sub_i32 s16, s9, s20
	s_lshl_b32 s9, s16, 8
	s_lshl_b32 s38, s8, 7
	v_add_u32_e32 v1, s9, v3
	v_lshlrev_b32_e32 v3, 4, v3
	s_movk_i32 s8, 0x1010
	v_mad_u32_u24 v4, v2, s8, v3
	s_mov_b64 s[8:9], src_shared_base
	v_mul_lo_u32 v0, v1, s19
	v_add_u32_e32 v6, v0, v37
	s_add_i32 s22, s18, s7
	s_mov_b32 s23, 0x20000
	s_waitcnt lgkmcnt(0)
	s_mov_b32 s20, s12
	s_mov_b32 s21, s13
	v_lshrrev_b32_e32 v3, 1, v27
	s_waitcnt vmcnt(62)
	buffer_store_dword v14, off, s[0:3], 0 offset:1048
	buffer_store_dword v58, off, s[0:3], 0 offset:1044
	;; [unrolled: 1-line block ×7, first 2 shown]
	buffer_load_dword v10, off, s[0:3], 0 offset:280
	s_nop 0
	buffer_store_dword v21, off, s[0:3], 0 offset:1084
	buffer_store_dword v22, off, s[0:3], 0 offset:1080
	;; [unrolled: 1-line block ×12, first 2 shown]
	s_waitcnt vmcnt(62)
	buffer_store_dword v28, off, s[0:3], 0 offset:620
	v_mov_b32_e32 v8, s9
	buffer_store_dword v8, off, s[0:3], 0 offset:1124
	buffer_load_dword v24, off, s[0:3], 0 offset:1124
	s_nop 0
	buffer_store_dword v26, off, s[0:3], 0 offset:616
	buffer_store_dword v36, off, s[0:3], 0 offset:1120
	buffer_load_dword v26, off, s[0:3], 0 offset:1120
	v_and_b32_e32 v3, 0x7e, v3
	v_add_u32_e32 v5, s38, v3
	v_mul_lo_u32 v38, v5, s28
	v_add_u32_e32 v5, v38, v37
	s_add_i32 s26, s18, s6
	s_mov_b32 s24, s14
	s_mov_b32 s25, s15
	s_mov_b32 s27, s23
	v_mul_u32_u24_e32 v2, 0x810, v2
	v_lshl_add_u32 v2, v3, 4, v2
	s_mov_b32 s40, s37
	s_movk_i32 s43, 0x460
	buffer_store_dword v29, off, s[0:3], 0 offset:612
	buffer_store_dword v25, off, s[0:3], 0 offset:608
	;; [unrolled: 1-line block ×16, first 2 shown]
	s_waitcnt vmcnt(62)
	buffer_store_dword v49, off, s[0:3], 0 offset:676
	buffer_store_dword v50, off, s[0:3], 0 offset:672
	;; [unrolled: 1-line block ×18, first 2 shown]
	s_waitcnt vmcnt(62)
	buffer_store_dword v75, off, s[0:3], 0 offset:764
	buffer_store_dword v76, off, s[0:3], 0 offset:760
	;; [unrolled: 1-line block ×16, first 2 shown]
	s_waitcnt vmcnt(62)
	buffer_store_dword v91, off, s[0:3], 0 offset:828
	buffer_store_dword v92, off, s[0:3], 0 offset:824
	;; [unrolled: 1-line block ×12, first 2 shown]
	buffer_store_byte v36, off, s[0:3], 0 offset:1129
	buffer_store_dword v8, off, s[0:3], 0 offset:1140
	v_mov_b32_e32 v7, 0x4030
	buffer_store_dword v7, off, s[0:3], 0 offset:1136
	buffer_store_byte v36, off, s[0:3], 0 offset:1145
	v_add_u32_e32 v7, s19, v6
	buffer_load_dwordx4 v[8:11], v6, s[20:23], 0 offen
	buffer_load_dwordx4 v[12:15], v7, s[20:23], 0 offen
	v_add_u32_e32 v6, s19, v7
	v_add_u32_e32 v7, s19, v6
	buffer_load_dwordx4 v[16:19], v6, s[20:23], 0 offen
	buffer_load_dwordx4 v[20:23], v7, s[20:23], 0 offen
	v_add_u32_e32 v6, s28, v5
	v_add_u32_e32 v7, 8, v6
	buffer_load_dwordx2 v[34:35], v7, s[24:27], 0 offen
	buffer_load_dwordx4 v[40:43], v5, s[24:27], 0 offen
	buffer_load_dwordx2 v[32:33], v6, s[24:27], 0 offen
	s_nop 0
	buffer_store_dword v36, off, s[0:3], 0 offset:612
	buffer_store_dword v36, off, s[0:3], 0 offset:608
	;; [unrolled: 1-line block ×128, first 2 shown]
	s_mov_b32 s44, s37
	s_movk_i32 s39, 0x260
	s_mov_b32 s41, s37
	s_mov_b32 s45, 0
	;; [unrolled: 1-line block ×5, first 2 shown]
	v_add_u32_e32 v39, s28, v38
	s_mov_b32 s32, 0x12400
	s_waitcnt vmcnt(62)
	v_add_co_u32_e32 v28, vcc, v26, v4
	v_addc_co_u32_e32 v29, vcc, 0, v24, vcc
	flat_store_dwordx4 v[28:29], v[8:11]
	flat_store_dwordx4 v[28:29], v[12:15] offset:16
	flat_store_dwordx4 v[28:29], v[16:19] offset:32
	;; [unrolled: 1-line block ×3, first 2 shown]
	buffer_load_dword v4, off, s[0:3], 0 offset:1136
	buffer_load_dword v5, off, s[0:3], 0 offset:1140
	s_load_dword s6, s[4:5], 0x34
	s_load_dwordx2 s[34:35], s[4:5], 0x58
	v_and_b32_e32 v3, 0xff000000, v41
	v_and_b32_e32 v6, 0xff0000, v41
	v_or_b32_e32 v3, v6, v3
	v_and_b32_e32 v6, 0xff00, v41
	v_and_b32_e32 v7, 0xff, v41
	v_or3_b32 v41, v3, v6, v7
	v_and_b32_e32 v3, 0xff0000, v43
	s_waitcnt lgkmcnt(0)
	s_ashr_i32 s4, s6, 31
	s_lshr_b32 s4, s4, 30
	s_add_i32 s6, s6, s4
	s_ashr_i32 s4, s6, 2
	s_add_i32 s4, s4, -1
	s_max_i32 s49, s4, 1
	s_waitcnt vmcnt(0)
	v_add_co_u32_e32 v30, vcc, v4, v2
	v_and_b32_e32 v2, 0xff000000, v43
	v_or_b32_e32 v2, v3, v2
	v_and_b32_e32 v3, 0xff00, v43
	v_and_b32_e32 v4, 0xff, v43
	v_or3_b32 v43, v2, v3, v4
	v_and_b32_e32 v2, 0xff000000, v35
	v_and_b32_e32 v3, 0xff0000, v35
	v_or_b32_e32 v2, v2, v3
	v_and_b32_e32 v3, 0xff00, v35
	v_and_b32_e32 v4, 0xff, v35
	v_or3_b32 v35, v2, v3, v4
	v_and_b32_e32 v2, 0xff000000, v33
	v_and_b32_e32 v3, 0xff0000, v33
	v_or_b32_e32 v2, v3, v2
	v_and_b32_e32 v3, 0xff00, v33
	v_and_b32_e32 v4, 0xff, v33
	v_addc_co_u32_e32 v31, vcc, 0, v5, vcc
	v_or3_b32 v33, v2, v3, v4
	v_add_u32_e32 v2, 3, v1
	flat_store_dwordx4 v[30:31], v[32:35] offset:16
	v_add_u32_e32 v1, 2, v1
	v_mad_u64_u32 v[32:33], s[4:5], s19, v2, 64
	v_mad_u64_u32 v[34:35], s[4:5], s19, v1, 64
	v_add_u32_e32 v33, 64, v0
	v_add_u32_e32 v35, s19, v33
	flat_store_dwordx4 v[30:31], v[40:43]
.LBB2_1:                                ; =>This Inner Loop Header: Depth=1
	v_add_u32_e32 v0, v37, v33
	v_add_u32_e32 v1, v37, v38
	;; [unrolled: 1-line block ×3, first 2 shown]
	buffer_load_dwordx4 v[40:43], v0, s[20:23], 0 offen
	buffer_load_dwordx4 v[44:47], v2, s[20:23], 0 offen
	v_add_u32_e32 v0, v37, v34
	v_add_u32_e32 v2, v37, v32
	buffer_load_dwordx4 v[48:51], v0, s[20:23], 0 offen
	buffer_load_dwordx4 v[52:55], v2, s[20:23], 0 offen
	s_waitcnt lgkmcnt(0)
	s_barrier
	v_add_u32_e32 v0, v37, v39
	buffer_load_dwordx4 v[56:59], v1, s[24:27], 0 offen offset:64
	buffer_load_dwordx4 v[60:63], v0, s[24:27], 0 offen offset:64
	v_mov_b32_e32 v0, s42
	v_mov_b32_e32 v1, s37
	;; [unrolled: 1-line block ×12, first 2 shown]
	buffer_store_dword v36, off, s[0:3], 0
	buffer_store_dword v36, off, s[0:3], 0 offset:4
	buffer_store_dword v36, off, s[0:3], 0 offset:8
	;; [unrolled: 1-line block ×3, first 2 shown]
	s_getpc_b64 s[18:19]
	s_add_u32 s18, s18, _ZNK2ck6detail7applierIiJLi0ELi1ELi2ELi3ELi4ELi5ELi6ELi7EEEclIZNKS_51BlockwiseGemmXdlops_k0mk1_k0nk1_m0n0m1n1m2m3m4n2_v1ILi256ENS_9f8_fnuz_tENS_10bf8_fnuz_tEfKNS_16TensorDescriptorINS_5TupleIJNS_5EmbedINS8_IJNS_17integral_constantIiLi4EEENSA_IiLi256EEENSA_IiLi16EEEEEENS8_IJNSA_IiLi4112EEESD_NSA_IiLi1EEEEEELb0EEEEEENS8_IJNS_8SequenceIJLi0EEEEEEENS8_IJNSK_IJLi1ELi2ELi3EEEEEEESN_NSA_IlLl16432EEEEEKNS7_INS8_IJNS9_INS8_IJSB_NSA_IiLi128EEESD_EEENS8_IJNSA_IiLi2064EEESD_SG_EEELb0EEEEEESM_SO_SN_NSA_IlLl8240EEEEELi16ELi16ELi8ELi4ELi16ES5_S6_E3RunINS_13DynamicBufferILNS_16AddressSpaceEnumE2ES5_SP_Lb1ELNS_22AmdBufferCoherenceEnumE0EiEENS13_ILS14_2ES6_SY_Lb1ELS15_0EiEENS_25StaticBufferTupleOfVectorILS14_4EfLi32ELi4ELb1ELb0EEEEEvRKT_RKT0_RT1_EUlS1A_E_EEvS1A_@rel32@lo+4
	s_addc_u32 s19, s19, _ZNK2ck6detail7applierIiJLi0ELi1ELi2ELi3ELi4ELi5ELi6ELi7EEEclIZNKS_51BlockwiseGemmXdlops_k0mk1_k0nk1_m0n0m1n1m2m3m4n2_v1ILi256ENS_9f8_fnuz_tENS_10bf8_fnuz_tEfKNS_16TensorDescriptorINS_5TupleIJNS_5EmbedINS8_IJNS_17integral_constantIiLi4EEENSA_IiLi256EEENSA_IiLi16EEEEEENS8_IJNSA_IiLi4112EEESD_NSA_IiLi1EEEEEELb0EEEEEENS8_IJNS_8SequenceIJLi0EEEEEEENS8_IJNSK_IJLi1ELi2ELi3EEEEEEESN_NSA_IlLl16432EEEEEKNS7_INS8_IJNS9_INS8_IJSB_NSA_IiLi128EEESD_EEENS8_IJNSA_IiLi2064EEESD_SG_EEELb0EEEEEESM_SO_SN_NSA_IlLl8240EEEEELi16ELi16ELi8ELi4ELi16ES5_S6_E3RunINS_13DynamicBufferILNS_16AddressSpaceEnumE2ES5_SP_Lb1ELNS_22AmdBufferCoherenceEnumE0EiEENS13_ILS14_2ES6_SY_Lb1ELS15_0EiEENS_25StaticBufferTupleOfVectorILS14_4EfLi32ELi4ELb1ELb0EEEEEvRKT_RKT0_RT1_EUlS1A_E_EEvS1A_@rel32@hi+12
	s_swappc_b64 s[30:31], s[18:19]
	v_and_b32_e32 v0, 0xff000000, v57
	v_and_b32_e32 v1, 0xff0000, v57
	v_or_b32_e32 v0, v1, v0
	v_and_b32_e32 v1, 0xff00, v57
	v_and_b32_e32 v2, 0xff, v57
	v_or3_b32 v57, v0, v1, v2
	v_and_b32_e32 v0, 0xff000000, v59
	v_and_b32_e32 v1, 0xff0000, v59
	v_or_b32_e32 v0, v1, v0
	v_and_b32_e32 v1, 0xff00, v59
	v_and_b32_e32 v2, 0xff, v59
	v_or3_b32 v59, v0, v1, v2
	v_and_b32_e32 v0, 0xff000000, v63
	v_and_b32_e32 v1, 0xff0000, v63
	v_or_b32_e32 v0, v1, v0
	v_and_b32_e32 v1, 0xff00, v63
	v_and_b32_e32 v2, 0xff, v63
	v_or3_b32 v63, v0, v1, v2
	v_and_b32_e32 v0, 0xff000000, v61
	v_and_b32_e32 v1, 0xff0000, v61
	v_or_b32_e32 v0, v1, v0
	v_and_b32_e32 v1, 0xff00, v61
	v_and_b32_e32 v2, 0xff, v61
	s_add_i32 s49, s49, -1
	v_or3_b32 v61, v0, v1, v2
	v_add_u32_e32 v39, 64, v39
	v_add_u32_e32 v38, 64, v38
	;; [unrolled: 1-line block ×5, first 2 shown]
	s_cmp_lg_u32 s49, 0
	v_add_u32_e32 v33, 64, v33
	s_waitcnt lgkmcnt(0)
	s_barrier
	flat_store_dwordx4 v[28:29], v[40:43]
	flat_store_dwordx4 v[28:29], v[44:47] offset:16
	flat_store_dwordx4 v[28:29], v[48:51] offset:32
	;; [unrolled: 1-line block ×3, first 2 shown]
	flat_store_dwordx4 v[30:31], v[56:59]
	flat_store_dwordx4 v[30:31], v[60:63] offset:16
	s_cbranch_scc1 .LBB2_1
; %bb.2:
	s_mul_i32 s33, s33, s29
	s_mul_hi_u32 s4, s11, s29
	s_add_i32 s11, s4, s33
	s_mov_b64 s[4:5], src_private_base
	v_mov_b32_e32 v0, 0
	s_waitcnt lgkmcnt(0)
	s_barrier
	buffer_store_dword v0, off, s[0:3], 0
	buffer_store_dword v0, off, s[0:3], 0 offset:4
	buffer_store_dword v0, off, s[0:3], 0 offset:8
	;; [unrolled: 1-line block ×3, first 2 shown]
	v_mov_b32_e32 v0, s42
	v_mov_b32_e32 v1, s37
	;; [unrolled: 1-line block ×12, first 2 shown]
	s_swappc_b64 s[30:31], s[18:19]
	s_waitcnt lgkmcnt(0)
	s_barrier
	buffer_load_dword v2, off, s[0:3], 0 offset:608
	buffer_load_dword v3, off, s[0:3], 0 offset:612
	;; [unrolled: 1-line block ×4, first 2 shown]
	v_and_b32_e32 v0, 15, v27
	v_lshrrev_b32_e32 v1, 2, v27
	v_lshlrev_b32_e32 v6, 2, v27
	v_lshlrev_b32_e32 v7, 3, v27
	s_movk_i32 s5, 0x180
	v_and_b32_e32 v1, 16, v1
	v_and_b32_e32 v9, 0x200, v6
	v_and_or_b32 v0, v7, s5, v0
	v_and_b32_e32 v6, 28, v6
	v_lshrrev_b32_e32 v8, 3, v27
	v_or3_b32 v0, v0, v9, v1
	v_lshlrev_b32_e32 v7, 2, v6
	v_lshlrev_b32_e32 v1, 2, v0
	v_lshl_or_b32 v0, v8, 7, v7
	v_lshl_or_b32 v7, s16, 8, v8
	v_or_b32_e32 v6, s38, v6
	s_add_i32 s6, s17, s11
	v_mad_u64_u32 v[6:7], s[8:9], v7, s29, v[6:7]
	s_mov_b32 s7, 0x20000
	s_mov_b32 s4, s34
	;; [unrolled: 1-line block ×3, first 2 shown]
	s_lshl_b32 s6, s6, 1
	v_lshlrev_b32_e32 v7, 1, v6
	s_lshl_b32 s8, s29, 5
	s_waitcnt vmcnt(2)
	ds_write2_b32 v1, v2, v3 offset1:32
	s_waitcnt vmcnt(0)
	ds_write2_b32 v1, v4, v5 offset0:64 offset1:96
	s_waitcnt lgkmcnt(0)
	s_barrier
	ds_read_b128 v[2:5], v0
	s_waitcnt lgkmcnt(0)
	v_cvt_f16_f32_e32 v2, v2
	v_cvt_f16_f32_e32 v8, v3
	;; [unrolled: 1-line block ×4, first 2 shown]
	v_pack_b32_f16 v2, v2, v8
	v_pack_b32_f16 v3, v3, v4
	buffer_store_dwordx2 v[2:3], v7, s[4:7], 0 offen
	s_waitcnt lgkmcnt(0)
	s_barrier
	buffer_load_dword v2, off, s[0:3], 0 offset:624
	buffer_load_dword v3, off, s[0:3], 0 offset:628
	buffer_load_dword v4, off, s[0:3], 0 offset:632
	buffer_load_dword v5, off, s[0:3], 0 offset:636
	s_waitcnt vmcnt(2)
	ds_write2_b32 v1, v2, v3 offset1:32
	s_waitcnt vmcnt(0)
	ds_write2_b32 v1, v4, v5 offset0:64 offset1:96
	s_waitcnt lgkmcnt(0)
	s_barrier
	ds_read_b128 v[2:5], v0
	s_waitcnt lgkmcnt(0)
	v_cvt_f16_f32_e32 v2, v2
	v_cvt_f16_f32_e32 v4, v4
	;; [unrolled: 1-line block ×4, first 2 shown]
	v_pack_b32_f16 v3, v4, v5
	v_pack_b32_f16 v2, v2, v8
	buffer_store_dwordx2 v[2:3], v7, s[4:7], 0 offen offset:64
	s_waitcnt lgkmcnt(0)
	s_barrier
	buffer_load_dword v2, off, s[0:3], 0 offset:640
	buffer_load_dword v3, off, s[0:3], 0 offset:644
	;; [unrolled: 1-line block ×4, first 2 shown]
	s_waitcnt vmcnt(2)
	ds_write2_b32 v1, v2, v3 offset1:32
	s_waitcnt vmcnt(0)
	ds_write2_b32 v1, v4, v5 offset0:64 offset1:96
	s_waitcnt lgkmcnt(0)
	s_barrier
	ds_read_b128 v[2:5], v0
	s_waitcnt lgkmcnt(0)
	v_cvt_f16_f32_e32 v2, v2
	v_cvt_f16_f32_e32 v4, v4
	;; [unrolled: 1-line block ×4, first 2 shown]
	v_pack_b32_f16 v3, v4, v5
	v_pack_b32_f16 v2, v2, v8
	buffer_store_dwordx2 v[2:3], v7, s[4:7], 0 offen offset:128
	s_waitcnt lgkmcnt(0)
	s_barrier
	buffer_load_dword v2, off, s[0:3], 0 offset:656
	buffer_load_dword v3, off, s[0:3], 0 offset:660
	;; [unrolled: 1-line block ×4, first 2 shown]
	v_add_u32_e32 v8, 0x60, v6
	v_lshlrev_b32_e32 v9, 1, v8
	v_add_lshl_u32 v8, v8, s8, 1
	v_add_u32_e32 v6, s8, v6
	s_waitcnt vmcnt(2)
	ds_write2_b32 v1, v2, v3 offset1:32
	s_waitcnt vmcnt(0)
	ds_write2_b32 v1, v4, v5 offset0:64 offset1:96
	s_waitcnt lgkmcnt(0)
	s_barrier
	ds_read_b128 v[2:5], v0
	s_waitcnt lgkmcnt(0)
	v_cvt_f16_f32_e32 v2, v2
	v_cvt_f16_f32_e32 v4, v4
	;; [unrolled: 1-line block ×4, first 2 shown]
	v_pack_b32_f16 v3, v4, v5
	v_pack_b32_f16 v2, v2, v7
	buffer_store_dwordx2 v[2:3], v9, s[4:7], 0 offen
	s_waitcnt lgkmcnt(0)
	s_barrier
	buffer_load_dword v2, off, s[0:3], 0 offset:720
	buffer_load_dword v3, off, s[0:3], 0 offset:724
	;; [unrolled: 1-line block ×4, first 2 shown]
	v_subrev_u32_e32 v9, 64, v8
	s_waitcnt vmcnt(2)
	ds_write2_b32 v1, v2, v3 offset1:32
	s_waitcnt vmcnt(0)
	ds_write2_b32 v1, v4, v5 offset0:64 offset1:96
	s_waitcnt lgkmcnt(0)
	s_barrier
	ds_read_b128 v[2:5], v0
	s_waitcnt lgkmcnt(0)
	v_cvt_f16_f32_e32 v2, v2
	v_cvt_f16_f32_e32 v4, v4
	;; [unrolled: 1-line block ×4, first 2 shown]
	v_pack_b32_f16 v3, v4, v5
	v_pack_b32_f16 v2, v2, v7
	buffer_store_dwordx2 v[2:3], v8, s[4:7], 0 offen
	s_waitcnt lgkmcnt(0)
	s_barrier
	buffer_load_dword v2, off, s[0:3], 0 offset:704
	buffer_load_dword v3, off, s[0:3], 0 offset:708
	;; [unrolled: 1-line block ×4, first 2 shown]
	v_add_u32_e32 v8, 0xffffff80, v8
	s_waitcnt vmcnt(2)
	ds_write2_b32 v1, v2, v3 offset1:32
	s_waitcnt vmcnt(0)
	ds_write2_b32 v1, v4, v5 offset0:64 offset1:96
	s_waitcnt lgkmcnt(0)
	s_barrier
	ds_read_b128 v[2:5], v0
	s_waitcnt lgkmcnt(0)
	v_cvt_f16_f32_e32 v2, v2
	v_cvt_f16_f32_e32 v4, v4
	;; [unrolled: 1-line block ×4, first 2 shown]
	v_pack_b32_f16 v3, v4, v5
	v_pack_b32_f16 v2, v2, v7
	buffer_store_dwordx2 v[2:3], v9, s[4:7], 0 offen
	s_waitcnt lgkmcnt(0)
	s_barrier
	buffer_load_dword v2, off, s[0:3], 0 offset:688
	buffer_load_dword v3, off, s[0:3], 0 offset:692
	;; [unrolled: 1-line block ×4, first 2 shown]
	s_waitcnt vmcnt(2)
	ds_write2_b32 v1, v2, v3 offset1:32
	s_waitcnt vmcnt(0)
	ds_write2_b32 v1, v4, v5 offset0:64 offset1:96
	s_waitcnt lgkmcnt(0)
	s_barrier
	ds_read_b128 v[2:5], v0
	s_waitcnt lgkmcnt(0)
	v_cvt_f16_f32_e32 v2, v2
	v_cvt_f16_f32_e32 v4, v4
	;; [unrolled: 1-line block ×4, first 2 shown]
	v_pack_b32_f16 v3, v4, v5
	v_pack_b32_f16 v2, v2, v7
	buffer_store_dwordx2 v[2:3], v8, s[4:7], 0 offen
	s_waitcnt lgkmcnt(0)
	s_barrier
	buffer_load_dword v2, off, s[0:3], 0 offset:672
	buffer_load_dword v3, off, s[0:3], 0 offset:676
	;; [unrolled: 1-line block ×4, first 2 shown]
	v_lshlrev_b32_e32 v8, 1, v6
	v_add_u32_e32 v6, s8, v6
	s_waitcnt vmcnt(2)
	ds_write2_b32 v1, v2, v3 offset1:32
	s_waitcnt vmcnt(0)
	ds_write2_b32 v1, v4, v5 offset0:64 offset1:96
	s_waitcnt lgkmcnt(0)
	s_barrier
	ds_read_b128 v[2:5], v0
	s_waitcnt lgkmcnt(0)
	v_cvt_f16_f32_e32 v2, v2
	v_cvt_f16_f32_e32 v4, v4
	;; [unrolled: 1-line block ×4, first 2 shown]
	v_pack_b32_f16 v3, v4, v5
	v_pack_b32_f16 v2, v2, v7
	buffer_store_dwordx2 v[2:3], v8, s[4:7], 0 offen
	s_waitcnt lgkmcnt(0)
	s_barrier
	buffer_load_dword v2, off, s[0:3], 0 offset:736
	buffer_load_dword v3, off, s[0:3], 0 offset:740
	;; [unrolled: 1-line block ×4, first 2 shown]
	v_lshlrev_b32_e32 v8, 1, v6
	s_waitcnt vmcnt(2)
	ds_write2_b32 v1, v2, v3 offset1:32
	s_waitcnt vmcnt(0)
	ds_write2_b32 v1, v4, v5 offset0:64 offset1:96
	s_waitcnt lgkmcnt(0)
	s_barrier
	ds_read_b128 v[2:5], v0
	s_waitcnt lgkmcnt(0)
	v_cvt_f16_f32_e32 v2, v2
	v_cvt_f16_f32_e32 v4, v4
	;; [unrolled: 1-line block ×4, first 2 shown]
	v_pack_b32_f16 v3, v4, v5
	v_pack_b32_f16 v2, v2, v7
	buffer_store_dwordx2 v[2:3], v8, s[4:7], 0 offen
	s_waitcnt lgkmcnt(0)
	s_barrier
	buffer_load_dword v2, off, s[0:3], 0 offset:752
	buffer_load_dword v3, off, s[0:3], 0 offset:756
	;; [unrolled: 1-line block ×4, first 2 shown]
	s_waitcnt vmcnt(2)
	ds_write2_b32 v1, v2, v3 offset1:32
	s_waitcnt vmcnt(0)
	ds_write2_b32 v1, v4, v5 offset0:64 offset1:96
	s_waitcnt lgkmcnt(0)
	s_barrier
	ds_read_b128 v[2:5], v0
	s_waitcnt lgkmcnt(0)
	v_cvt_f16_f32_e32 v2, v2
	v_cvt_f16_f32_e32 v4, v4
	;; [unrolled: 1-line block ×4, first 2 shown]
	v_pack_b32_f16 v3, v4, v5
	v_pack_b32_f16 v2, v2, v7
	buffer_store_dwordx2 v[2:3], v8, s[4:7], 0 offen offset:64
	s_waitcnt lgkmcnt(0)
	s_barrier
	buffer_load_dword v2, off, s[0:3], 0 offset:768
	buffer_load_dword v3, off, s[0:3], 0 offset:772
	;; [unrolled: 1-line block ×4, first 2 shown]
	s_waitcnt vmcnt(2)
	ds_write2_b32 v1, v2, v3 offset1:32
	s_waitcnt vmcnt(0)
	ds_write2_b32 v1, v4, v5 offset0:64 offset1:96
	s_waitcnt lgkmcnt(0)
	s_barrier
	ds_read_b128 v[2:5], v0
	s_waitcnt lgkmcnt(0)
	v_cvt_f16_f32_e32 v2, v2
	v_cvt_f16_f32_e32 v4, v4
	;; [unrolled: 1-line block ×4, first 2 shown]
	v_pack_b32_f16 v3, v4, v5
	v_pack_b32_f16 v2, v2, v7
	buffer_store_dwordx2 v[2:3], v8, s[4:7], 0 offen offset:128
	s_waitcnt lgkmcnt(0)
	s_barrier
	buffer_load_dword v2, off, s[0:3], 0 offset:784
	buffer_load_dword v3, off, s[0:3], 0 offset:788
	;; [unrolled: 1-line block ×4, first 2 shown]
	s_waitcnt vmcnt(2)
	ds_write2_b32 v1, v2, v3 offset1:32
	s_waitcnt vmcnt(0)
	ds_write2_b32 v1, v4, v5 offset0:64 offset1:96
	s_waitcnt lgkmcnt(0)
	s_barrier
	ds_read_b128 v[2:5], v0
	v_add_u32_e32 v8, 0x60, v6
	v_lshlrev_b32_e32 v9, 1, v8
	v_add_lshl_u32 v8, v8, s8, 1
	v_add_u32_e32 v6, s8, v6
	s_waitcnt lgkmcnt(0)
	v_cvt_f16_f32_e32 v2, v2
	v_cvt_f16_f32_e32 v4, v4
	;; [unrolled: 1-line block ×4, first 2 shown]
	v_pack_b32_f16 v3, v4, v5
	v_pack_b32_f16 v2, v2, v7
	buffer_store_dwordx2 v[2:3], v9, s[4:7], 0 offen
	s_waitcnt lgkmcnt(0)
	s_barrier
	buffer_load_dword v2, off, s[0:3], 0 offset:848
	buffer_load_dword v3, off, s[0:3], 0 offset:852
	;; [unrolled: 1-line block ×4, first 2 shown]
	s_waitcnt vmcnt(2)
	ds_write2_b32 v1, v2, v3 offset1:32
	s_waitcnt vmcnt(0)
	ds_write2_b32 v1, v4, v5 offset0:64 offset1:96
	s_waitcnt lgkmcnt(0)
	s_barrier
	ds_read_b128 v[2:5], v0
	v_subrev_u32_e32 v9, 64, v8
	s_waitcnt lgkmcnt(0)
	v_cvt_f16_f32_e32 v2, v2
	v_cvt_f16_f32_e32 v4, v4
	;; [unrolled: 1-line block ×4, first 2 shown]
	v_pack_b32_f16 v3, v4, v5
	v_pack_b32_f16 v2, v2, v7
	buffer_store_dwordx2 v[2:3], v8, s[4:7], 0 offen
	s_waitcnt lgkmcnt(0)
	s_barrier
	buffer_load_dword v2, off, s[0:3], 0 offset:832
	buffer_load_dword v3, off, s[0:3], 0 offset:836
	;; [unrolled: 1-line block ×4, first 2 shown]
	s_waitcnt vmcnt(2)
	ds_write2_b32 v1, v2, v3 offset1:32
	s_waitcnt vmcnt(0)
	ds_write2_b32 v1, v4, v5 offset0:64 offset1:96
	s_waitcnt lgkmcnt(0)
	s_barrier
	ds_read_b128 v[2:5], v0
	v_add_u32_e32 v8, 0xffffff80, v8
	s_waitcnt lgkmcnt(0)
	v_cvt_f16_f32_e32 v2, v2
	v_cvt_f16_f32_e32 v4, v4
	;; [unrolled: 1-line block ×4, first 2 shown]
	v_pack_b32_f16 v3, v4, v5
	v_pack_b32_f16 v2, v2, v7
	buffer_store_dwordx2 v[2:3], v9, s[4:7], 0 offen
	s_waitcnt lgkmcnt(0)
	s_barrier
	buffer_load_dword v2, off, s[0:3], 0 offset:816
	buffer_load_dword v3, off, s[0:3], 0 offset:820
	;; [unrolled: 1-line block ×4, first 2 shown]
	s_waitcnt vmcnt(2)
	ds_write2_b32 v1, v2, v3 offset1:32
	s_waitcnt vmcnt(0)
	ds_write2_b32 v1, v4, v5 offset0:64 offset1:96
	s_waitcnt lgkmcnt(0)
	s_barrier
	ds_read_b128 v[2:5], v0
	s_waitcnt lgkmcnt(0)
	v_cvt_f16_f32_e32 v2, v2
	v_cvt_f16_f32_e32 v4, v4
	v_cvt_f16_f32_e32 v5, v5
	v_cvt_f16_f32_e32 v7, v3
	v_pack_b32_f16 v3, v4, v5
	v_pack_b32_f16 v2, v2, v7
	buffer_store_dwordx2 v[2:3], v8, s[4:7], 0 offen
	s_waitcnt lgkmcnt(0)
	s_barrier
	buffer_load_dword v2, off, s[0:3], 0 offset:800
	buffer_load_dword v3, off, s[0:3], 0 offset:804
	;; [unrolled: 1-line block ×4, first 2 shown]
	s_waitcnt vmcnt(2)
	ds_write2_b32 v1, v2, v3 offset1:32
	s_waitcnt vmcnt(0)
	ds_write2_b32 v1, v4, v5 offset0:64 offset1:96
	s_waitcnt lgkmcnt(0)
	s_barrier
	ds_read_b128 v[2:5], v0
	v_lshlrev_b32_e32 v8, 1, v6
	v_add_u32_e32 v6, s8, v6
	s_waitcnt lgkmcnt(0)
	v_cvt_f16_f32_e32 v2, v2
	v_cvt_f16_f32_e32 v4, v4
	;; [unrolled: 1-line block ×4, first 2 shown]
	v_pack_b32_f16 v3, v4, v5
	v_pack_b32_f16 v2, v2, v7
	buffer_store_dwordx2 v[2:3], v8, s[4:7], 0 offen
	s_waitcnt lgkmcnt(0)
	s_barrier
	buffer_load_dword v2, off, s[0:3], 0 offset:864
	buffer_load_dword v3, off, s[0:3], 0 offset:868
	;; [unrolled: 1-line block ×4, first 2 shown]
	s_waitcnt vmcnt(2)
	ds_write2_b32 v1, v2, v3 offset1:32
	s_waitcnt vmcnt(0)
	ds_write2_b32 v1, v4, v5 offset0:64 offset1:96
	s_waitcnt lgkmcnt(0)
	s_barrier
	ds_read_b128 v[2:5], v0
	v_lshlrev_b32_e32 v8, 1, v6
	s_waitcnt lgkmcnt(0)
	v_cvt_f16_f32_e32 v2, v2
	v_cvt_f16_f32_e32 v4, v4
	;; [unrolled: 1-line block ×4, first 2 shown]
	v_pack_b32_f16 v3, v4, v5
	v_pack_b32_f16 v2, v2, v7
	buffer_store_dwordx2 v[2:3], v8, s[4:7], 0 offen
	s_waitcnt lgkmcnt(0)
	s_barrier
	buffer_load_dword v2, off, s[0:3], 0 offset:880
	buffer_load_dword v3, off, s[0:3], 0 offset:884
	;; [unrolled: 1-line block ×4, first 2 shown]
	s_waitcnt vmcnt(2)
	ds_write2_b32 v1, v2, v3 offset1:32
	s_waitcnt vmcnt(0)
	ds_write2_b32 v1, v4, v5 offset0:64 offset1:96
	s_waitcnt lgkmcnt(0)
	s_barrier
	ds_read_b128 v[2:5], v0
	s_waitcnt lgkmcnt(0)
	v_cvt_f16_f32_e32 v2, v2
	v_cvt_f16_f32_e32 v4, v4
	;; [unrolled: 1-line block ×4, first 2 shown]
	v_pack_b32_f16 v3, v4, v5
	v_pack_b32_f16 v2, v2, v7
	buffer_store_dwordx2 v[2:3], v8, s[4:7], 0 offen offset:64
	s_waitcnt lgkmcnt(0)
	s_barrier
	buffer_load_dword v2, off, s[0:3], 0 offset:896
	buffer_load_dword v3, off, s[0:3], 0 offset:900
	;; [unrolled: 1-line block ×4, first 2 shown]
	s_waitcnt vmcnt(2)
	ds_write2_b32 v1, v2, v3 offset1:32
	s_waitcnt vmcnt(0)
	ds_write2_b32 v1, v4, v5 offset0:64 offset1:96
	s_waitcnt lgkmcnt(0)
	s_barrier
	ds_read_b128 v[2:5], v0
	s_waitcnt lgkmcnt(0)
	v_cvt_f16_f32_e32 v2, v2
	v_cvt_f16_f32_e32 v4, v4
	;; [unrolled: 1-line block ×4, first 2 shown]
	v_pack_b32_f16 v3, v4, v5
	v_pack_b32_f16 v2, v2, v7
	buffer_store_dwordx2 v[2:3], v8, s[4:7], 0 offen offset:128
	s_waitcnt lgkmcnt(0)
	s_barrier
	buffer_load_dword v2, off, s[0:3], 0 offset:912
	buffer_load_dword v3, off, s[0:3], 0 offset:916
	;; [unrolled: 1-line block ×4, first 2 shown]
	s_waitcnt vmcnt(2)
	ds_write2_b32 v1, v2, v3 offset1:32
	s_waitcnt vmcnt(0)
	ds_write2_b32 v1, v4, v5 offset0:64 offset1:96
	s_waitcnt lgkmcnt(0)
	s_barrier
	ds_read_b128 v[2:5], v0
	v_add_u32_e32 v8, 0x60, v6
	v_lshlrev_b32_e32 v9, 1, v8
	v_add_lshl_u32 v8, v8, s8, 1
	v_add_u32_e32 v6, s8, v6
	s_waitcnt lgkmcnt(0)
	v_cvt_f16_f32_e32 v2, v2
	v_cvt_f16_f32_e32 v4, v4
	;; [unrolled: 1-line block ×4, first 2 shown]
	v_pack_b32_f16 v3, v4, v5
	v_pack_b32_f16 v2, v2, v7
	buffer_store_dwordx2 v[2:3], v9, s[4:7], 0 offen
	s_waitcnt lgkmcnt(0)
	s_barrier
	buffer_load_dword v2, off, s[0:3], 0 offset:976
	buffer_load_dword v3, off, s[0:3], 0 offset:980
	;; [unrolled: 1-line block ×4, first 2 shown]
	s_waitcnt vmcnt(2)
	ds_write2_b32 v1, v2, v3 offset1:32
	s_waitcnt vmcnt(0)
	ds_write2_b32 v1, v4, v5 offset0:64 offset1:96
	s_waitcnt lgkmcnt(0)
	s_barrier
	ds_read_b128 v[2:5], v0
	v_subrev_u32_e32 v9, 64, v8
	s_waitcnt lgkmcnt(0)
	v_cvt_f16_f32_e32 v2, v2
	v_cvt_f16_f32_e32 v4, v4
	v_cvt_f16_f32_e32 v5, v5
	v_cvt_f16_f32_e32 v7, v3
	v_pack_b32_f16 v3, v4, v5
	v_pack_b32_f16 v2, v2, v7
	buffer_store_dwordx2 v[2:3], v8, s[4:7], 0 offen
	s_waitcnt lgkmcnt(0)
	s_barrier
	buffer_load_dword v2, off, s[0:3], 0 offset:960
	buffer_load_dword v3, off, s[0:3], 0 offset:964
	;; [unrolled: 1-line block ×4, first 2 shown]
	s_waitcnt vmcnt(2)
	ds_write2_b32 v1, v2, v3 offset1:32
	s_waitcnt vmcnt(0)
	ds_write2_b32 v1, v4, v5 offset0:64 offset1:96
	s_waitcnt lgkmcnt(0)
	s_barrier
	ds_read_b128 v[2:5], v0
	v_add_u32_e32 v8, 0xffffff80, v8
	s_waitcnt lgkmcnt(0)
	v_cvt_f16_f32_e32 v2, v2
	v_cvt_f16_f32_e32 v4, v4
	;; [unrolled: 1-line block ×4, first 2 shown]
	v_pack_b32_f16 v3, v4, v5
	v_pack_b32_f16 v2, v2, v7
	buffer_store_dwordx2 v[2:3], v9, s[4:7], 0 offen
	s_waitcnt lgkmcnt(0)
	s_barrier
	buffer_load_dword v2, off, s[0:3], 0 offset:944
	buffer_load_dword v3, off, s[0:3], 0 offset:948
	;; [unrolled: 1-line block ×4, first 2 shown]
	s_waitcnt vmcnt(2)
	ds_write2_b32 v1, v2, v3 offset1:32
	s_waitcnt vmcnt(0)
	ds_write2_b32 v1, v4, v5 offset0:64 offset1:96
	s_waitcnt lgkmcnt(0)
	s_barrier
	ds_read_b128 v[2:5], v0
	s_waitcnt lgkmcnt(0)
	v_cvt_f16_f32_e32 v2, v2
	v_cvt_f16_f32_e32 v4, v4
	;; [unrolled: 1-line block ×4, first 2 shown]
	v_pack_b32_f16 v3, v4, v5
	v_pack_b32_f16 v2, v2, v7
	buffer_store_dwordx2 v[2:3], v8, s[4:7], 0 offen
	s_waitcnt lgkmcnt(0)
	s_barrier
	buffer_load_dword v2, off, s[0:3], 0 offset:928
	buffer_load_dword v3, off, s[0:3], 0 offset:932
	;; [unrolled: 1-line block ×4, first 2 shown]
	s_waitcnt vmcnt(2)
	ds_write2_b32 v1, v2, v3 offset1:32
	s_waitcnt vmcnt(0)
	ds_write2_b32 v1, v4, v5 offset0:64 offset1:96
	s_waitcnt lgkmcnt(0)
	s_barrier
	ds_read_b128 v[2:5], v0
	v_lshlrev_b32_e32 v8, 1, v6
	v_add_u32_e32 v6, s8, v6
	s_waitcnt lgkmcnt(0)
	v_cvt_f16_f32_e32 v2, v2
	v_cvt_f16_f32_e32 v4, v4
	;; [unrolled: 1-line block ×4, first 2 shown]
	v_pack_b32_f16 v3, v4, v5
	v_pack_b32_f16 v2, v2, v7
	buffer_store_dwordx2 v[2:3], v8, s[4:7], 0 offen
	s_waitcnt lgkmcnt(0)
	s_barrier
	buffer_load_dword v2, off, s[0:3], 0 offset:992
	buffer_load_dword v3, off, s[0:3], 0 offset:996
	;; [unrolled: 1-line block ×4, first 2 shown]
	s_waitcnt vmcnt(2)
	ds_write2_b32 v1, v2, v3 offset1:32
	s_waitcnt vmcnt(0)
	ds_write2_b32 v1, v4, v5 offset0:64 offset1:96
	s_waitcnt lgkmcnt(0)
	s_barrier
	ds_read_b128 v[2:5], v0
	v_lshlrev_b32_e32 v8, 1, v6
	s_waitcnt lgkmcnt(0)
	v_cvt_f16_f32_e32 v2, v2
	v_cvt_f16_f32_e32 v4, v4
	;; [unrolled: 1-line block ×4, first 2 shown]
	v_pack_b32_f16 v3, v4, v5
	v_pack_b32_f16 v2, v2, v7
	buffer_store_dwordx2 v[2:3], v8, s[4:7], 0 offen
	s_waitcnt lgkmcnt(0)
	s_barrier
	buffer_load_dword v2, off, s[0:3], 0 offset:1008
	buffer_load_dword v3, off, s[0:3], 0 offset:1012
	;; [unrolled: 1-line block ×4, first 2 shown]
	s_waitcnt vmcnt(2)
	ds_write2_b32 v1, v2, v3 offset1:32
	s_waitcnt vmcnt(0)
	ds_write2_b32 v1, v4, v5 offset0:64 offset1:96
	s_waitcnt lgkmcnt(0)
	s_barrier
	ds_read_b128 v[2:5], v0
	s_waitcnt lgkmcnt(0)
	v_cvt_f16_f32_e32 v2, v2
	v_cvt_f16_f32_e32 v4, v4
	;; [unrolled: 1-line block ×4, first 2 shown]
	v_pack_b32_f16 v3, v4, v5
	v_pack_b32_f16 v2, v2, v7
	buffer_store_dwordx2 v[2:3], v8, s[4:7], 0 offen offset:64
	s_waitcnt lgkmcnt(0)
	s_barrier
	buffer_load_dword v2, off, s[0:3], 0 offset:1024
	buffer_load_dword v3, off, s[0:3], 0 offset:1028
	buffer_load_dword v4, off, s[0:3], 0 offset:1032
	buffer_load_dword v5, off, s[0:3], 0 offset:1036
	s_waitcnt vmcnt(2)
	ds_write2_b32 v1, v2, v3 offset1:32
	s_waitcnt vmcnt(0)
	ds_write2_b32 v1, v4, v5 offset0:64 offset1:96
	s_waitcnt lgkmcnt(0)
	s_barrier
	ds_read_b128 v[2:5], v0
	s_waitcnt lgkmcnt(0)
	v_cvt_f16_f32_e32 v2, v2
	v_cvt_f16_f32_e32 v4, v4
	;; [unrolled: 1-line block ×4, first 2 shown]
	v_pack_b32_f16 v3, v4, v5
	v_pack_b32_f16 v2, v2, v7
	buffer_store_dwordx2 v[2:3], v8, s[4:7], 0 offen offset:128
	s_waitcnt lgkmcnt(0)
	s_barrier
	buffer_load_dword v2, off, s[0:3], 0 offset:1040
	buffer_load_dword v3, off, s[0:3], 0 offset:1044
	;; [unrolled: 1-line block ×4, first 2 shown]
	s_waitcnt vmcnt(2)
	ds_write2_b32 v1, v2, v3 offset1:32
	s_waitcnt vmcnt(0)
	ds_write2_b32 v1, v4, v5 offset0:64 offset1:96
	s_waitcnt lgkmcnt(0)
	s_barrier
	ds_read_b128 v[2:5], v0
	v_add_u32_e32 v8, 0x60, v6
	v_lshlrev_b32_e32 v9, 1, v8
	v_add_lshl_u32 v8, v8, s8, 1
	s_waitcnt lgkmcnt(0)
	v_cvt_f16_f32_e32 v2, v2
	v_cvt_f16_f32_e32 v4, v4
	;; [unrolled: 1-line block ×4, first 2 shown]
	v_pack_b32_f16 v3, v4, v5
	v_pack_b32_f16 v2, v2, v7
	buffer_store_dwordx2 v[2:3], v9, s[4:7], 0 offen
	s_waitcnt lgkmcnt(0)
	s_barrier
	buffer_load_dword v2, off, s[0:3], 0 offset:1104
	buffer_load_dword v3, off, s[0:3], 0 offset:1108
	;; [unrolled: 1-line block ×4, first 2 shown]
	s_waitcnt vmcnt(2)
	ds_write2_b32 v1, v2, v3 offset1:32
	s_waitcnt vmcnt(0)
	ds_write2_b32 v1, v4, v5 offset0:64 offset1:96
	s_waitcnt lgkmcnt(0)
	s_barrier
	ds_read_b128 v[2:5], v0
	v_subrev_u32_e32 v9, 64, v8
	s_waitcnt lgkmcnt(0)
	v_cvt_f16_f32_e32 v2, v2
	v_cvt_f16_f32_e32 v4, v4
	;; [unrolled: 1-line block ×4, first 2 shown]
	v_pack_b32_f16 v3, v4, v5
	v_pack_b32_f16 v2, v2, v7
	buffer_store_dwordx2 v[2:3], v8, s[4:7], 0 offen
	s_waitcnt lgkmcnt(0)
	s_barrier
	buffer_load_dword v2, off, s[0:3], 0 offset:1088
	buffer_load_dword v3, off, s[0:3], 0 offset:1092
	;; [unrolled: 1-line block ×4, first 2 shown]
	s_waitcnt vmcnt(2)
	ds_write2_b32 v1, v2, v3 offset1:32
	s_waitcnt vmcnt(0)
	ds_write2_b32 v1, v4, v5 offset0:64 offset1:96
	s_waitcnt lgkmcnt(0)
	s_barrier
	ds_read_b128 v[2:5], v0
	v_add_u32_e32 v8, 0xffffff80, v8
	s_waitcnt lgkmcnt(0)
	v_cvt_f16_f32_e32 v2, v2
	v_cvt_f16_f32_e32 v4, v4
	;; [unrolled: 1-line block ×4, first 2 shown]
	v_pack_b32_f16 v3, v4, v5
	v_pack_b32_f16 v2, v2, v7
	buffer_store_dwordx2 v[2:3], v9, s[4:7], 0 offen
	s_waitcnt lgkmcnt(0)
	s_barrier
	buffer_load_dword v2, off, s[0:3], 0 offset:1072
	buffer_load_dword v3, off, s[0:3], 0 offset:1076
	;; [unrolled: 1-line block ×4, first 2 shown]
	s_waitcnt vmcnt(2)
	ds_write2_b32 v1, v2, v3 offset1:32
	s_waitcnt vmcnt(0)
	ds_write2_b32 v1, v4, v5 offset0:64 offset1:96
	s_waitcnt lgkmcnt(0)
	s_barrier
	ds_read_b128 v[2:5], v0
	s_waitcnt lgkmcnt(0)
	v_cvt_f16_f32_e32 v2, v2
	v_cvt_f16_f32_e32 v4, v4
	v_cvt_f16_f32_e32 v5, v5
	v_cvt_f16_f32_e32 v7, v3
	v_pack_b32_f16 v3, v4, v5
	v_pack_b32_f16 v2, v2, v7
	buffer_store_dwordx2 v[2:3], v8, s[4:7], 0 offen
	s_waitcnt lgkmcnt(0)
	s_barrier
	buffer_load_dword v2, off, s[0:3], 0 offset:1056
	buffer_load_dword v3, off, s[0:3], 0 offset:1060
	;; [unrolled: 1-line block ×4, first 2 shown]
	s_waitcnt vmcnt(2)
	ds_write2_b32 v1, v2, v3 offset1:32
	s_waitcnt vmcnt(0)
	ds_write2_b32 v1, v4, v5 offset0:64 offset1:96
	s_waitcnt lgkmcnt(0)
	s_barrier
	ds_read_b128 v[0:3], v0
	s_waitcnt lgkmcnt(0)
	v_cvt_f16_f32_e32 v0, v0
	v_cvt_f16_f32_e32 v2, v2
	;; [unrolled: 1-line block ×4, first 2 shown]
	v_pack_b32_f16 v1, v2, v3
	v_pack_b32_f16 v0, v0, v4
	v_add_lshl_u32 v2, v6, s8, 1
	buffer_store_dwordx2 v[0:1], v2, s[4:7], 0 offen
	s_endpgm
	.section	.rodata,"a",@progbits
	.p2align	6, 0x0
	.amdhsa_kernel _ZN2ck27kernel_gemm_xdl_cshuffle_v1INS_43GridwiseGemm_k0mk1_k0nk1_mn_xdl_cshuffle_v1INS_13tensor_layout4gemm8RowMajorENS3_11ColumnMajorES4_NS_9f8_fnuz_tENS_10bf8_fnuz_tEffDF16_NS_16tensor_operation12element_wise11PassThroughESA_SA_LNS8_6device18GemmSpecializationE0ELNS_25InMemoryDataOperationEnumE0ELi1ELi256ELi256ELi128ELi64ELi16ELi16ELi16ELi16ELi8ELi4ENS_8SequenceIJLi4ELi64ELi1EEEENSE_IJLi1ELi0ELi2EEEESG_Li2ELi16ELi16ELb0ELi1ESF_SG_SG_Li2ELi8ELi8ELb0ELi1ELi1ELi1ENSE_IJLi1ELi32ELi1ELi8EEEELi4ELNS_13LoopSchedulerE0ELNS_15PipelineVersionE0ES6_S7_EELb1EEEvNT_8ArgumentE
		.amdhsa_group_segment_fixed_size 24672
		.amdhsa_private_segment_fixed_size 1168
		.amdhsa_kernarg_size 96
		.amdhsa_user_sgpr_count 8
		.amdhsa_user_sgpr_private_segment_buffer 1
		.amdhsa_user_sgpr_dispatch_ptr 0
		.amdhsa_user_sgpr_queue_ptr 0
		.amdhsa_user_sgpr_kernarg_segment_ptr 1
		.amdhsa_user_sgpr_dispatch_id 0
		.amdhsa_user_sgpr_flat_scratch_init 1
		.amdhsa_user_sgpr_kernarg_preload_length 0
		.amdhsa_user_sgpr_kernarg_preload_offset 0
		.amdhsa_user_sgpr_private_segment_size 0
		.amdhsa_uses_dynamic_stack 0
		.amdhsa_system_sgpr_private_segment_wavefront_offset 1
		.amdhsa_system_sgpr_workgroup_id_x 1
		.amdhsa_system_sgpr_workgroup_id_y 0
		.amdhsa_system_sgpr_workgroup_id_z 0
		.amdhsa_system_sgpr_workgroup_info 0
		.amdhsa_system_vgpr_workitem_id 0
		.amdhsa_next_free_vgpr 100
		.amdhsa_next_free_sgpr 50
		.amdhsa_accum_offset 96
		.amdhsa_reserve_vcc 1
		.amdhsa_reserve_flat_scratch 1
		.amdhsa_float_round_mode_32 0
		.amdhsa_float_round_mode_16_64 0
		.amdhsa_float_denorm_mode_32 3
		.amdhsa_float_denorm_mode_16_64 3
		.amdhsa_dx10_clamp 1
		.amdhsa_ieee_mode 1
		.amdhsa_fp16_overflow 0
		.amdhsa_tg_split 0
		.amdhsa_exception_fp_ieee_invalid_op 0
		.amdhsa_exception_fp_denorm_src 0
		.amdhsa_exception_fp_ieee_div_zero 0
		.amdhsa_exception_fp_ieee_overflow 0
		.amdhsa_exception_fp_ieee_underflow 0
		.amdhsa_exception_fp_ieee_inexact 0
		.amdhsa_exception_int_div_zero 0
	.end_amdhsa_kernel
	.section	.text._ZN2ck27kernel_gemm_xdl_cshuffle_v1INS_43GridwiseGemm_k0mk1_k0nk1_mn_xdl_cshuffle_v1INS_13tensor_layout4gemm8RowMajorENS3_11ColumnMajorES4_NS_9f8_fnuz_tENS_10bf8_fnuz_tEffDF16_NS_16tensor_operation12element_wise11PassThroughESA_SA_LNS8_6device18GemmSpecializationE0ELNS_25InMemoryDataOperationEnumE0ELi1ELi256ELi256ELi128ELi64ELi16ELi16ELi16ELi16ELi8ELi4ENS_8SequenceIJLi4ELi64ELi1EEEENSE_IJLi1ELi0ELi2EEEESG_Li2ELi16ELi16ELb0ELi1ESF_SG_SG_Li2ELi8ELi8ELb0ELi1ELi1ELi1ENSE_IJLi1ELi32ELi1ELi8EEEELi4ELNS_13LoopSchedulerE0ELNS_15PipelineVersionE0ES6_S7_EELb1EEEvNT_8ArgumentE,"axG",@progbits,_ZN2ck27kernel_gemm_xdl_cshuffle_v1INS_43GridwiseGemm_k0mk1_k0nk1_mn_xdl_cshuffle_v1INS_13tensor_layout4gemm8RowMajorENS3_11ColumnMajorES4_NS_9f8_fnuz_tENS_10bf8_fnuz_tEffDF16_NS_16tensor_operation12element_wise11PassThroughESA_SA_LNS8_6device18GemmSpecializationE0ELNS_25InMemoryDataOperationEnumE0ELi1ELi256ELi256ELi128ELi64ELi16ELi16ELi16ELi16ELi8ELi4ENS_8SequenceIJLi4ELi64ELi1EEEENSE_IJLi1ELi0ELi2EEEESG_Li2ELi16ELi16ELb0ELi1ESF_SG_SG_Li2ELi8ELi8ELb0ELi1ELi1ELi1ENSE_IJLi1ELi32ELi1ELi8EEEELi4ELNS_13LoopSchedulerE0ELNS_15PipelineVersionE0ES6_S7_EELb1EEEvNT_8ArgumentE,comdat
.Lfunc_end2:
	.size	_ZN2ck27kernel_gemm_xdl_cshuffle_v1INS_43GridwiseGemm_k0mk1_k0nk1_mn_xdl_cshuffle_v1INS_13tensor_layout4gemm8RowMajorENS3_11ColumnMajorES4_NS_9f8_fnuz_tENS_10bf8_fnuz_tEffDF16_NS_16tensor_operation12element_wise11PassThroughESA_SA_LNS8_6device18GemmSpecializationE0ELNS_25InMemoryDataOperationEnumE0ELi1ELi256ELi256ELi128ELi64ELi16ELi16ELi16ELi16ELi8ELi4ENS_8SequenceIJLi4ELi64ELi1EEEENSE_IJLi1ELi0ELi2EEEESG_Li2ELi16ELi16ELb0ELi1ESF_SG_SG_Li2ELi8ELi8ELb0ELi1ELi1ELi1ENSE_IJLi1ELi32ELi1ELi8EEEELi4ELNS_13LoopSchedulerE0ELNS_15PipelineVersionE0ES6_S7_EELb1EEEvNT_8ArgumentE, .Lfunc_end2-_ZN2ck27kernel_gemm_xdl_cshuffle_v1INS_43GridwiseGemm_k0mk1_k0nk1_mn_xdl_cshuffle_v1INS_13tensor_layout4gemm8RowMajorENS3_11ColumnMajorES4_NS_9f8_fnuz_tENS_10bf8_fnuz_tEffDF16_NS_16tensor_operation12element_wise11PassThroughESA_SA_LNS8_6device18GemmSpecializationE0ELNS_25InMemoryDataOperationEnumE0ELi1ELi256ELi256ELi128ELi64ELi16ELi16ELi16ELi16ELi8ELi4ENS_8SequenceIJLi4ELi64ELi1EEEENSE_IJLi1ELi0ELi2EEEESG_Li2ELi16ELi16ELb0ELi1ESF_SG_SG_Li2ELi8ELi8ELb0ELi1ELi1ELi1ENSE_IJLi1ELi32ELi1ELi8EEEELi4ELNS_13LoopSchedulerE0ELNS_15PipelineVersionE0ES6_S7_EELb1EEEvNT_8ArgumentE
                                        ; -- End function
	.section	.AMDGPU.csdata,"",@progbits
; Kernel info:
; codeLenInByte = 10412
; NumSgprs: 56
; NumVgprs: 93
; NumAgprs: 4
; TotalNumVgprs: 100
; ScratchSize: 1168
; MemoryBound: 0
; FloatMode: 240
; IeeeMode: 1
; LDSByteSize: 24672 bytes/workgroup (compile time only)
; SGPRBlocks: 6
; VGPRBlocks: 12
; NumSGPRsForWavesPerEU: 56
; NumVGPRsForWavesPerEU: 100
; AccumOffset: 96
; Occupancy: 2
; WaveLimiterHint : 1
; COMPUTE_PGM_RSRC2:SCRATCH_EN: 1
; COMPUTE_PGM_RSRC2:USER_SGPR: 8
; COMPUTE_PGM_RSRC2:TRAP_HANDLER: 0
; COMPUTE_PGM_RSRC2:TGID_X_EN: 1
; COMPUTE_PGM_RSRC2:TGID_Y_EN: 0
; COMPUTE_PGM_RSRC2:TGID_Z_EN: 0
; COMPUTE_PGM_RSRC2:TIDIG_COMP_CNT: 0
; COMPUTE_PGM_RSRC3_GFX90A:ACCUM_OFFSET: 23
; COMPUTE_PGM_RSRC3_GFX90A:TG_SPLIT: 0
	.section	.text._ZN2ck27kernel_gemm_xdl_cshuffle_v1INS_43GridwiseGemm_k0mk1_k0nk1_mn_xdl_cshuffle_v1INS_13tensor_layout4gemm8RowMajorENS3_11ColumnMajorES4_NS_9f8_fnuz_tENS_10bf8_fnuz_tEffDF16_NS_16tensor_operation12element_wise11PassThroughESA_SA_LNS8_6device18GemmSpecializationE0ELNS_25InMemoryDataOperationEnumE0ELi1ELi256ELi256ELi128ELi64ELi16ELi16ELi16ELi16ELi8ELi4ENS_8SequenceIJLi4ELi64ELi1EEEENSE_IJLi1ELi0ELi2EEEESG_Li2ELi16ELi16ELb0ELi1ESF_SG_SG_Li2ELi8ELi8ELb0ELi1ELi1ELi1ENSE_IJLi1ELi32ELi1ELi8EEEELi4ELNS_13LoopSchedulerE0ELNS_15PipelineVersionE0ES6_S7_EELb0EEEvNT_8ArgumentE,"axG",@progbits,_ZN2ck27kernel_gemm_xdl_cshuffle_v1INS_43GridwiseGemm_k0mk1_k0nk1_mn_xdl_cshuffle_v1INS_13tensor_layout4gemm8RowMajorENS3_11ColumnMajorES4_NS_9f8_fnuz_tENS_10bf8_fnuz_tEffDF16_NS_16tensor_operation12element_wise11PassThroughESA_SA_LNS8_6device18GemmSpecializationE0ELNS_25InMemoryDataOperationEnumE0ELi1ELi256ELi256ELi128ELi64ELi16ELi16ELi16ELi16ELi8ELi4ENS_8SequenceIJLi4ELi64ELi1EEEENSE_IJLi1ELi0ELi2EEEESG_Li2ELi16ELi16ELb0ELi1ESF_SG_SG_Li2ELi8ELi8ELb0ELi1ELi1ELi1ENSE_IJLi1ELi32ELi1ELi8EEEELi4ELNS_13LoopSchedulerE0ELNS_15PipelineVersionE0ES6_S7_EELb0EEEvNT_8ArgumentE,comdat
	.protected	_ZN2ck27kernel_gemm_xdl_cshuffle_v1INS_43GridwiseGemm_k0mk1_k0nk1_mn_xdl_cshuffle_v1INS_13tensor_layout4gemm8RowMajorENS3_11ColumnMajorES4_NS_9f8_fnuz_tENS_10bf8_fnuz_tEffDF16_NS_16tensor_operation12element_wise11PassThroughESA_SA_LNS8_6device18GemmSpecializationE0ELNS_25InMemoryDataOperationEnumE0ELi1ELi256ELi256ELi128ELi64ELi16ELi16ELi16ELi16ELi8ELi4ENS_8SequenceIJLi4ELi64ELi1EEEENSE_IJLi1ELi0ELi2EEEESG_Li2ELi16ELi16ELb0ELi1ESF_SG_SG_Li2ELi8ELi8ELb0ELi1ELi1ELi1ENSE_IJLi1ELi32ELi1ELi8EEEELi4ELNS_13LoopSchedulerE0ELNS_15PipelineVersionE0ES6_S7_EELb0EEEvNT_8ArgumentE ; -- Begin function _ZN2ck27kernel_gemm_xdl_cshuffle_v1INS_43GridwiseGemm_k0mk1_k0nk1_mn_xdl_cshuffle_v1INS_13tensor_layout4gemm8RowMajorENS3_11ColumnMajorES4_NS_9f8_fnuz_tENS_10bf8_fnuz_tEffDF16_NS_16tensor_operation12element_wise11PassThroughESA_SA_LNS8_6device18GemmSpecializationE0ELNS_25InMemoryDataOperationEnumE0ELi1ELi256ELi256ELi128ELi64ELi16ELi16ELi16ELi16ELi8ELi4ENS_8SequenceIJLi4ELi64ELi1EEEENSE_IJLi1ELi0ELi2EEEESG_Li2ELi16ELi16ELb0ELi1ESF_SG_SG_Li2ELi8ELi8ELb0ELi1ELi1ELi1ENSE_IJLi1ELi32ELi1ELi8EEEELi4ELNS_13LoopSchedulerE0ELNS_15PipelineVersionE0ES6_S7_EELb0EEEvNT_8ArgumentE
	.globl	_ZN2ck27kernel_gemm_xdl_cshuffle_v1INS_43GridwiseGemm_k0mk1_k0nk1_mn_xdl_cshuffle_v1INS_13tensor_layout4gemm8RowMajorENS3_11ColumnMajorES4_NS_9f8_fnuz_tENS_10bf8_fnuz_tEffDF16_NS_16tensor_operation12element_wise11PassThroughESA_SA_LNS8_6device18GemmSpecializationE0ELNS_25InMemoryDataOperationEnumE0ELi1ELi256ELi256ELi128ELi64ELi16ELi16ELi16ELi16ELi8ELi4ENS_8SequenceIJLi4ELi64ELi1EEEENSE_IJLi1ELi0ELi2EEEESG_Li2ELi16ELi16ELb0ELi1ESF_SG_SG_Li2ELi8ELi8ELb0ELi1ELi1ELi1ENSE_IJLi1ELi32ELi1ELi8EEEELi4ELNS_13LoopSchedulerE0ELNS_15PipelineVersionE0ES6_S7_EELb0EEEvNT_8ArgumentE
	.p2align	8
	.type	_ZN2ck27kernel_gemm_xdl_cshuffle_v1INS_43GridwiseGemm_k0mk1_k0nk1_mn_xdl_cshuffle_v1INS_13tensor_layout4gemm8RowMajorENS3_11ColumnMajorES4_NS_9f8_fnuz_tENS_10bf8_fnuz_tEffDF16_NS_16tensor_operation12element_wise11PassThroughESA_SA_LNS8_6device18GemmSpecializationE0ELNS_25InMemoryDataOperationEnumE0ELi1ELi256ELi256ELi128ELi64ELi16ELi16ELi16ELi16ELi8ELi4ENS_8SequenceIJLi4ELi64ELi1EEEENSE_IJLi1ELi0ELi2EEEESG_Li2ELi16ELi16ELb0ELi1ESF_SG_SG_Li2ELi8ELi8ELb0ELi1ELi1ELi1ENSE_IJLi1ELi32ELi1ELi8EEEELi4ELNS_13LoopSchedulerE0ELNS_15PipelineVersionE0ES6_S7_EELb0EEEvNT_8ArgumentE,@function
_ZN2ck27kernel_gemm_xdl_cshuffle_v1INS_43GridwiseGemm_k0mk1_k0nk1_mn_xdl_cshuffle_v1INS_13tensor_layout4gemm8RowMajorENS3_11ColumnMajorES4_NS_9f8_fnuz_tENS_10bf8_fnuz_tEffDF16_NS_16tensor_operation12element_wise11PassThroughESA_SA_LNS8_6device18GemmSpecializationE0ELNS_25InMemoryDataOperationEnumE0ELi1ELi256ELi256ELi128ELi64ELi16ELi16ELi16ELi16ELi8ELi4ENS_8SequenceIJLi4ELi64ELi1EEEENSE_IJLi1ELi0ELi2EEEESG_Li2ELi16ELi16ELb0ELi1ESF_SG_SG_Li2ELi8ELi8ELb0ELi1ELi1ELi1ENSE_IJLi1ELi32ELi1ELi8EEEELi4ELNS_13LoopSchedulerE0ELNS_15PipelineVersionE0ES6_S7_EELb0EEEvNT_8ArgumentE: ; @_ZN2ck27kernel_gemm_xdl_cshuffle_v1INS_43GridwiseGemm_k0mk1_k0nk1_mn_xdl_cshuffle_v1INS_13tensor_layout4gemm8RowMajorENS3_11ColumnMajorES4_NS_9f8_fnuz_tENS_10bf8_fnuz_tEffDF16_NS_16tensor_operation12element_wise11PassThroughESA_SA_LNS8_6device18GemmSpecializationE0ELNS_25InMemoryDataOperationEnumE0ELi1ELi256ELi256ELi128ELi64ELi16ELi16ELi16ELi16ELi8ELi4ENS_8SequenceIJLi4ELi64ELi1EEEENSE_IJLi1ELi0ELi2EEEESG_Li2ELi16ELi16ELb0ELi1ESF_SG_SG_Li2ELi8ELi8ELb0ELi1ELi1ELi1ENSE_IJLi1ELi32ELi1ELi8EEEELi4ELNS_13LoopSchedulerE0ELNS_15PipelineVersionE0ES6_S7_EELb0EEEvNT_8ArgumentE
; %bb.0:
	s_add_u32 flat_scratch_lo, s6, s9
	s_load_dwordx4 s[20:23], s[4:5], 0x10
	s_load_dwordx2 s[28:29], s[4:5], 0x20
	s_addc_u32 flat_scratch_hi, s7, 0
	s_add_u32 s0, s0, s9
	s_addc_u32 s1, s1, 0
	s_add_u32 s6, 0, 0
	s_waitcnt lgkmcnt(0)
	s_addc_u32 s6, s20, -1
	s_add_u32 s7, 0, 0
	s_addc_u32 s7, s21, -1
	s_add_i32 s10, s20, 0xff
	s_ashr_i32 s11, s10, 31
	s_add_i32 s9, s21, 0x7f
	s_lshr_b32 s11, s11, 24
	s_add_i32 s10, s10, s11
	s_ashr_i32 s11, s9, 31
	s_lshr_b32 s11, s11, 25
	s_add_i32 s9, s9, s11
	s_ashr_i32 s10, s10, 8
	s_ashr_i32 s9, s9, 7
	s_mul_i32 s11, s9, s10
	s_abs_i32 s11, s11
	v_mov_b32_e32 v27, v0
	v_cvt_f32_u32_e32 v0, s11
	s_load_dwordx4 s[12:15], s[4:5], 0x48
	s_load_dwordx2 s[16:17], s[4:5], 0x58
	s_ashr_i32 s18, s8, 31
	s_abs_i32 s4, s8
	v_rcp_iflag_f32_e32 v0, v0
	s_sub_i32 s5, 0, s11
	v_mov_b32_e32 v4, 0
	buffer_store_dword v4, off, s[0:3], 0 offset:44
	buffer_store_dword v4, off, s[0:3], 0 offset:40
	;; [unrolled: 1-line block ×104, first 2 shown]
	v_mul_f32_e32 v0, 0x4f7ffffe, v0
	v_cvt_u32_f32_e32 v0, v0
	buffer_load_dword v15, off, s[0:3], 0 offset:308
	buffer_load_dword v16, off, s[0:3], 0 offset:304
	;; [unrolled: 1-line block ×46, first 2 shown]
	s_nop 0
	buffer_store_dword v4, off, s[0:3], 0 offset:260
	buffer_store_dword v4, off, s[0:3], 0 offset:256
	buffer_store_dword v4, off, s[0:3], 0 offset:284
	buffer_store_dword v4, off, s[0:3], 0 offset:280
	buffer_store_dword v4, off, s[0:3], 0 offset:276
	buffer_store_dword v4, off, s[0:3], 0 offset:272
	buffer_store_dword v4, off, s[0:3], 0 offset:476
	buffer_store_dword v4, off, s[0:3], 0 offset:472
	buffer_store_dword v4, off, s[0:3], 0 offset:492
	buffer_store_dword v4, off, s[0:3], 0 offset:488
	buffer_store_dword v4, off, s[0:3], 0 offset:484
	buffer_store_dword v4, off, s[0:3], 0 offset:480
	buffer_store_dword v4, off, s[0:3], 0 offset:508
	buffer_store_dword v4, off, s[0:3], 0 offset:504
	buffer_store_dword v4, off, s[0:3], 0 offset:500
	buffer_store_dword v4, off, s[0:3], 0 offset:496
	buffer_store_dword v4, off, s[0:3], 0 offset:524
	buffer_store_dword v4, off, s[0:3], 0 offset:520
	buffer_store_dword v4, off, s[0:3], 0 offset:516
	buffer_store_dword v4, off, s[0:3], 0 offset:512
	buffer_store_dword v4, off, s[0:3], 0 offset:540
	buffer_load_dword v62, off, s[0:3], 0 offset:476
	v_readfirstlane_b32 s8, v0
	s_mul_i32 s5, s5, s8
	s_mul_hi_u32 s5, s8, s5
	s_add_i32 s8, s8, s5
	s_mul_hi_u32 s5, s4, s8
	s_mul_i32 s5, s5, s11
	s_sub_i32 s4, s4, s5
	s_sub_i32 s5, s4, s11
	s_cmp_ge_u32 s4, s11
	s_cselect_b32 s4, s5, s4
	s_sub_i32 s5, s4, s11
	s_cmp_ge_u32 s4, s11
	s_cselect_b32 s8, s5, s4
	s_abs_i32 s11, s9
	v_cvt_f32_u32_e32 v0, s11
	s_sub_i32 s19, 0, s11
	s_mul_i32 s4, s7, s28
	s_xor_b32 s7, s8, s18
	v_rcp_iflag_f32_e32 v0, v0
	s_sub_i32 s7, s7, s18
	s_abs_i32 s18, s7
	s_xor_b32 s8, s7, s9
	v_mul_f32_e32 v0, 0x4f7ffffe, v0
	v_cvt_u32_f32_e32 v0, v0
	s_ashr_i32 s8, s8, 31
	v_and_b32_e32 v1, 0xfc, v27
	v_and_b32_e32 v5, 3, v27
	v_readfirstlane_b32 s20, v0
	s_mul_i32 s19, s19, s20
	s_mul_hi_u32 s19, s20, s19
	s_add_i32 s20, s20, s19
	s_mul_hi_u32 s19, s18, s20
	s_mul_i32 s20, s19, s11
	s_sub_i32 s18, s18, s20
	s_add_i32 s20, s19, 1
	s_sub_i32 s24, s18, s11
	s_cmp_ge_u32 s18, s11
	s_cselect_b32 s19, s20, s19
	s_cselect_b32 s18, s24, s18
	s_add_i32 s20, s19, 1
	s_cmp_ge_u32 s18, s11
	s_cselect_b32 s11, s20, s19
	s_xor_b32 s11, s11, s8
	s_sub_i32 s8, s11, s8
	s_lshr_b32 s11, s10, 29
	s_add_i32 s11, s10, s11
	s_and_b32 s11, s11, -8
	s_sub_i32 s10, s10, s11
	s_cmp_ge_i32 s8, s11
	s_cselect_b32 s10, s10, 8
	s_abs_i32 s18, s10
	v_cvt_f32_u32_e32 v0, s18
	s_mul_i32 s11, s8, s9
	s_sub_i32 s7, s7, s11
	s_ashr_i32 s11, s8, 31
	v_rcp_iflag_f32_e32 v0, v0
	s_lshr_b32 s11, s11, 29
	s_add_i32 s11, s8, s11
	s_and_b32 s11, s11, -8
	v_mul_f32_e32 v0, 0x4f7ffffe, v0
	v_cvt_u32_f32_e32 v0, v0
	s_sub_i32 s11, s8, s11
	s_sub_i32 s20, 0, s18
	s_mul_i32 s9, s11, s9
	v_readfirstlane_b32 s24, v0
	s_mul_i32 s20, s20, s24
	s_add_i32 s9, s9, s7
	s_mul_hi_u32 s20, s24, s20
	s_abs_i32 s19, s9
	s_add_i32 s24, s24, s20
	s_mul_hi_u32 s20, s19, s24
	s_mul_i32 s24, s20, s18
	s_xor_b32 s7, s9, s10
	s_sub_i32 s19, s19, s24
	s_ashr_i32 s7, s7, 31
	s_add_i32 s24, s20, 1
	s_sub_i32 s25, s19, s18
	s_cmp_ge_u32 s19, s18
	s_cselect_b32 s20, s24, s20
	s_cselect_b32 s19, s25, s19
	s_add_i32 s24, s20, 1
	s_cmp_ge_u32 s19, s18
	s_cselect_b32 s18, s24, s20
	s_xor_b32 s18, s18, s7
	s_sub_i32 s7, s18, s7
	s_mul_i32 s10, s7, s10
	s_sub_i32 s9, s9, s10
	s_add_i32 s9, s9, s8
	s_sub_i32 s8, s9, s11
	s_lshl_b32 s18, s8, 8
	v_add_u32_e32 v2, s18, v1
	v_lshlrev_b32_e32 v0, 4, v5
	s_lshl_b32 s11, s7, 7
	v_mad_u64_u32 v[2:3], s[8:9], v2, s23, v[0:1]
	v_lshlrev_b32_e32 v1, 4, v1
	s_movk_i32 s7, 0x1010
	v_mad_u32_u24 v6, v5, s7, v1
	v_lshrrev_b32_e32 v1, 1, v27
	v_and_b32_e32 v3, 0x7e, v1
	v_add_u32_e32 v1, s11, v3
	v_mad_u64_u32 v[0:1], s[8:9], v1, s28, v[0:1]
	v_and_b32_e32 v1, 63, v27
	v_and_b32_e32 v8, 48, v27
	v_lshrrev_b32_e32 v7, 7, v27
	v_sub_u32_e32 v1, v1, v8
	v_bfe_u32 v10, v27, 4, 2
	v_bfe_u32 v12, v27, 6, 1
	v_lshl_add_u32 v9, v7, 4, v1
	v_mul_u32_u24_e32 v11, 0x1010, v10
	v_lshl_add_u32 v13, v12, 4, v1
	v_mul_u32_u24_e32 v14, 0x810, v10
	v_lshl_add_u32 v11, v9, 4, v11
	v_lshl_add_u32 v14, v13, 4, v14
	buffer_store_dword v4, off, s[0:3], 0 offset:536
	buffer_store_dword v4, off, s[0:3], 0 offset:532
	;; [unrolled: 1-line block ×19, first 2 shown]
	s_waitcnt vmcnt(62)
	buffer_store_dword v17, off, s[0:3], 0 offset:876
	buffer_store_dword v18, off, s[0:3], 0 offset:872
	;; [unrolled: 1-line block ×3, first 2 shown]
	buffer_load_dword v1, off, s[0:3], 0 offset:284
	s_nop 0
	buffer_store_dword v20, off, s[0:3], 0 offset:864
	buffer_store_dword v28, off, s[0:3], 0 offset:892
	;; [unrolled: 1-line block ×17, first 2 shown]
	s_waitcnt vmcnt(62)
	buffer_store_dword v44, off, s[0:3], 0 offset:956
	buffer_store_dword v45, off, s[0:3], 0 offset:952
	buffer_store_dword v30, off, s[0:3], 0 offset:948
	buffer_store_dword v31, off, s[0:3], 0 offset:944
	buffer_store_dword v40, off, s[0:3], 0 offset:972
	buffer_store_dword v41, off, s[0:3], 0 offset:968
	buffer_store_dword v42, off, s[0:3], 0 offset:964
	buffer_store_dword v43, off, s[0:3], 0 offset:960
	buffer_store_dword v52, off, s[0:3], 0 offset:988
	buffer_store_dword v53, off, s[0:3], 0 offset:984
	buffer_store_dword v38, off, s[0:3], 0 offset:980
	buffer_store_dword v39, off, s[0:3], 0 offset:976
	buffer_store_dword v48, off, s[0:3], 0 offset:1004
	buffer_store_dword v49, off, s[0:3], 0 offset:1000
	buffer_store_dword v50, off, s[0:3], 0 offset:996
	buffer_store_dword v51, off, s[0:3], 0 offset:992
	buffer_store_dword v60, off, s[0:3], 0 offset:1020
	buffer_store_dword v61, off, s[0:3], 0 offset:1016
	buffer_load_dword v7, off, s[0:3], 0 offset:500
	buffer_load_dword v8, off, s[0:3], 0 offset:496
	;; [unrolled: 1-line block ×7, first 2 shown]
	s_mov_b64 s[8:9], src_shared_base
	buffer_store_dword v46, off, s[0:3], 0 offset:1012
	buffer_load_dword v14, off, s[0:3], 0 offset:532
	buffer_load_dword v15, off, s[0:3], 0 offset:528
	;; [unrolled: 1-line block ×8, first 2 shown]
	s_nop 0
	buffer_store_dword v47, off, s[0:3], 0 offset:1008
	buffer_store_dword v56, off, s[0:3], 0 offset:1036
	;; [unrolled: 1-line block ×5, first 2 shown]
	s_waitcnt vmcnt(62)
	buffer_store_dword v62, off, s[0:3], 0 offset:1052
	buffer_load_dword v22, off, s[0:3], 0 offset:540
	buffer_load_dword v23, off, s[0:3], 0 offset:536
	;; [unrolled: 1-line block ×64, first 2 shown]
	s_mul_i32 s5, s6, s23
	s_add_i32 s26, s22, s5
	s_mov_b32 s27, 0x20000
	s_waitcnt lgkmcnt(0)
	s_mov_b32 s24, s12
	s_mov_b32 s25, s13
	;; [unrolled: 1-line block ×3, first 2 shown]
	s_mul_i32 s19, s6, s29
	s_waitcnt vmcnt(62)
	buffer_store_dword v13, off, s[0:3], 0 offset:1048
	buffer_store_dword v54, off, s[0:3], 0 offset:1044
	;; [unrolled: 1-line block ×7, first 2 shown]
	buffer_load_dword v9, off, s[0:3], 0 offset:280
	s_nop 0
	buffer_store_dword v20, off, s[0:3], 0 offset:1084
	buffer_store_dword v21, off, s[0:3], 0 offset:1080
	;; [unrolled: 1-line block ×12, first 2 shown]
	s_waitcnt vmcnt(62)
	buffer_store_dword v26, off, s[0:3], 0 offset:620
	v_mov_b32_e32 v7, s9
	buffer_store_dword v7, off, s[0:3], 0 offset:1124
	buffer_load_dword v26, off, s[0:3], 0 offset:1124
	s_nop 0
	buffer_store_dword v25, off, s[0:3], 0 offset:616
	buffer_store_dword v4, off, s[0:3], 0 offset:1120
	buffer_load_dword v25, off, s[0:3], 0 offset:1120
	s_nop 0
	buffer_store_dword v28, off, s[0:3], 0 offset:612
	buffer_store_dword v24, off, s[0:3], 0 offset:608
	;; [unrolled: 1-line block ×16, first 2 shown]
	s_waitcnt vmcnt(62)
	buffer_store_dword v45, off, s[0:3], 0 offset:676
	buffer_store_dword v46, off, s[0:3], 0 offset:672
	;; [unrolled: 1-line block ×18, first 2 shown]
	s_waitcnt vmcnt(62)
	buffer_store_dword v71, off, s[0:3], 0 offset:764
	buffer_store_dword v72, off, s[0:3], 0 offset:760
	;; [unrolled: 1-line block ×16, first 2 shown]
	s_waitcnt vmcnt(62)
	buffer_store_dword v87, off, s[0:3], 0 offset:828
	buffer_store_dword v88, off, s[0:3], 0 offset:824
	;; [unrolled: 1-line block ×12, first 2 shown]
	buffer_store_byte v4, off, s[0:3], 0 offset:1129
	buffer_store_dword v7, off, s[0:3], 0 offset:1140
	v_mov_b32_e32 v1, 0x4030
	buffer_store_dword v1, off, s[0:3], 0 offset:1136
	buffer_store_byte v4, off, s[0:3], 0 offset:1145
	v_add_u32_e32 v1, s23, v2
	buffer_load_dwordx4 v[8:11], v2, s[24:27], 0 offen
	buffer_load_dwordx4 v[12:15], v1, s[24:27], 0 offen
	v_add_u32_e32 v1, s23, v1
	v_add_u32_e32 v2, s23, v1
	buffer_load_dwordx4 v[16:19], v1, s[24:27], 0 offen
	buffer_load_dwordx4 v[20:23], v2, s[24:27], 0 offen
	v_add_u32_e32 v1, s28, v0
	s_add_i32 s26, s22, s4
	s_mov_b32 s24, s14
	s_mov_b32 s25, s15
	v_add_u32_e32 v2, 8, v1
	buffer_load_dwordx2 v[30:31], v2, s[24:27], 0 offen
	buffer_load_dwordx4 v[32:35], v0, s[24:27], 0 offen
	buffer_load_dwordx2 v[28:29], v1, s[24:27], 0 offen
	s_nop 0
	buffer_store_dword v4, off, s[0:3], 0 offset:612
	buffer_store_dword v4, off, s[0:3], 0 offset:608
	;; [unrolled: 1-line block ×128, first 2 shown]
	v_mul_u32_u24_e32 v2, 0x810, v5
	v_lshl_add_u32 v2, v3, 4, v2
	s_mov_b64 s[4:5], src_private_base
	v_mov_b32_e32 v7, s5
	s_getpc_b64 s[6:7]
	s_add_u32 s6, s6, _ZNK2ck6detail7applierIiJLi0ELi1ELi2ELi3ELi4ELi5ELi6ELi7EEEclIZNKS_51BlockwiseGemmXdlops_k0mk1_k0nk1_m0n0m1n1m2m3m4n2_v1ILi256ENS_9f8_fnuz_tENS_10bf8_fnuz_tEfKNS_16TensorDescriptorINS_5TupleIJNS_5EmbedINS8_IJNS_17integral_constantIiLi4EEENSA_IiLi256EEENSA_IiLi16EEEEEENS8_IJNSA_IiLi4112EEESD_NSA_IiLi1EEEEEELb0EEEEEENS8_IJNS_8SequenceIJLi0EEEEEEENS8_IJNSK_IJLi1ELi2ELi3EEEEEEESN_NSA_IlLl16432EEEEEKNS7_INS8_IJNS9_INS8_IJSB_NSA_IiLi128EEESD_EEENS8_IJNSA_IiLi2064EEESD_SG_EEELb0EEEEEESM_SO_SN_NSA_IlLl8240EEEEELi16ELi16ELi8ELi4ELi16ES5_S6_E3RunINS_13DynamicBufferILNS_16AddressSpaceEnumE2ES5_SP_Lb1ELNS_22AmdBufferCoherenceEnumE0EiEENS13_ILS14_2ES6_SY_Lb1ELS15_0EiEENS_25StaticBufferTupleOfVectorILS14_4EfLi32ELi4ELb1ELb0EEEEEvRKT_RKT0_RT1_EUlS1A_E_EEvS1A_@rel32@lo+4
	s_addc_u32 s7, s7, _ZNK2ck6detail7applierIiJLi0ELi1ELi2ELi3ELi4ELi5ELi6ELi7EEEclIZNKS_51BlockwiseGemmXdlops_k0mk1_k0nk1_m0n0m1n1m2m3m4n2_v1ILi256ENS_9f8_fnuz_tENS_10bf8_fnuz_tEfKNS_16TensorDescriptorINS_5TupleIJNS_5EmbedINS8_IJNS_17integral_constantIiLi4EEENSA_IiLi256EEENSA_IiLi16EEEEEENS8_IJNSA_IiLi4112EEESD_NSA_IiLi1EEEEEELb0EEEEEENS8_IJNS_8SequenceIJLi0EEEEEEENS8_IJNSK_IJLi1ELi2ELi3EEEEEEESN_NSA_IlLl16432EEEEEKNS7_INS8_IJNS9_INS8_IJSB_NSA_IiLi128EEESD_EEENS8_IJNSA_IiLi2064EEESD_SG_EEELb0EEEEEESM_SO_SN_NSA_IlLl8240EEEEELi16ELi16ELi8ELi4ELi16ES5_S6_E3RunINS_13DynamicBufferILNS_16AddressSpaceEnumE2ES5_SP_Lb1ELNS_22AmdBufferCoherenceEnumE0EiEENS13_ILS14_2ES6_SY_Lb1ELS15_0EiEENS_25StaticBufferTupleOfVectorILS14_4EfLi32ELi4ELb1ELb0EEEEEvRKT_RKT0_RT1_EUlS1A_E_EEvS1A_@rel32@hi+12
	s_waitcnt vmcnt(62)
	v_add_co_u32_e32 v0, vcc, v25, v6
	v_addc_co_u32_e32 v1, vcc, 0, v26, vcc
	flat_store_dwordx4 v[0:1], v[8:11]
	flat_store_dwordx4 v[0:1], v[12:15] offset:16
	flat_store_dwordx4 v[0:1], v[16:19] offset:32
	;; [unrolled: 1-line block ×3, first 2 shown]
	buffer_load_dword v0, off, s[0:3], 0 offset:1136
	s_nop 0
	buffer_load_dword v1, off, s[0:3], 0 offset:1140
	v_mov_b32_e32 v8, 16
	v_mov_b32_e32 v9, s5
	;; [unrolled: 1-line block ×3, first 2 shown]
	v_and_b32_e32 v3, 0xff000000, v33
	v_and_b32_e32 v5, 0xff0000, v33
	v_or_b32_e32 v3, v5, v3
	v_and_b32_e32 v5, 0xff00, v33
	v_and_b32_e32 v6, 0xff, v33
	v_or3_b32 v33, v3, v5, v6
	v_and_b32_e32 v3, 0xff0000, v35
	v_and_b32_e32 v5, 0xff, v35
	v_mov_b32_e32 v6, 0x470
	v_mov_b32_e32 v11, s5
	s_waitcnt vmcnt(0)
	v_add_co_u32_e32 v0, vcc, v0, v2
	v_and_b32_e32 v2, 0xff000000, v35
	v_or_b32_e32 v2, v3, v2
	v_and_b32_e32 v3, 0xff00, v35
	v_or3_b32 v35, v2, v3, v5
	v_and_b32_e32 v2, 0xff000000, v31
	v_and_b32_e32 v3, 0xff0000, v31
	v_or_b32_e32 v2, v2, v3
	v_and_b32_e32 v3, 0xff00, v31
	v_and_b32_e32 v5, 0xff, v31
	v_or3_b32 v31, v2, v3, v5
	v_and_b32_e32 v2, 0xff000000, v29
	v_and_b32_e32 v3, 0xff0000, v29
	v_or_b32_e32 v2, v3, v2
	v_and_b32_e32 v3, 0xff00, v29
	v_and_b32_e32 v5, 0xff, v29
	v_addc_co_u32_e32 v1, vcc, 0, v1, vcc
	v_or3_b32 v29, v2, v3, v5
	flat_store_dwordx4 v[0:1], v[32:35]
	flat_store_dwordx4 v[0:1], v[28:31] offset:16
	s_waitcnt lgkmcnt(0)
	s_barrier
	buffer_store_dword v4, off, s[0:3], 0
	buffer_store_dword v4, off, s[0:3], 0 offset:4
	buffer_store_dword v4, off, s[0:3], 0 offset:8
	;; [unrolled: 1-line block ×3, first 2 shown]
	v_mov_b32_e32 v0, 32
	v_mov_b32_e32 v1, s5
	;; [unrolled: 1-line block ×6, first 2 shown]
	s_swappc_b64 s[30:31], s[6:7]
	s_waitcnt lgkmcnt(0)
	s_barrier
	buffer_load_dword v2, off, s[0:3], 0 offset:608
	buffer_load_dword v3, off, s[0:3], 0 offset:612
	;; [unrolled: 1-line block ×4, first 2 shown]
	v_and_b32_e32 v0, 15, v27
	v_lshrrev_b32_e32 v1, 2, v27
	v_lshlrev_b32_e32 v6, 2, v27
	v_lshlrev_b32_e32 v7, 3, v27
	s_movk_i32 s4, 0x180
	v_and_b32_e32 v1, 16, v1
	v_and_b32_e32 v9, 0x200, v6
	v_and_or_b32 v0, v7, s4, v0
	v_and_b32_e32 v6, 28, v6
	v_lshrrev_b32_e32 v8, 3, v27
	v_or3_b32 v0, v0, v9, v1
	v_lshlrev_b32_e32 v7, 2, v6
	v_lshlrev_b32_e32 v1, 2, v0
	v_lshl_or_b32 v0, v8, 7, v7
	v_or_b32_e32 v7, s18, v8
	s_add_i32 s5, s21, s19
	v_or_b32_e32 v6, s11, v6
	s_lshl_b32 s18, s5, 1
	v_mad_u64_u32 v[6:7], s[4:5], v7, s29, v[6:7]
	s_mov_b32 s19, s27
	v_lshlrev_b32_e32 v7, 1, v6
	s_lshl_b32 s4, s29, 5
	s_waitcnt vmcnt(2)
	ds_write2_b32 v1, v2, v3 offset1:32
	s_waitcnt vmcnt(0)
	ds_write2_b32 v1, v4, v5 offset0:64 offset1:96
	s_waitcnt lgkmcnt(0)
	s_barrier
	ds_read_b128 v[2:5], v0
	s_waitcnt lgkmcnt(0)
	v_cvt_f16_f32_e32 v2, v2
	v_cvt_f16_f32_e32 v8, v3
	;; [unrolled: 1-line block ×4, first 2 shown]
	v_pack_b32_f16 v2, v2, v8
	v_pack_b32_f16 v3, v3, v4
	buffer_store_dwordx2 v[2:3], v7, s[16:19], 0 offen
	s_waitcnt lgkmcnt(0)
	s_barrier
	buffer_load_dword v2, off, s[0:3], 0 offset:624
	buffer_load_dword v3, off, s[0:3], 0 offset:628
	;; [unrolled: 1-line block ×4, first 2 shown]
	s_waitcnt vmcnt(2)
	ds_write2_b32 v1, v2, v3 offset1:32
	s_waitcnt vmcnt(0)
	ds_write2_b32 v1, v4, v5 offset0:64 offset1:96
	s_waitcnt lgkmcnt(0)
	s_barrier
	ds_read_b128 v[2:5], v0
	s_waitcnt lgkmcnt(0)
	v_cvt_f16_f32_e32 v2, v2
	v_cvt_f16_f32_e32 v4, v4
	;; [unrolled: 1-line block ×4, first 2 shown]
	v_pack_b32_f16 v3, v4, v5
	v_pack_b32_f16 v2, v2, v8
	buffer_store_dwordx2 v[2:3], v7, s[16:19], 0 offen offset:64
	s_waitcnt lgkmcnt(0)
	s_barrier
	buffer_load_dword v2, off, s[0:3], 0 offset:640
	buffer_load_dword v3, off, s[0:3], 0 offset:644
	;; [unrolled: 1-line block ×4, first 2 shown]
	s_waitcnt vmcnt(2)
	ds_write2_b32 v1, v2, v3 offset1:32
	s_waitcnt vmcnt(0)
	ds_write2_b32 v1, v4, v5 offset0:64 offset1:96
	s_waitcnt lgkmcnt(0)
	s_barrier
	ds_read_b128 v[2:5], v0
	s_waitcnt lgkmcnt(0)
	v_cvt_f16_f32_e32 v2, v2
	v_cvt_f16_f32_e32 v4, v4
	;; [unrolled: 1-line block ×4, first 2 shown]
	v_pack_b32_f16 v3, v4, v5
	v_pack_b32_f16 v2, v2, v8
	buffer_store_dwordx2 v[2:3], v7, s[16:19], 0 offen offset:128
	s_waitcnt lgkmcnt(0)
	s_barrier
	buffer_load_dword v2, off, s[0:3], 0 offset:656
	buffer_load_dword v3, off, s[0:3], 0 offset:660
	;; [unrolled: 1-line block ×4, first 2 shown]
	v_add_u32_e32 v8, 0x60, v6
	v_lshlrev_b32_e32 v9, 1, v8
	v_add_lshl_u32 v8, v8, s4, 1
	v_add_u32_e32 v6, s4, v6
	s_waitcnt vmcnt(2)
	ds_write2_b32 v1, v2, v3 offset1:32
	s_waitcnt vmcnt(0)
	ds_write2_b32 v1, v4, v5 offset0:64 offset1:96
	s_waitcnt lgkmcnt(0)
	s_barrier
	ds_read_b128 v[2:5], v0
	s_waitcnt lgkmcnt(0)
	v_cvt_f16_f32_e32 v2, v2
	v_cvt_f16_f32_e32 v4, v4
	;; [unrolled: 1-line block ×4, first 2 shown]
	v_pack_b32_f16 v3, v4, v5
	v_pack_b32_f16 v2, v2, v7
	buffer_store_dwordx2 v[2:3], v9, s[16:19], 0 offen
	s_waitcnt lgkmcnt(0)
	s_barrier
	buffer_load_dword v2, off, s[0:3], 0 offset:720
	buffer_load_dword v3, off, s[0:3], 0 offset:724
	;; [unrolled: 1-line block ×4, first 2 shown]
	v_subrev_u32_e32 v9, 64, v8
	s_waitcnt vmcnt(2)
	ds_write2_b32 v1, v2, v3 offset1:32
	s_waitcnt vmcnt(0)
	ds_write2_b32 v1, v4, v5 offset0:64 offset1:96
	s_waitcnt lgkmcnt(0)
	s_barrier
	ds_read_b128 v[2:5], v0
	s_waitcnt lgkmcnt(0)
	v_cvt_f16_f32_e32 v2, v2
	v_cvt_f16_f32_e32 v4, v4
	v_cvt_f16_f32_e32 v5, v5
	v_cvt_f16_f32_e32 v7, v3
	v_pack_b32_f16 v3, v4, v5
	v_pack_b32_f16 v2, v2, v7
	buffer_store_dwordx2 v[2:3], v8, s[16:19], 0 offen
	s_waitcnt lgkmcnt(0)
	s_barrier
	buffer_load_dword v2, off, s[0:3], 0 offset:704
	buffer_load_dword v3, off, s[0:3], 0 offset:708
	;; [unrolled: 1-line block ×4, first 2 shown]
	v_add_u32_e32 v8, 0xffffff80, v8
	s_waitcnt vmcnt(2)
	ds_write2_b32 v1, v2, v3 offset1:32
	s_waitcnt vmcnt(0)
	ds_write2_b32 v1, v4, v5 offset0:64 offset1:96
	s_waitcnt lgkmcnt(0)
	s_barrier
	ds_read_b128 v[2:5], v0
	s_waitcnt lgkmcnt(0)
	v_cvt_f16_f32_e32 v2, v2
	v_cvt_f16_f32_e32 v4, v4
	;; [unrolled: 1-line block ×4, first 2 shown]
	v_pack_b32_f16 v3, v4, v5
	v_pack_b32_f16 v2, v2, v7
	buffer_store_dwordx2 v[2:3], v9, s[16:19], 0 offen
	s_waitcnt lgkmcnt(0)
	s_barrier
	buffer_load_dword v2, off, s[0:3], 0 offset:688
	buffer_load_dword v3, off, s[0:3], 0 offset:692
	;; [unrolled: 1-line block ×4, first 2 shown]
	s_waitcnt vmcnt(2)
	ds_write2_b32 v1, v2, v3 offset1:32
	s_waitcnt vmcnt(0)
	ds_write2_b32 v1, v4, v5 offset0:64 offset1:96
	s_waitcnt lgkmcnt(0)
	s_barrier
	ds_read_b128 v[2:5], v0
	s_waitcnt lgkmcnt(0)
	v_cvt_f16_f32_e32 v2, v2
	v_cvt_f16_f32_e32 v4, v4
	;; [unrolled: 1-line block ×4, first 2 shown]
	v_pack_b32_f16 v3, v4, v5
	v_pack_b32_f16 v2, v2, v7
	buffer_store_dwordx2 v[2:3], v8, s[16:19], 0 offen
	s_waitcnt lgkmcnt(0)
	s_barrier
	buffer_load_dword v2, off, s[0:3], 0 offset:672
	buffer_load_dword v3, off, s[0:3], 0 offset:676
	;; [unrolled: 1-line block ×4, first 2 shown]
	v_lshlrev_b32_e32 v8, 1, v6
	v_add_u32_e32 v6, s4, v6
	s_waitcnt vmcnt(2)
	ds_write2_b32 v1, v2, v3 offset1:32
	s_waitcnt vmcnt(0)
	ds_write2_b32 v1, v4, v5 offset0:64 offset1:96
	s_waitcnt lgkmcnt(0)
	s_barrier
	ds_read_b128 v[2:5], v0
	s_waitcnt lgkmcnt(0)
	v_cvt_f16_f32_e32 v2, v2
	v_cvt_f16_f32_e32 v4, v4
	;; [unrolled: 1-line block ×4, first 2 shown]
	v_pack_b32_f16 v3, v4, v5
	v_pack_b32_f16 v2, v2, v7
	buffer_store_dwordx2 v[2:3], v8, s[16:19], 0 offen
	s_waitcnt lgkmcnt(0)
	s_barrier
	buffer_load_dword v2, off, s[0:3], 0 offset:736
	buffer_load_dword v3, off, s[0:3], 0 offset:740
	buffer_load_dword v4, off, s[0:3], 0 offset:744
	buffer_load_dword v5, off, s[0:3], 0 offset:748
	v_lshlrev_b32_e32 v8, 1, v6
	s_waitcnt vmcnt(2)
	ds_write2_b32 v1, v2, v3 offset1:32
	s_waitcnt vmcnt(0)
	ds_write2_b32 v1, v4, v5 offset0:64 offset1:96
	s_waitcnt lgkmcnt(0)
	s_barrier
	ds_read_b128 v[2:5], v0
	s_waitcnt lgkmcnt(0)
	v_cvt_f16_f32_e32 v2, v2
	v_cvt_f16_f32_e32 v4, v4
	;; [unrolled: 1-line block ×4, first 2 shown]
	v_pack_b32_f16 v3, v4, v5
	v_pack_b32_f16 v2, v2, v7
	buffer_store_dwordx2 v[2:3], v8, s[16:19], 0 offen
	s_waitcnt lgkmcnt(0)
	s_barrier
	buffer_load_dword v2, off, s[0:3], 0 offset:752
	buffer_load_dword v3, off, s[0:3], 0 offset:756
	;; [unrolled: 1-line block ×4, first 2 shown]
	s_waitcnt vmcnt(2)
	ds_write2_b32 v1, v2, v3 offset1:32
	s_waitcnt vmcnt(0)
	ds_write2_b32 v1, v4, v5 offset0:64 offset1:96
	s_waitcnt lgkmcnt(0)
	s_barrier
	ds_read_b128 v[2:5], v0
	s_waitcnt lgkmcnt(0)
	v_cvt_f16_f32_e32 v2, v2
	v_cvt_f16_f32_e32 v4, v4
	;; [unrolled: 1-line block ×4, first 2 shown]
	v_pack_b32_f16 v3, v4, v5
	v_pack_b32_f16 v2, v2, v7
	buffer_store_dwordx2 v[2:3], v8, s[16:19], 0 offen offset:64
	s_waitcnt lgkmcnt(0)
	s_barrier
	buffer_load_dword v2, off, s[0:3], 0 offset:768
	buffer_load_dword v3, off, s[0:3], 0 offset:772
	buffer_load_dword v4, off, s[0:3], 0 offset:776
	buffer_load_dword v5, off, s[0:3], 0 offset:780
	s_waitcnt vmcnt(2)
	ds_write2_b32 v1, v2, v3 offset1:32
	s_waitcnt vmcnt(0)
	ds_write2_b32 v1, v4, v5 offset0:64 offset1:96
	s_waitcnt lgkmcnt(0)
	s_barrier
	ds_read_b128 v[2:5], v0
	s_waitcnt lgkmcnt(0)
	v_cvt_f16_f32_e32 v2, v2
	v_cvt_f16_f32_e32 v4, v4
	v_cvt_f16_f32_e32 v5, v5
	v_cvt_f16_f32_e32 v7, v3
	v_pack_b32_f16 v3, v4, v5
	v_pack_b32_f16 v2, v2, v7
	buffer_store_dwordx2 v[2:3], v8, s[16:19], 0 offen offset:128
	s_waitcnt lgkmcnt(0)
	s_barrier
	buffer_load_dword v2, off, s[0:3], 0 offset:784
	buffer_load_dword v3, off, s[0:3], 0 offset:788
	;; [unrolled: 1-line block ×4, first 2 shown]
	s_waitcnt vmcnt(2)
	ds_write2_b32 v1, v2, v3 offset1:32
	s_waitcnt vmcnt(0)
	ds_write2_b32 v1, v4, v5 offset0:64 offset1:96
	s_waitcnt lgkmcnt(0)
	s_barrier
	ds_read_b128 v[2:5], v0
	v_add_u32_e32 v8, 0x60, v6
	v_lshlrev_b32_e32 v9, 1, v8
	v_add_lshl_u32 v8, v8, s4, 1
	v_add_u32_e32 v6, s4, v6
	s_waitcnt lgkmcnt(0)
	v_cvt_f16_f32_e32 v2, v2
	v_cvt_f16_f32_e32 v4, v4
	;; [unrolled: 1-line block ×4, first 2 shown]
	v_pack_b32_f16 v3, v4, v5
	v_pack_b32_f16 v2, v2, v7
	buffer_store_dwordx2 v[2:3], v9, s[16:19], 0 offen
	s_waitcnt lgkmcnt(0)
	s_barrier
	buffer_load_dword v2, off, s[0:3], 0 offset:848
	buffer_load_dword v3, off, s[0:3], 0 offset:852
	;; [unrolled: 1-line block ×4, first 2 shown]
	s_waitcnt vmcnt(2)
	ds_write2_b32 v1, v2, v3 offset1:32
	s_waitcnt vmcnt(0)
	ds_write2_b32 v1, v4, v5 offset0:64 offset1:96
	s_waitcnt lgkmcnt(0)
	s_barrier
	ds_read_b128 v[2:5], v0
	v_subrev_u32_e32 v9, 64, v8
	s_waitcnt lgkmcnt(0)
	v_cvt_f16_f32_e32 v2, v2
	v_cvt_f16_f32_e32 v4, v4
	;; [unrolled: 1-line block ×4, first 2 shown]
	v_pack_b32_f16 v3, v4, v5
	v_pack_b32_f16 v2, v2, v7
	buffer_store_dwordx2 v[2:3], v8, s[16:19], 0 offen
	s_waitcnt lgkmcnt(0)
	s_barrier
	buffer_load_dword v2, off, s[0:3], 0 offset:832
	buffer_load_dword v3, off, s[0:3], 0 offset:836
	;; [unrolled: 1-line block ×4, first 2 shown]
	s_waitcnt vmcnt(2)
	ds_write2_b32 v1, v2, v3 offset1:32
	s_waitcnt vmcnt(0)
	ds_write2_b32 v1, v4, v5 offset0:64 offset1:96
	s_waitcnt lgkmcnt(0)
	s_barrier
	ds_read_b128 v[2:5], v0
	v_add_u32_e32 v8, 0xffffff80, v8
	s_waitcnt lgkmcnt(0)
	v_cvt_f16_f32_e32 v2, v2
	v_cvt_f16_f32_e32 v4, v4
	;; [unrolled: 1-line block ×4, first 2 shown]
	v_pack_b32_f16 v3, v4, v5
	v_pack_b32_f16 v2, v2, v7
	buffer_store_dwordx2 v[2:3], v9, s[16:19], 0 offen
	s_waitcnt lgkmcnt(0)
	s_barrier
	buffer_load_dword v2, off, s[0:3], 0 offset:816
	buffer_load_dword v3, off, s[0:3], 0 offset:820
	;; [unrolled: 1-line block ×4, first 2 shown]
	s_waitcnt vmcnt(2)
	ds_write2_b32 v1, v2, v3 offset1:32
	s_waitcnt vmcnt(0)
	ds_write2_b32 v1, v4, v5 offset0:64 offset1:96
	s_waitcnt lgkmcnt(0)
	s_barrier
	ds_read_b128 v[2:5], v0
	s_waitcnt lgkmcnt(0)
	v_cvt_f16_f32_e32 v2, v2
	v_cvt_f16_f32_e32 v4, v4
	;; [unrolled: 1-line block ×4, first 2 shown]
	v_pack_b32_f16 v3, v4, v5
	v_pack_b32_f16 v2, v2, v7
	buffer_store_dwordx2 v[2:3], v8, s[16:19], 0 offen
	s_waitcnt lgkmcnt(0)
	s_barrier
	buffer_load_dword v2, off, s[0:3], 0 offset:800
	buffer_load_dword v3, off, s[0:3], 0 offset:804
	;; [unrolled: 1-line block ×4, first 2 shown]
	s_waitcnt vmcnt(2)
	ds_write2_b32 v1, v2, v3 offset1:32
	s_waitcnt vmcnt(0)
	ds_write2_b32 v1, v4, v5 offset0:64 offset1:96
	s_waitcnt lgkmcnt(0)
	s_barrier
	ds_read_b128 v[2:5], v0
	v_lshlrev_b32_e32 v8, 1, v6
	v_add_u32_e32 v6, s4, v6
	s_waitcnt lgkmcnt(0)
	v_cvt_f16_f32_e32 v2, v2
	v_cvt_f16_f32_e32 v4, v4
	;; [unrolled: 1-line block ×4, first 2 shown]
	v_pack_b32_f16 v3, v4, v5
	v_pack_b32_f16 v2, v2, v7
	buffer_store_dwordx2 v[2:3], v8, s[16:19], 0 offen
	s_waitcnt lgkmcnt(0)
	s_barrier
	buffer_load_dword v2, off, s[0:3], 0 offset:864
	buffer_load_dword v3, off, s[0:3], 0 offset:868
	;; [unrolled: 1-line block ×4, first 2 shown]
	s_waitcnt vmcnt(2)
	ds_write2_b32 v1, v2, v3 offset1:32
	s_waitcnt vmcnt(0)
	ds_write2_b32 v1, v4, v5 offset0:64 offset1:96
	s_waitcnt lgkmcnt(0)
	s_barrier
	ds_read_b128 v[2:5], v0
	v_lshlrev_b32_e32 v8, 1, v6
	s_waitcnt lgkmcnt(0)
	v_cvt_f16_f32_e32 v2, v2
	v_cvt_f16_f32_e32 v4, v4
	v_cvt_f16_f32_e32 v5, v5
	v_cvt_f16_f32_e32 v7, v3
	v_pack_b32_f16 v3, v4, v5
	v_pack_b32_f16 v2, v2, v7
	buffer_store_dwordx2 v[2:3], v8, s[16:19], 0 offen
	s_waitcnt lgkmcnt(0)
	s_barrier
	buffer_load_dword v2, off, s[0:3], 0 offset:880
	buffer_load_dword v3, off, s[0:3], 0 offset:884
	;; [unrolled: 1-line block ×4, first 2 shown]
	s_waitcnt vmcnt(2)
	ds_write2_b32 v1, v2, v3 offset1:32
	s_waitcnt vmcnt(0)
	ds_write2_b32 v1, v4, v5 offset0:64 offset1:96
	s_waitcnt lgkmcnt(0)
	s_barrier
	ds_read_b128 v[2:5], v0
	s_waitcnt lgkmcnt(0)
	v_cvt_f16_f32_e32 v2, v2
	v_cvt_f16_f32_e32 v4, v4
	;; [unrolled: 1-line block ×4, first 2 shown]
	v_pack_b32_f16 v3, v4, v5
	v_pack_b32_f16 v2, v2, v7
	buffer_store_dwordx2 v[2:3], v8, s[16:19], 0 offen offset:64
	s_waitcnt lgkmcnt(0)
	s_barrier
	buffer_load_dword v2, off, s[0:3], 0 offset:896
	buffer_load_dword v3, off, s[0:3], 0 offset:900
	;; [unrolled: 1-line block ×4, first 2 shown]
	s_waitcnt vmcnt(2)
	ds_write2_b32 v1, v2, v3 offset1:32
	s_waitcnt vmcnt(0)
	ds_write2_b32 v1, v4, v5 offset0:64 offset1:96
	s_waitcnt lgkmcnt(0)
	s_barrier
	ds_read_b128 v[2:5], v0
	s_waitcnt lgkmcnt(0)
	v_cvt_f16_f32_e32 v2, v2
	v_cvt_f16_f32_e32 v4, v4
	v_cvt_f16_f32_e32 v5, v5
	v_cvt_f16_f32_e32 v7, v3
	v_pack_b32_f16 v3, v4, v5
	v_pack_b32_f16 v2, v2, v7
	buffer_store_dwordx2 v[2:3], v8, s[16:19], 0 offen offset:128
	s_waitcnt lgkmcnt(0)
	s_barrier
	buffer_load_dword v2, off, s[0:3], 0 offset:912
	buffer_load_dword v3, off, s[0:3], 0 offset:916
	;; [unrolled: 1-line block ×4, first 2 shown]
	s_waitcnt vmcnt(2)
	ds_write2_b32 v1, v2, v3 offset1:32
	s_waitcnt vmcnt(0)
	ds_write2_b32 v1, v4, v5 offset0:64 offset1:96
	s_waitcnt lgkmcnt(0)
	s_barrier
	ds_read_b128 v[2:5], v0
	v_add_u32_e32 v8, 0x60, v6
	v_lshlrev_b32_e32 v9, 1, v8
	v_add_lshl_u32 v8, v8, s4, 1
	v_add_u32_e32 v6, s4, v6
	s_waitcnt lgkmcnt(0)
	v_cvt_f16_f32_e32 v2, v2
	v_cvt_f16_f32_e32 v4, v4
	;; [unrolled: 1-line block ×4, first 2 shown]
	v_pack_b32_f16 v3, v4, v5
	v_pack_b32_f16 v2, v2, v7
	buffer_store_dwordx2 v[2:3], v9, s[16:19], 0 offen
	s_waitcnt lgkmcnt(0)
	s_barrier
	buffer_load_dword v2, off, s[0:3], 0 offset:976
	buffer_load_dword v3, off, s[0:3], 0 offset:980
	buffer_load_dword v4, off, s[0:3], 0 offset:984
	buffer_load_dword v5, off, s[0:3], 0 offset:988
	s_waitcnt vmcnt(2)
	ds_write2_b32 v1, v2, v3 offset1:32
	s_waitcnt vmcnt(0)
	ds_write2_b32 v1, v4, v5 offset0:64 offset1:96
	s_waitcnt lgkmcnt(0)
	s_barrier
	ds_read_b128 v[2:5], v0
	v_subrev_u32_e32 v9, 64, v8
	s_waitcnt lgkmcnt(0)
	v_cvt_f16_f32_e32 v2, v2
	v_cvt_f16_f32_e32 v4, v4
	;; [unrolled: 1-line block ×4, first 2 shown]
	v_pack_b32_f16 v3, v4, v5
	v_pack_b32_f16 v2, v2, v7
	buffer_store_dwordx2 v[2:3], v8, s[16:19], 0 offen
	s_waitcnt lgkmcnt(0)
	s_barrier
	buffer_load_dword v2, off, s[0:3], 0 offset:960
	buffer_load_dword v3, off, s[0:3], 0 offset:964
	;; [unrolled: 1-line block ×4, first 2 shown]
	s_waitcnt vmcnt(2)
	ds_write2_b32 v1, v2, v3 offset1:32
	s_waitcnt vmcnt(0)
	ds_write2_b32 v1, v4, v5 offset0:64 offset1:96
	s_waitcnt lgkmcnt(0)
	s_barrier
	ds_read_b128 v[2:5], v0
	v_add_u32_e32 v8, 0xffffff80, v8
	s_waitcnt lgkmcnt(0)
	v_cvt_f16_f32_e32 v2, v2
	v_cvt_f16_f32_e32 v4, v4
	;; [unrolled: 1-line block ×4, first 2 shown]
	v_pack_b32_f16 v3, v4, v5
	v_pack_b32_f16 v2, v2, v7
	buffer_store_dwordx2 v[2:3], v9, s[16:19], 0 offen
	s_waitcnt lgkmcnt(0)
	s_barrier
	buffer_load_dword v2, off, s[0:3], 0 offset:944
	buffer_load_dword v3, off, s[0:3], 0 offset:948
	;; [unrolled: 1-line block ×4, first 2 shown]
	s_waitcnt vmcnt(2)
	ds_write2_b32 v1, v2, v3 offset1:32
	s_waitcnt vmcnt(0)
	ds_write2_b32 v1, v4, v5 offset0:64 offset1:96
	s_waitcnt lgkmcnt(0)
	s_barrier
	ds_read_b128 v[2:5], v0
	s_waitcnt lgkmcnt(0)
	v_cvt_f16_f32_e32 v2, v2
	v_cvt_f16_f32_e32 v4, v4
	v_cvt_f16_f32_e32 v5, v5
	v_cvt_f16_f32_e32 v7, v3
	v_pack_b32_f16 v3, v4, v5
	v_pack_b32_f16 v2, v2, v7
	buffer_store_dwordx2 v[2:3], v8, s[16:19], 0 offen
	s_waitcnt lgkmcnt(0)
	s_barrier
	buffer_load_dword v2, off, s[0:3], 0 offset:928
	buffer_load_dword v3, off, s[0:3], 0 offset:932
	;; [unrolled: 1-line block ×4, first 2 shown]
	s_waitcnt vmcnt(2)
	ds_write2_b32 v1, v2, v3 offset1:32
	s_waitcnt vmcnt(0)
	ds_write2_b32 v1, v4, v5 offset0:64 offset1:96
	s_waitcnt lgkmcnt(0)
	s_barrier
	ds_read_b128 v[2:5], v0
	v_lshlrev_b32_e32 v8, 1, v6
	v_add_u32_e32 v6, s4, v6
	s_waitcnt lgkmcnt(0)
	v_cvt_f16_f32_e32 v2, v2
	v_cvt_f16_f32_e32 v4, v4
	;; [unrolled: 1-line block ×4, first 2 shown]
	v_pack_b32_f16 v3, v4, v5
	v_pack_b32_f16 v2, v2, v7
	buffer_store_dwordx2 v[2:3], v8, s[16:19], 0 offen
	s_waitcnt lgkmcnt(0)
	s_barrier
	buffer_load_dword v2, off, s[0:3], 0 offset:992
	buffer_load_dword v3, off, s[0:3], 0 offset:996
	;; [unrolled: 1-line block ×4, first 2 shown]
	s_waitcnt vmcnt(2)
	ds_write2_b32 v1, v2, v3 offset1:32
	s_waitcnt vmcnt(0)
	ds_write2_b32 v1, v4, v5 offset0:64 offset1:96
	s_waitcnt lgkmcnt(0)
	s_barrier
	ds_read_b128 v[2:5], v0
	v_lshlrev_b32_e32 v8, 1, v6
	s_waitcnt lgkmcnt(0)
	v_cvt_f16_f32_e32 v2, v2
	v_cvt_f16_f32_e32 v4, v4
	;; [unrolled: 1-line block ×4, first 2 shown]
	v_pack_b32_f16 v3, v4, v5
	v_pack_b32_f16 v2, v2, v7
	buffer_store_dwordx2 v[2:3], v8, s[16:19], 0 offen
	s_waitcnt lgkmcnt(0)
	s_barrier
	buffer_load_dword v2, off, s[0:3], 0 offset:1008
	buffer_load_dword v3, off, s[0:3], 0 offset:1012
	;; [unrolled: 1-line block ×4, first 2 shown]
	s_waitcnt vmcnt(2)
	ds_write2_b32 v1, v2, v3 offset1:32
	s_waitcnt vmcnt(0)
	ds_write2_b32 v1, v4, v5 offset0:64 offset1:96
	s_waitcnt lgkmcnt(0)
	s_barrier
	ds_read_b128 v[2:5], v0
	s_waitcnt lgkmcnt(0)
	v_cvt_f16_f32_e32 v2, v2
	v_cvt_f16_f32_e32 v4, v4
	;; [unrolled: 1-line block ×4, first 2 shown]
	v_pack_b32_f16 v3, v4, v5
	v_pack_b32_f16 v2, v2, v7
	buffer_store_dwordx2 v[2:3], v8, s[16:19], 0 offen offset:64
	s_waitcnt lgkmcnt(0)
	s_barrier
	buffer_load_dword v2, off, s[0:3], 0 offset:1024
	buffer_load_dword v3, off, s[0:3], 0 offset:1028
	buffer_load_dword v4, off, s[0:3], 0 offset:1032
	buffer_load_dword v5, off, s[0:3], 0 offset:1036
	s_waitcnt vmcnt(2)
	ds_write2_b32 v1, v2, v3 offset1:32
	s_waitcnt vmcnt(0)
	ds_write2_b32 v1, v4, v5 offset0:64 offset1:96
	s_waitcnt lgkmcnt(0)
	s_barrier
	ds_read_b128 v[2:5], v0
	s_waitcnt lgkmcnt(0)
	v_cvt_f16_f32_e32 v2, v2
	v_cvt_f16_f32_e32 v4, v4
	;; [unrolled: 1-line block ×4, first 2 shown]
	v_pack_b32_f16 v3, v4, v5
	v_pack_b32_f16 v2, v2, v7
	buffer_store_dwordx2 v[2:3], v8, s[16:19], 0 offen offset:128
	s_waitcnt lgkmcnt(0)
	s_barrier
	buffer_load_dword v2, off, s[0:3], 0 offset:1040
	buffer_load_dword v3, off, s[0:3], 0 offset:1044
	;; [unrolled: 1-line block ×4, first 2 shown]
	s_waitcnt vmcnt(2)
	ds_write2_b32 v1, v2, v3 offset1:32
	s_waitcnt vmcnt(0)
	ds_write2_b32 v1, v4, v5 offset0:64 offset1:96
	s_waitcnt lgkmcnt(0)
	s_barrier
	ds_read_b128 v[2:5], v0
	v_add_u32_e32 v8, 0x60, v6
	v_lshlrev_b32_e32 v9, 1, v8
	v_add_lshl_u32 v8, v8, s4, 1
	s_waitcnt lgkmcnt(0)
	v_cvt_f16_f32_e32 v2, v2
	v_cvt_f16_f32_e32 v4, v4
	;; [unrolled: 1-line block ×4, first 2 shown]
	v_pack_b32_f16 v3, v4, v5
	v_pack_b32_f16 v2, v2, v7
	buffer_store_dwordx2 v[2:3], v9, s[16:19], 0 offen
	s_waitcnt lgkmcnt(0)
	s_barrier
	buffer_load_dword v2, off, s[0:3], 0 offset:1104
	buffer_load_dword v3, off, s[0:3], 0 offset:1108
	;; [unrolled: 1-line block ×4, first 2 shown]
	s_waitcnt vmcnt(2)
	ds_write2_b32 v1, v2, v3 offset1:32
	s_waitcnt vmcnt(0)
	ds_write2_b32 v1, v4, v5 offset0:64 offset1:96
	s_waitcnt lgkmcnt(0)
	s_barrier
	ds_read_b128 v[2:5], v0
	v_subrev_u32_e32 v9, 64, v8
	s_waitcnt lgkmcnt(0)
	v_cvt_f16_f32_e32 v2, v2
	v_cvt_f16_f32_e32 v4, v4
	;; [unrolled: 1-line block ×4, first 2 shown]
	v_pack_b32_f16 v3, v4, v5
	v_pack_b32_f16 v2, v2, v7
	buffer_store_dwordx2 v[2:3], v8, s[16:19], 0 offen
	s_waitcnt lgkmcnt(0)
	s_barrier
	buffer_load_dword v2, off, s[0:3], 0 offset:1088
	buffer_load_dword v3, off, s[0:3], 0 offset:1092
	;; [unrolled: 1-line block ×4, first 2 shown]
	s_waitcnt vmcnt(2)
	ds_write2_b32 v1, v2, v3 offset1:32
	s_waitcnt vmcnt(0)
	ds_write2_b32 v1, v4, v5 offset0:64 offset1:96
	s_waitcnt lgkmcnt(0)
	s_barrier
	ds_read_b128 v[2:5], v0
	v_add_u32_e32 v8, 0xffffff80, v8
	s_waitcnt lgkmcnt(0)
	v_cvt_f16_f32_e32 v2, v2
	v_cvt_f16_f32_e32 v4, v4
	;; [unrolled: 1-line block ×4, first 2 shown]
	v_pack_b32_f16 v3, v4, v5
	v_pack_b32_f16 v2, v2, v7
	buffer_store_dwordx2 v[2:3], v9, s[16:19], 0 offen
	s_waitcnt lgkmcnt(0)
	s_barrier
	buffer_load_dword v2, off, s[0:3], 0 offset:1072
	buffer_load_dword v3, off, s[0:3], 0 offset:1076
	;; [unrolled: 1-line block ×4, first 2 shown]
	s_waitcnt vmcnt(2)
	ds_write2_b32 v1, v2, v3 offset1:32
	s_waitcnt vmcnt(0)
	ds_write2_b32 v1, v4, v5 offset0:64 offset1:96
	s_waitcnt lgkmcnt(0)
	s_barrier
	ds_read_b128 v[2:5], v0
	s_waitcnt lgkmcnt(0)
	v_cvt_f16_f32_e32 v2, v2
	v_cvt_f16_f32_e32 v4, v4
	;; [unrolled: 1-line block ×4, first 2 shown]
	v_pack_b32_f16 v3, v4, v5
	v_pack_b32_f16 v2, v2, v7
	buffer_store_dwordx2 v[2:3], v8, s[16:19], 0 offen
	s_waitcnt lgkmcnt(0)
	s_barrier
	buffer_load_dword v2, off, s[0:3], 0 offset:1056
	buffer_load_dword v3, off, s[0:3], 0 offset:1060
	;; [unrolled: 1-line block ×4, first 2 shown]
	s_waitcnt vmcnt(2)
	ds_write2_b32 v1, v2, v3 offset1:32
	s_waitcnt vmcnt(0)
	ds_write2_b32 v1, v4, v5 offset0:64 offset1:96
	s_waitcnt lgkmcnt(0)
	s_barrier
	ds_read_b128 v[0:3], v0
	s_waitcnt lgkmcnt(0)
	v_cvt_f16_f32_e32 v0, v0
	v_cvt_f16_f32_e32 v2, v2
	;; [unrolled: 1-line block ×4, first 2 shown]
	v_pack_b32_f16 v1, v2, v3
	v_pack_b32_f16 v0, v0, v4
	v_add_lshl_u32 v2, v6, s4, 1
	buffer_store_dwordx2 v[0:1], v2, s[16:19], 0 offen
	s_endpgm
	.section	.rodata,"a",@progbits
	.p2align	6, 0x0
	.amdhsa_kernel _ZN2ck27kernel_gemm_xdl_cshuffle_v1INS_43GridwiseGemm_k0mk1_k0nk1_mn_xdl_cshuffle_v1INS_13tensor_layout4gemm8RowMajorENS3_11ColumnMajorES4_NS_9f8_fnuz_tENS_10bf8_fnuz_tEffDF16_NS_16tensor_operation12element_wise11PassThroughESA_SA_LNS8_6device18GemmSpecializationE0ELNS_25InMemoryDataOperationEnumE0ELi1ELi256ELi256ELi128ELi64ELi16ELi16ELi16ELi16ELi8ELi4ENS_8SequenceIJLi4ELi64ELi1EEEENSE_IJLi1ELi0ELi2EEEESG_Li2ELi16ELi16ELb0ELi1ESF_SG_SG_Li2ELi8ELi8ELb0ELi1ELi1ELi1ENSE_IJLi1ELi32ELi1ELi8EEEELi4ELNS_13LoopSchedulerE0ELNS_15PipelineVersionE0ES6_S7_EELb0EEEvNT_8ArgumentE
		.amdhsa_group_segment_fixed_size 24672
		.amdhsa_private_segment_fixed_size 1168
		.amdhsa_kernarg_size 96
		.amdhsa_user_sgpr_count 8
		.amdhsa_user_sgpr_private_segment_buffer 1
		.amdhsa_user_sgpr_dispatch_ptr 0
		.amdhsa_user_sgpr_queue_ptr 0
		.amdhsa_user_sgpr_kernarg_segment_ptr 1
		.amdhsa_user_sgpr_dispatch_id 0
		.amdhsa_user_sgpr_flat_scratch_init 1
		.amdhsa_user_sgpr_kernarg_preload_length 0
		.amdhsa_user_sgpr_kernarg_preload_offset 0
		.amdhsa_user_sgpr_private_segment_size 0
		.amdhsa_uses_dynamic_stack 0
		.amdhsa_system_sgpr_private_segment_wavefront_offset 1
		.amdhsa_system_sgpr_workgroup_id_x 1
		.amdhsa_system_sgpr_workgroup_id_y 0
		.amdhsa_system_sgpr_workgroup_id_z 0
		.amdhsa_system_sgpr_workgroup_info 0
		.amdhsa_system_vgpr_workitem_id 0
		.amdhsa_next_free_vgpr 96
		.amdhsa_next_free_sgpr 33
		.amdhsa_accum_offset 92
		.amdhsa_reserve_vcc 1
		.amdhsa_reserve_flat_scratch 1
		.amdhsa_float_round_mode_32 0
		.amdhsa_float_round_mode_16_64 0
		.amdhsa_float_denorm_mode_32 3
		.amdhsa_float_denorm_mode_16_64 3
		.amdhsa_dx10_clamp 1
		.amdhsa_ieee_mode 1
		.amdhsa_fp16_overflow 0
		.amdhsa_tg_split 0
		.amdhsa_exception_fp_ieee_invalid_op 0
		.amdhsa_exception_fp_denorm_src 0
		.amdhsa_exception_fp_ieee_div_zero 0
		.amdhsa_exception_fp_ieee_overflow 0
		.amdhsa_exception_fp_ieee_underflow 0
		.amdhsa_exception_fp_ieee_inexact 0
		.amdhsa_exception_int_div_zero 0
	.end_amdhsa_kernel
	.section	.text._ZN2ck27kernel_gemm_xdl_cshuffle_v1INS_43GridwiseGemm_k0mk1_k0nk1_mn_xdl_cshuffle_v1INS_13tensor_layout4gemm8RowMajorENS3_11ColumnMajorES4_NS_9f8_fnuz_tENS_10bf8_fnuz_tEffDF16_NS_16tensor_operation12element_wise11PassThroughESA_SA_LNS8_6device18GemmSpecializationE0ELNS_25InMemoryDataOperationEnumE0ELi1ELi256ELi256ELi128ELi64ELi16ELi16ELi16ELi16ELi8ELi4ENS_8SequenceIJLi4ELi64ELi1EEEENSE_IJLi1ELi0ELi2EEEESG_Li2ELi16ELi16ELb0ELi1ESF_SG_SG_Li2ELi8ELi8ELb0ELi1ELi1ELi1ENSE_IJLi1ELi32ELi1ELi8EEEELi4ELNS_13LoopSchedulerE0ELNS_15PipelineVersionE0ES6_S7_EELb0EEEvNT_8ArgumentE,"axG",@progbits,_ZN2ck27kernel_gemm_xdl_cshuffle_v1INS_43GridwiseGemm_k0mk1_k0nk1_mn_xdl_cshuffle_v1INS_13tensor_layout4gemm8RowMajorENS3_11ColumnMajorES4_NS_9f8_fnuz_tENS_10bf8_fnuz_tEffDF16_NS_16tensor_operation12element_wise11PassThroughESA_SA_LNS8_6device18GemmSpecializationE0ELNS_25InMemoryDataOperationEnumE0ELi1ELi256ELi256ELi128ELi64ELi16ELi16ELi16ELi16ELi8ELi4ENS_8SequenceIJLi4ELi64ELi1EEEENSE_IJLi1ELi0ELi2EEEESG_Li2ELi16ELi16ELb0ELi1ESF_SG_SG_Li2ELi8ELi8ELb0ELi1ELi1ELi1ENSE_IJLi1ELi32ELi1ELi8EEEELi4ELNS_13LoopSchedulerE0ELNS_15PipelineVersionE0ES6_S7_EELb0EEEvNT_8ArgumentE,comdat
.Lfunc_end3:
	.size	_ZN2ck27kernel_gemm_xdl_cshuffle_v1INS_43GridwiseGemm_k0mk1_k0nk1_mn_xdl_cshuffle_v1INS_13tensor_layout4gemm8RowMajorENS3_11ColumnMajorES4_NS_9f8_fnuz_tENS_10bf8_fnuz_tEffDF16_NS_16tensor_operation12element_wise11PassThroughESA_SA_LNS8_6device18GemmSpecializationE0ELNS_25InMemoryDataOperationEnumE0ELi1ELi256ELi256ELi128ELi64ELi16ELi16ELi16ELi16ELi8ELi4ENS_8SequenceIJLi4ELi64ELi1EEEENSE_IJLi1ELi0ELi2EEEESG_Li2ELi16ELi16ELb0ELi1ESF_SG_SG_Li2ELi8ELi8ELb0ELi1ELi1ELi1ENSE_IJLi1ELi32ELi1ELi8EEEELi4ELNS_13LoopSchedulerE0ELNS_15PipelineVersionE0ES6_S7_EELb0EEEvNT_8ArgumentE, .Lfunc_end3-_ZN2ck27kernel_gemm_xdl_cshuffle_v1INS_43GridwiseGemm_k0mk1_k0nk1_mn_xdl_cshuffle_v1INS_13tensor_layout4gemm8RowMajorENS3_11ColumnMajorES4_NS_9f8_fnuz_tENS_10bf8_fnuz_tEffDF16_NS_16tensor_operation12element_wise11PassThroughESA_SA_LNS8_6device18GemmSpecializationE0ELNS_25InMemoryDataOperationEnumE0ELi1ELi256ELi256ELi128ELi64ELi16ELi16ELi16ELi16ELi8ELi4ENS_8SequenceIJLi4ELi64ELi1EEEENSE_IJLi1ELi0ELi2EEEESG_Li2ELi16ELi16ELb0ELi1ESF_SG_SG_Li2ELi8ELi8ELb0ELi1ELi1ELi1ENSE_IJLi1ELi32ELi1ELi8EEEELi4ELNS_13LoopSchedulerE0ELNS_15PipelineVersionE0ES6_S7_EELb0EEEvNT_8ArgumentE
                                        ; -- End function
	.section	.AMDGPU.csdata,"",@progbits
; Kernel info:
; codeLenInByte = 9844
; NumSgprs: 39
; NumVgprs: 89
; NumAgprs: 4
; TotalNumVgprs: 96
; ScratchSize: 1168
; MemoryBound: 0
; FloatMode: 240
; IeeeMode: 1
; LDSByteSize: 24672 bytes/workgroup (compile time only)
; SGPRBlocks: 4
; VGPRBlocks: 11
; NumSGPRsForWavesPerEU: 39
; NumVGPRsForWavesPerEU: 96
; AccumOffset: 92
; Occupancy: 2
; WaveLimiterHint : 1
; COMPUTE_PGM_RSRC2:SCRATCH_EN: 1
; COMPUTE_PGM_RSRC2:USER_SGPR: 8
; COMPUTE_PGM_RSRC2:TRAP_HANDLER: 0
; COMPUTE_PGM_RSRC2:TGID_X_EN: 1
; COMPUTE_PGM_RSRC2:TGID_Y_EN: 0
; COMPUTE_PGM_RSRC2:TGID_Z_EN: 0
; COMPUTE_PGM_RSRC2:TIDIG_COMP_CNT: 0
; COMPUTE_PGM_RSRC3_GFX90A:ACCUM_OFFSET: 22
; COMPUTE_PGM_RSRC3_GFX90A:TG_SPLIT: 0
	.section	.text._ZN2ck27kernel_gemm_xdl_cshuffle_v1INS_43GridwiseGemm_k0mk1_k0nk1_mn_xdl_cshuffle_v1INS_13tensor_layout4gemm8RowMajorENS3_11ColumnMajorES4_NS_9f8_fnuz_tENS_10bf8_fnuz_tEffDF16_NS_16tensor_operation12element_wise11PassThroughESA_SA_LNS8_6device18GemmSpecializationE0ELNS_25InMemoryDataOperationEnumE0ELi1ELi256ELi256ELi128ELi64ELi16ELi16ELi16ELi16ELi8ELi2ENS_8SequenceIJLi4ELi64ELi1EEEENSE_IJLi1ELi0ELi2EEEESG_Li2ELi16ELi16ELb0ELi1ESF_SG_SG_Li2ELi8ELi8ELb0ELi1ELi1ELi1ENSE_IJLi1ELi32ELi1ELi8EEEELi4ELNS_13LoopSchedulerE0ELNS_15PipelineVersionE0ES6_S7_EELb1EEEvNT_8ArgumentE,"axG",@progbits,_ZN2ck27kernel_gemm_xdl_cshuffle_v1INS_43GridwiseGemm_k0mk1_k0nk1_mn_xdl_cshuffle_v1INS_13tensor_layout4gemm8RowMajorENS3_11ColumnMajorES4_NS_9f8_fnuz_tENS_10bf8_fnuz_tEffDF16_NS_16tensor_operation12element_wise11PassThroughESA_SA_LNS8_6device18GemmSpecializationE0ELNS_25InMemoryDataOperationEnumE0ELi1ELi256ELi256ELi128ELi64ELi16ELi16ELi16ELi16ELi8ELi2ENS_8SequenceIJLi4ELi64ELi1EEEENSE_IJLi1ELi0ELi2EEEESG_Li2ELi16ELi16ELb0ELi1ESF_SG_SG_Li2ELi8ELi8ELb0ELi1ELi1ELi1ENSE_IJLi1ELi32ELi1ELi8EEEELi4ELNS_13LoopSchedulerE0ELNS_15PipelineVersionE0ES6_S7_EELb1EEEvNT_8ArgumentE,comdat
	.protected	_ZN2ck27kernel_gemm_xdl_cshuffle_v1INS_43GridwiseGemm_k0mk1_k0nk1_mn_xdl_cshuffle_v1INS_13tensor_layout4gemm8RowMajorENS3_11ColumnMajorES4_NS_9f8_fnuz_tENS_10bf8_fnuz_tEffDF16_NS_16tensor_operation12element_wise11PassThroughESA_SA_LNS8_6device18GemmSpecializationE0ELNS_25InMemoryDataOperationEnumE0ELi1ELi256ELi256ELi128ELi64ELi16ELi16ELi16ELi16ELi8ELi2ENS_8SequenceIJLi4ELi64ELi1EEEENSE_IJLi1ELi0ELi2EEEESG_Li2ELi16ELi16ELb0ELi1ESF_SG_SG_Li2ELi8ELi8ELb0ELi1ELi1ELi1ENSE_IJLi1ELi32ELi1ELi8EEEELi4ELNS_13LoopSchedulerE0ELNS_15PipelineVersionE0ES6_S7_EELb1EEEvNT_8ArgumentE ; -- Begin function _ZN2ck27kernel_gemm_xdl_cshuffle_v1INS_43GridwiseGemm_k0mk1_k0nk1_mn_xdl_cshuffle_v1INS_13tensor_layout4gemm8RowMajorENS3_11ColumnMajorES4_NS_9f8_fnuz_tENS_10bf8_fnuz_tEffDF16_NS_16tensor_operation12element_wise11PassThroughESA_SA_LNS8_6device18GemmSpecializationE0ELNS_25InMemoryDataOperationEnumE0ELi1ELi256ELi256ELi128ELi64ELi16ELi16ELi16ELi16ELi8ELi2ENS_8SequenceIJLi4ELi64ELi1EEEENSE_IJLi1ELi0ELi2EEEESG_Li2ELi16ELi16ELb0ELi1ESF_SG_SG_Li2ELi8ELi8ELb0ELi1ELi1ELi1ENSE_IJLi1ELi32ELi1ELi8EEEELi4ELNS_13LoopSchedulerE0ELNS_15PipelineVersionE0ES6_S7_EELb1EEEvNT_8ArgumentE
	.globl	_ZN2ck27kernel_gemm_xdl_cshuffle_v1INS_43GridwiseGemm_k0mk1_k0nk1_mn_xdl_cshuffle_v1INS_13tensor_layout4gemm8RowMajorENS3_11ColumnMajorES4_NS_9f8_fnuz_tENS_10bf8_fnuz_tEffDF16_NS_16tensor_operation12element_wise11PassThroughESA_SA_LNS8_6device18GemmSpecializationE0ELNS_25InMemoryDataOperationEnumE0ELi1ELi256ELi256ELi128ELi64ELi16ELi16ELi16ELi16ELi8ELi2ENS_8SequenceIJLi4ELi64ELi1EEEENSE_IJLi1ELi0ELi2EEEESG_Li2ELi16ELi16ELb0ELi1ESF_SG_SG_Li2ELi8ELi8ELb0ELi1ELi1ELi1ENSE_IJLi1ELi32ELi1ELi8EEEELi4ELNS_13LoopSchedulerE0ELNS_15PipelineVersionE0ES6_S7_EELb1EEEvNT_8ArgumentE
	.p2align	8
	.type	_ZN2ck27kernel_gemm_xdl_cshuffle_v1INS_43GridwiseGemm_k0mk1_k0nk1_mn_xdl_cshuffle_v1INS_13tensor_layout4gemm8RowMajorENS3_11ColumnMajorES4_NS_9f8_fnuz_tENS_10bf8_fnuz_tEffDF16_NS_16tensor_operation12element_wise11PassThroughESA_SA_LNS8_6device18GemmSpecializationE0ELNS_25InMemoryDataOperationEnumE0ELi1ELi256ELi256ELi128ELi64ELi16ELi16ELi16ELi16ELi8ELi2ENS_8SequenceIJLi4ELi64ELi1EEEENSE_IJLi1ELi0ELi2EEEESG_Li2ELi16ELi16ELb0ELi1ESF_SG_SG_Li2ELi8ELi8ELb0ELi1ELi1ELi1ENSE_IJLi1ELi32ELi1ELi8EEEELi4ELNS_13LoopSchedulerE0ELNS_15PipelineVersionE0ES6_S7_EELb1EEEvNT_8ArgumentE,@function
_ZN2ck27kernel_gemm_xdl_cshuffle_v1INS_43GridwiseGemm_k0mk1_k0nk1_mn_xdl_cshuffle_v1INS_13tensor_layout4gemm8RowMajorENS3_11ColumnMajorES4_NS_9f8_fnuz_tENS_10bf8_fnuz_tEffDF16_NS_16tensor_operation12element_wise11PassThroughESA_SA_LNS8_6device18GemmSpecializationE0ELNS_25InMemoryDataOperationEnumE0ELi1ELi256ELi256ELi128ELi64ELi16ELi16ELi16ELi16ELi8ELi2ENS_8SequenceIJLi4ELi64ELi1EEEENSE_IJLi1ELi0ELi2EEEESG_Li2ELi16ELi16ELb0ELi1ESF_SG_SG_Li2ELi8ELi8ELb0ELi1ELi1ELi1ENSE_IJLi1ELi32ELi1ELi8EEEELi4ELNS_13LoopSchedulerE0ELNS_15PipelineVersionE0ES6_S7_EELb1EEEvNT_8ArgumentE: ; @_ZN2ck27kernel_gemm_xdl_cshuffle_v1INS_43GridwiseGemm_k0mk1_k0nk1_mn_xdl_cshuffle_v1INS_13tensor_layout4gemm8RowMajorENS3_11ColumnMajorES4_NS_9f8_fnuz_tENS_10bf8_fnuz_tEffDF16_NS_16tensor_operation12element_wise11PassThroughESA_SA_LNS8_6device18GemmSpecializationE0ELNS_25InMemoryDataOperationEnumE0ELi1ELi256ELi256ELi128ELi64ELi16ELi16ELi16ELi16ELi8ELi2ENS_8SequenceIJLi4ELi64ELi1EEEENSE_IJLi1ELi0ELi2EEEESG_Li2ELi16ELi16ELb0ELi1ESF_SG_SG_Li2ELi8ELi8ELb0ELi1ELi1ELi1ENSE_IJLi1ELi32ELi1ELi8EEEELi4ELNS_13LoopSchedulerE0ELNS_15PipelineVersionE0ES6_S7_EELb1EEEvNT_8ArgumentE
; %bb.0:
	s_endpgm
	.section	.rodata,"a",@progbits
	.p2align	6, 0x0
	.amdhsa_kernel _ZN2ck27kernel_gemm_xdl_cshuffle_v1INS_43GridwiseGemm_k0mk1_k0nk1_mn_xdl_cshuffle_v1INS_13tensor_layout4gemm8RowMajorENS3_11ColumnMajorES4_NS_9f8_fnuz_tENS_10bf8_fnuz_tEffDF16_NS_16tensor_operation12element_wise11PassThroughESA_SA_LNS8_6device18GemmSpecializationE0ELNS_25InMemoryDataOperationEnumE0ELi1ELi256ELi256ELi128ELi64ELi16ELi16ELi16ELi16ELi8ELi2ENS_8SequenceIJLi4ELi64ELi1EEEENSE_IJLi1ELi0ELi2EEEESG_Li2ELi16ELi16ELb0ELi1ESF_SG_SG_Li2ELi8ELi8ELb0ELi1ELi1ELi1ENSE_IJLi1ELi32ELi1ELi8EEEELi4ELNS_13LoopSchedulerE0ELNS_15PipelineVersionE0ES6_S7_EELb1EEEvNT_8ArgumentE
		.amdhsa_group_segment_fixed_size 0
		.amdhsa_private_segment_fixed_size 0
		.amdhsa_kernarg_size 96
		.amdhsa_user_sgpr_count 6
		.amdhsa_user_sgpr_private_segment_buffer 1
		.amdhsa_user_sgpr_dispatch_ptr 0
		.amdhsa_user_sgpr_queue_ptr 0
		.amdhsa_user_sgpr_kernarg_segment_ptr 1
		.amdhsa_user_sgpr_dispatch_id 0
		.amdhsa_user_sgpr_flat_scratch_init 0
		.amdhsa_user_sgpr_kernarg_preload_length 0
		.amdhsa_user_sgpr_kernarg_preload_offset 0
		.amdhsa_user_sgpr_private_segment_size 0
		.amdhsa_uses_dynamic_stack 0
		.amdhsa_system_sgpr_private_segment_wavefront_offset 0
		.amdhsa_system_sgpr_workgroup_id_x 1
		.amdhsa_system_sgpr_workgroup_id_y 0
		.amdhsa_system_sgpr_workgroup_id_z 0
		.amdhsa_system_sgpr_workgroup_info 0
		.amdhsa_system_vgpr_workitem_id 0
		.amdhsa_next_free_vgpr 1
		.amdhsa_next_free_sgpr 0
		.amdhsa_accum_offset 4
		.amdhsa_reserve_vcc 0
		.amdhsa_reserve_flat_scratch 0
		.amdhsa_float_round_mode_32 0
		.amdhsa_float_round_mode_16_64 0
		.amdhsa_float_denorm_mode_32 3
		.amdhsa_float_denorm_mode_16_64 3
		.amdhsa_dx10_clamp 1
		.amdhsa_ieee_mode 1
		.amdhsa_fp16_overflow 0
		.amdhsa_tg_split 0
		.amdhsa_exception_fp_ieee_invalid_op 0
		.amdhsa_exception_fp_denorm_src 0
		.amdhsa_exception_fp_ieee_div_zero 0
		.amdhsa_exception_fp_ieee_overflow 0
		.amdhsa_exception_fp_ieee_underflow 0
		.amdhsa_exception_fp_ieee_inexact 0
		.amdhsa_exception_int_div_zero 0
	.end_amdhsa_kernel
	.section	.text._ZN2ck27kernel_gemm_xdl_cshuffle_v1INS_43GridwiseGemm_k0mk1_k0nk1_mn_xdl_cshuffle_v1INS_13tensor_layout4gemm8RowMajorENS3_11ColumnMajorES4_NS_9f8_fnuz_tENS_10bf8_fnuz_tEffDF16_NS_16tensor_operation12element_wise11PassThroughESA_SA_LNS8_6device18GemmSpecializationE0ELNS_25InMemoryDataOperationEnumE0ELi1ELi256ELi256ELi128ELi64ELi16ELi16ELi16ELi16ELi8ELi2ENS_8SequenceIJLi4ELi64ELi1EEEENSE_IJLi1ELi0ELi2EEEESG_Li2ELi16ELi16ELb0ELi1ESF_SG_SG_Li2ELi8ELi8ELb0ELi1ELi1ELi1ENSE_IJLi1ELi32ELi1ELi8EEEELi4ELNS_13LoopSchedulerE0ELNS_15PipelineVersionE0ES6_S7_EELb1EEEvNT_8ArgumentE,"axG",@progbits,_ZN2ck27kernel_gemm_xdl_cshuffle_v1INS_43GridwiseGemm_k0mk1_k0nk1_mn_xdl_cshuffle_v1INS_13tensor_layout4gemm8RowMajorENS3_11ColumnMajorES4_NS_9f8_fnuz_tENS_10bf8_fnuz_tEffDF16_NS_16tensor_operation12element_wise11PassThroughESA_SA_LNS8_6device18GemmSpecializationE0ELNS_25InMemoryDataOperationEnumE0ELi1ELi256ELi256ELi128ELi64ELi16ELi16ELi16ELi16ELi8ELi2ENS_8SequenceIJLi4ELi64ELi1EEEENSE_IJLi1ELi0ELi2EEEESG_Li2ELi16ELi16ELb0ELi1ESF_SG_SG_Li2ELi8ELi8ELb0ELi1ELi1ELi1ENSE_IJLi1ELi32ELi1ELi8EEEELi4ELNS_13LoopSchedulerE0ELNS_15PipelineVersionE0ES6_S7_EELb1EEEvNT_8ArgumentE,comdat
.Lfunc_end4:
	.size	_ZN2ck27kernel_gemm_xdl_cshuffle_v1INS_43GridwiseGemm_k0mk1_k0nk1_mn_xdl_cshuffle_v1INS_13tensor_layout4gemm8RowMajorENS3_11ColumnMajorES4_NS_9f8_fnuz_tENS_10bf8_fnuz_tEffDF16_NS_16tensor_operation12element_wise11PassThroughESA_SA_LNS8_6device18GemmSpecializationE0ELNS_25InMemoryDataOperationEnumE0ELi1ELi256ELi256ELi128ELi64ELi16ELi16ELi16ELi16ELi8ELi2ENS_8SequenceIJLi4ELi64ELi1EEEENSE_IJLi1ELi0ELi2EEEESG_Li2ELi16ELi16ELb0ELi1ESF_SG_SG_Li2ELi8ELi8ELb0ELi1ELi1ELi1ENSE_IJLi1ELi32ELi1ELi8EEEELi4ELNS_13LoopSchedulerE0ELNS_15PipelineVersionE0ES6_S7_EELb1EEEvNT_8ArgumentE, .Lfunc_end4-_ZN2ck27kernel_gemm_xdl_cshuffle_v1INS_43GridwiseGemm_k0mk1_k0nk1_mn_xdl_cshuffle_v1INS_13tensor_layout4gemm8RowMajorENS3_11ColumnMajorES4_NS_9f8_fnuz_tENS_10bf8_fnuz_tEffDF16_NS_16tensor_operation12element_wise11PassThroughESA_SA_LNS8_6device18GemmSpecializationE0ELNS_25InMemoryDataOperationEnumE0ELi1ELi256ELi256ELi128ELi64ELi16ELi16ELi16ELi16ELi8ELi2ENS_8SequenceIJLi4ELi64ELi1EEEENSE_IJLi1ELi0ELi2EEEESG_Li2ELi16ELi16ELb0ELi1ESF_SG_SG_Li2ELi8ELi8ELb0ELi1ELi1ELi1ENSE_IJLi1ELi32ELi1ELi8EEEELi4ELNS_13LoopSchedulerE0ELNS_15PipelineVersionE0ES6_S7_EELb1EEEvNT_8ArgumentE
                                        ; -- End function
	.section	.AMDGPU.csdata,"",@progbits
; Kernel info:
; codeLenInByte = 4
; NumSgprs: 4
; NumVgprs: 0
; NumAgprs: 0
; TotalNumVgprs: 0
; ScratchSize: 0
; MemoryBound: 0
; FloatMode: 240
; IeeeMode: 1
; LDSByteSize: 0 bytes/workgroup (compile time only)
; SGPRBlocks: 0
; VGPRBlocks: 0
; NumSGPRsForWavesPerEU: 4
; NumVGPRsForWavesPerEU: 1
; AccumOffset: 4
; Occupancy: 8
; WaveLimiterHint : 0
; COMPUTE_PGM_RSRC2:SCRATCH_EN: 0
; COMPUTE_PGM_RSRC2:USER_SGPR: 6
; COMPUTE_PGM_RSRC2:TRAP_HANDLER: 0
; COMPUTE_PGM_RSRC2:TGID_X_EN: 1
; COMPUTE_PGM_RSRC2:TGID_Y_EN: 0
; COMPUTE_PGM_RSRC2:TGID_Z_EN: 0
; COMPUTE_PGM_RSRC2:TIDIG_COMP_CNT: 0
; COMPUTE_PGM_RSRC3_GFX90A:ACCUM_OFFSET: 0
; COMPUTE_PGM_RSRC3_GFX90A:TG_SPLIT: 0
	.section	.text._ZN2ck27kernel_gemm_xdl_cshuffle_v1INS_43GridwiseGemm_k0mk1_k0nk1_mn_xdl_cshuffle_v1INS_13tensor_layout4gemm8RowMajorENS3_11ColumnMajorES4_NS_9f8_fnuz_tENS_10bf8_fnuz_tEffDF16_NS_16tensor_operation12element_wise11PassThroughESA_SA_LNS8_6device18GemmSpecializationE0ELNS_25InMemoryDataOperationEnumE0ELi1ELi256ELi256ELi128ELi64ELi16ELi16ELi16ELi16ELi8ELi2ENS_8SequenceIJLi4ELi64ELi1EEEENSE_IJLi1ELi0ELi2EEEESG_Li2ELi16ELi16ELb0ELi1ESF_SG_SG_Li2ELi8ELi8ELb0ELi1ELi1ELi1ENSE_IJLi1ELi32ELi1ELi8EEEELi4ELNS_13LoopSchedulerE0ELNS_15PipelineVersionE0ES6_S7_EELb0EEEvNT_8ArgumentE,"axG",@progbits,_ZN2ck27kernel_gemm_xdl_cshuffle_v1INS_43GridwiseGemm_k0mk1_k0nk1_mn_xdl_cshuffle_v1INS_13tensor_layout4gemm8RowMajorENS3_11ColumnMajorES4_NS_9f8_fnuz_tENS_10bf8_fnuz_tEffDF16_NS_16tensor_operation12element_wise11PassThroughESA_SA_LNS8_6device18GemmSpecializationE0ELNS_25InMemoryDataOperationEnumE0ELi1ELi256ELi256ELi128ELi64ELi16ELi16ELi16ELi16ELi8ELi2ENS_8SequenceIJLi4ELi64ELi1EEEENSE_IJLi1ELi0ELi2EEEESG_Li2ELi16ELi16ELb0ELi1ESF_SG_SG_Li2ELi8ELi8ELb0ELi1ELi1ELi1ENSE_IJLi1ELi32ELi1ELi8EEEELi4ELNS_13LoopSchedulerE0ELNS_15PipelineVersionE0ES6_S7_EELb0EEEvNT_8ArgumentE,comdat
	.protected	_ZN2ck27kernel_gemm_xdl_cshuffle_v1INS_43GridwiseGemm_k0mk1_k0nk1_mn_xdl_cshuffle_v1INS_13tensor_layout4gemm8RowMajorENS3_11ColumnMajorES4_NS_9f8_fnuz_tENS_10bf8_fnuz_tEffDF16_NS_16tensor_operation12element_wise11PassThroughESA_SA_LNS8_6device18GemmSpecializationE0ELNS_25InMemoryDataOperationEnumE0ELi1ELi256ELi256ELi128ELi64ELi16ELi16ELi16ELi16ELi8ELi2ENS_8SequenceIJLi4ELi64ELi1EEEENSE_IJLi1ELi0ELi2EEEESG_Li2ELi16ELi16ELb0ELi1ESF_SG_SG_Li2ELi8ELi8ELb0ELi1ELi1ELi1ENSE_IJLi1ELi32ELi1ELi8EEEELi4ELNS_13LoopSchedulerE0ELNS_15PipelineVersionE0ES6_S7_EELb0EEEvNT_8ArgumentE ; -- Begin function _ZN2ck27kernel_gemm_xdl_cshuffle_v1INS_43GridwiseGemm_k0mk1_k0nk1_mn_xdl_cshuffle_v1INS_13tensor_layout4gemm8RowMajorENS3_11ColumnMajorES4_NS_9f8_fnuz_tENS_10bf8_fnuz_tEffDF16_NS_16tensor_operation12element_wise11PassThroughESA_SA_LNS8_6device18GemmSpecializationE0ELNS_25InMemoryDataOperationEnumE0ELi1ELi256ELi256ELi128ELi64ELi16ELi16ELi16ELi16ELi8ELi2ENS_8SequenceIJLi4ELi64ELi1EEEENSE_IJLi1ELi0ELi2EEEESG_Li2ELi16ELi16ELb0ELi1ESF_SG_SG_Li2ELi8ELi8ELb0ELi1ELi1ELi1ENSE_IJLi1ELi32ELi1ELi8EEEELi4ELNS_13LoopSchedulerE0ELNS_15PipelineVersionE0ES6_S7_EELb0EEEvNT_8ArgumentE
	.globl	_ZN2ck27kernel_gemm_xdl_cshuffle_v1INS_43GridwiseGemm_k0mk1_k0nk1_mn_xdl_cshuffle_v1INS_13tensor_layout4gemm8RowMajorENS3_11ColumnMajorES4_NS_9f8_fnuz_tENS_10bf8_fnuz_tEffDF16_NS_16tensor_operation12element_wise11PassThroughESA_SA_LNS8_6device18GemmSpecializationE0ELNS_25InMemoryDataOperationEnumE0ELi1ELi256ELi256ELi128ELi64ELi16ELi16ELi16ELi16ELi8ELi2ENS_8SequenceIJLi4ELi64ELi1EEEENSE_IJLi1ELi0ELi2EEEESG_Li2ELi16ELi16ELb0ELi1ESF_SG_SG_Li2ELi8ELi8ELb0ELi1ELi1ELi1ENSE_IJLi1ELi32ELi1ELi8EEEELi4ELNS_13LoopSchedulerE0ELNS_15PipelineVersionE0ES6_S7_EELb0EEEvNT_8ArgumentE
	.p2align	8
	.type	_ZN2ck27kernel_gemm_xdl_cshuffle_v1INS_43GridwiseGemm_k0mk1_k0nk1_mn_xdl_cshuffle_v1INS_13tensor_layout4gemm8RowMajorENS3_11ColumnMajorES4_NS_9f8_fnuz_tENS_10bf8_fnuz_tEffDF16_NS_16tensor_operation12element_wise11PassThroughESA_SA_LNS8_6device18GemmSpecializationE0ELNS_25InMemoryDataOperationEnumE0ELi1ELi256ELi256ELi128ELi64ELi16ELi16ELi16ELi16ELi8ELi2ENS_8SequenceIJLi4ELi64ELi1EEEENSE_IJLi1ELi0ELi2EEEESG_Li2ELi16ELi16ELb0ELi1ESF_SG_SG_Li2ELi8ELi8ELb0ELi1ELi1ELi1ENSE_IJLi1ELi32ELi1ELi8EEEELi4ELNS_13LoopSchedulerE0ELNS_15PipelineVersionE0ES6_S7_EELb0EEEvNT_8ArgumentE,@function
_ZN2ck27kernel_gemm_xdl_cshuffle_v1INS_43GridwiseGemm_k0mk1_k0nk1_mn_xdl_cshuffle_v1INS_13tensor_layout4gemm8RowMajorENS3_11ColumnMajorES4_NS_9f8_fnuz_tENS_10bf8_fnuz_tEffDF16_NS_16tensor_operation12element_wise11PassThroughESA_SA_LNS8_6device18GemmSpecializationE0ELNS_25InMemoryDataOperationEnumE0ELi1ELi256ELi256ELi128ELi64ELi16ELi16ELi16ELi16ELi8ELi2ENS_8SequenceIJLi4ELi64ELi1EEEENSE_IJLi1ELi0ELi2EEEESG_Li2ELi16ELi16ELb0ELi1ESF_SG_SG_Li2ELi8ELi8ELb0ELi1ELi1ELi1ENSE_IJLi1ELi32ELi1ELi8EEEELi4ELNS_13LoopSchedulerE0ELNS_15PipelineVersionE0ES6_S7_EELb0EEEvNT_8ArgumentE: ; @_ZN2ck27kernel_gemm_xdl_cshuffle_v1INS_43GridwiseGemm_k0mk1_k0nk1_mn_xdl_cshuffle_v1INS_13tensor_layout4gemm8RowMajorENS3_11ColumnMajorES4_NS_9f8_fnuz_tENS_10bf8_fnuz_tEffDF16_NS_16tensor_operation12element_wise11PassThroughESA_SA_LNS8_6device18GemmSpecializationE0ELNS_25InMemoryDataOperationEnumE0ELi1ELi256ELi256ELi128ELi64ELi16ELi16ELi16ELi16ELi8ELi2ENS_8SequenceIJLi4ELi64ELi1EEEENSE_IJLi1ELi0ELi2EEEESG_Li2ELi16ELi16ELb0ELi1ESF_SG_SG_Li2ELi8ELi8ELb0ELi1ELi1ELi1ENSE_IJLi1ELi32ELi1ELi8EEEELi4ELNS_13LoopSchedulerE0ELNS_15PipelineVersionE0ES6_S7_EELb0EEEvNT_8ArgumentE
; %bb.0:
	s_endpgm
	.section	.rodata,"a",@progbits
	.p2align	6, 0x0
	.amdhsa_kernel _ZN2ck27kernel_gemm_xdl_cshuffle_v1INS_43GridwiseGemm_k0mk1_k0nk1_mn_xdl_cshuffle_v1INS_13tensor_layout4gemm8RowMajorENS3_11ColumnMajorES4_NS_9f8_fnuz_tENS_10bf8_fnuz_tEffDF16_NS_16tensor_operation12element_wise11PassThroughESA_SA_LNS8_6device18GemmSpecializationE0ELNS_25InMemoryDataOperationEnumE0ELi1ELi256ELi256ELi128ELi64ELi16ELi16ELi16ELi16ELi8ELi2ENS_8SequenceIJLi4ELi64ELi1EEEENSE_IJLi1ELi0ELi2EEEESG_Li2ELi16ELi16ELb0ELi1ESF_SG_SG_Li2ELi8ELi8ELb0ELi1ELi1ELi1ENSE_IJLi1ELi32ELi1ELi8EEEELi4ELNS_13LoopSchedulerE0ELNS_15PipelineVersionE0ES6_S7_EELb0EEEvNT_8ArgumentE
		.amdhsa_group_segment_fixed_size 0
		.amdhsa_private_segment_fixed_size 0
		.amdhsa_kernarg_size 96
		.amdhsa_user_sgpr_count 6
		.amdhsa_user_sgpr_private_segment_buffer 1
		.amdhsa_user_sgpr_dispatch_ptr 0
		.amdhsa_user_sgpr_queue_ptr 0
		.amdhsa_user_sgpr_kernarg_segment_ptr 1
		.amdhsa_user_sgpr_dispatch_id 0
		.amdhsa_user_sgpr_flat_scratch_init 0
		.amdhsa_user_sgpr_kernarg_preload_length 0
		.amdhsa_user_sgpr_kernarg_preload_offset 0
		.amdhsa_user_sgpr_private_segment_size 0
		.amdhsa_uses_dynamic_stack 0
		.amdhsa_system_sgpr_private_segment_wavefront_offset 0
		.amdhsa_system_sgpr_workgroup_id_x 1
		.amdhsa_system_sgpr_workgroup_id_y 0
		.amdhsa_system_sgpr_workgroup_id_z 0
		.amdhsa_system_sgpr_workgroup_info 0
		.amdhsa_system_vgpr_workitem_id 0
		.amdhsa_next_free_vgpr 1
		.amdhsa_next_free_sgpr 0
		.amdhsa_accum_offset 4
		.amdhsa_reserve_vcc 0
		.amdhsa_reserve_flat_scratch 0
		.amdhsa_float_round_mode_32 0
		.amdhsa_float_round_mode_16_64 0
		.amdhsa_float_denorm_mode_32 3
		.amdhsa_float_denorm_mode_16_64 3
		.amdhsa_dx10_clamp 1
		.amdhsa_ieee_mode 1
		.amdhsa_fp16_overflow 0
		.amdhsa_tg_split 0
		.amdhsa_exception_fp_ieee_invalid_op 0
		.amdhsa_exception_fp_denorm_src 0
		.amdhsa_exception_fp_ieee_div_zero 0
		.amdhsa_exception_fp_ieee_overflow 0
		.amdhsa_exception_fp_ieee_underflow 0
		.amdhsa_exception_fp_ieee_inexact 0
		.amdhsa_exception_int_div_zero 0
	.end_amdhsa_kernel
	.section	.text._ZN2ck27kernel_gemm_xdl_cshuffle_v1INS_43GridwiseGemm_k0mk1_k0nk1_mn_xdl_cshuffle_v1INS_13tensor_layout4gemm8RowMajorENS3_11ColumnMajorES4_NS_9f8_fnuz_tENS_10bf8_fnuz_tEffDF16_NS_16tensor_operation12element_wise11PassThroughESA_SA_LNS8_6device18GemmSpecializationE0ELNS_25InMemoryDataOperationEnumE0ELi1ELi256ELi256ELi128ELi64ELi16ELi16ELi16ELi16ELi8ELi2ENS_8SequenceIJLi4ELi64ELi1EEEENSE_IJLi1ELi0ELi2EEEESG_Li2ELi16ELi16ELb0ELi1ESF_SG_SG_Li2ELi8ELi8ELb0ELi1ELi1ELi1ENSE_IJLi1ELi32ELi1ELi8EEEELi4ELNS_13LoopSchedulerE0ELNS_15PipelineVersionE0ES6_S7_EELb0EEEvNT_8ArgumentE,"axG",@progbits,_ZN2ck27kernel_gemm_xdl_cshuffle_v1INS_43GridwiseGemm_k0mk1_k0nk1_mn_xdl_cshuffle_v1INS_13tensor_layout4gemm8RowMajorENS3_11ColumnMajorES4_NS_9f8_fnuz_tENS_10bf8_fnuz_tEffDF16_NS_16tensor_operation12element_wise11PassThroughESA_SA_LNS8_6device18GemmSpecializationE0ELNS_25InMemoryDataOperationEnumE0ELi1ELi256ELi256ELi128ELi64ELi16ELi16ELi16ELi16ELi8ELi2ENS_8SequenceIJLi4ELi64ELi1EEEENSE_IJLi1ELi0ELi2EEEESG_Li2ELi16ELi16ELb0ELi1ESF_SG_SG_Li2ELi8ELi8ELb0ELi1ELi1ELi1ENSE_IJLi1ELi32ELi1ELi8EEEELi4ELNS_13LoopSchedulerE0ELNS_15PipelineVersionE0ES6_S7_EELb0EEEvNT_8ArgumentE,comdat
.Lfunc_end5:
	.size	_ZN2ck27kernel_gemm_xdl_cshuffle_v1INS_43GridwiseGemm_k0mk1_k0nk1_mn_xdl_cshuffle_v1INS_13tensor_layout4gemm8RowMajorENS3_11ColumnMajorES4_NS_9f8_fnuz_tENS_10bf8_fnuz_tEffDF16_NS_16tensor_operation12element_wise11PassThroughESA_SA_LNS8_6device18GemmSpecializationE0ELNS_25InMemoryDataOperationEnumE0ELi1ELi256ELi256ELi128ELi64ELi16ELi16ELi16ELi16ELi8ELi2ENS_8SequenceIJLi4ELi64ELi1EEEENSE_IJLi1ELi0ELi2EEEESG_Li2ELi16ELi16ELb0ELi1ESF_SG_SG_Li2ELi8ELi8ELb0ELi1ELi1ELi1ENSE_IJLi1ELi32ELi1ELi8EEEELi4ELNS_13LoopSchedulerE0ELNS_15PipelineVersionE0ES6_S7_EELb0EEEvNT_8ArgumentE, .Lfunc_end5-_ZN2ck27kernel_gemm_xdl_cshuffle_v1INS_43GridwiseGemm_k0mk1_k0nk1_mn_xdl_cshuffle_v1INS_13tensor_layout4gemm8RowMajorENS3_11ColumnMajorES4_NS_9f8_fnuz_tENS_10bf8_fnuz_tEffDF16_NS_16tensor_operation12element_wise11PassThroughESA_SA_LNS8_6device18GemmSpecializationE0ELNS_25InMemoryDataOperationEnumE0ELi1ELi256ELi256ELi128ELi64ELi16ELi16ELi16ELi16ELi8ELi2ENS_8SequenceIJLi4ELi64ELi1EEEENSE_IJLi1ELi0ELi2EEEESG_Li2ELi16ELi16ELb0ELi1ESF_SG_SG_Li2ELi8ELi8ELb0ELi1ELi1ELi1ENSE_IJLi1ELi32ELi1ELi8EEEELi4ELNS_13LoopSchedulerE0ELNS_15PipelineVersionE0ES6_S7_EELb0EEEvNT_8ArgumentE
                                        ; -- End function
	.section	.AMDGPU.csdata,"",@progbits
; Kernel info:
; codeLenInByte = 4
; NumSgprs: 4
; NumVgprs: 0
; NumAgprs: 0
; TotalNumVgprs: 0
; ScratchSize: 0
; MemoryBound: 0
; FloatMode: 240
; IeeeMode: 1
; LDSByteSize: 0 bytes/workgroup (compile time only)
; SGPRBlocks: 0
; VGPRBlocks: 0
; NumSGPRsForWavesPerEU: 4
; NumVGPRsForWavesPerEU: 1
; AccumOffset: 4
; Occupancy: 8
; WaveLimiterHint : 0
; COMPUTE_PGM_RSRC2:SCRATCH_EN: 0
; COMPUTE_PGM_RSRC2:USER_SGPR: 6
; COMPUTE_PGM_RSRC2:TRAP_HANDLER: 0
; COMPUTE_PGM_RSRC2:TGID_X_EN: 1
; COMPUTE_PGM_RSRC2:TGID_Y_EN: 0
; COMPUTE_PGM_RSRC2:TGID_Z_EN: 0
; COMPUTE_PGM_RSRC2:TIDIG_COMP_CNT: 0
; COMPUTE_PGM_RSRC3_GFX90A:ACCUM_OFFSET: 0
; COMPUTE_PGM_RSRC3_GFX90A:TG_SPLIT: 0
	.section	.text._ZN2ck17naive_gemm_kernelINS_13tensor_layout4gemm8RowMajorENS2_11ColumnMajorES3_NS_9f8_fnuz_tENS_10bf8_fnuz_tEDF16_fNS_16tensor_operation12element_wise11PassThroughES9_S9_DF16_DF16_EEvPKT2_PKT3_PT4_iiiT6_T7_T8_,"axG",@progbits,_ZN2ck17naive_gemm_kernelINS_13tensor_layout4gemm8RowMajorENS2_11ColumnMajorES3_NS_9f8_fnuz_tENS_10bf8_fnuz_tEDF16_fNS_16tensor_operation12element_wise11PassThroughES9_S9_DF16_DF16_EEvPKT2_PKT3_PT4_iiiT6_T7_T8_,comdat
	.protected	_ZN2ck17naive_gemm_kernelINS_13tensor_layout4gemm8RowMajorENS2_11ColumnMajorES3_NS_9f8_fnuz_tENS_10bf8_fnuz_tEDF16_fNS_16tensor_operation12element_wise11PassThroughES9_S9_DF16_DF16_EEvPKT2_PKT3_PT4_iiiT6_T7_T8_ ; -- Begin function _ZN2ck17naive_gemm_kernelINS_13tensor_layout4gemm8RowMajorENS2_11ColumnMajorES3_NS_9f8_fnuz_tENS_10bf8_fnuz_tEDF16_fNS_16tensor_operation12element_wise11PassThroughES9_S9_DF16_DF16_EEvPKT2_PKT3_PT4_iiiT6_T7_T8_
	.globl	_ZN2ck17naive_gemm_kernelINS_13tensor_layout4gemm8RowMajorENS2_11ColumnMajorES3_NS_9f8_fnuz_tENS_10bf8_fnuz_tEDF16_fNS_16tensor_operation12element_wise11PassThroughES9_S9_DF16_DF16_EEvPKT2_PKT3_PT4_iiiT6_T7_T8_
	.p2align	8
	.type	_ZN2ck17naive_gemm_kernelINS_13tensor_layout4gemm8RowMajorENS2_11ColumnMajorES3_NS_9f8_fnuz_tENS_10bf8_fnuz_tEDF16_fNS_16tensor_operation12element_wise11PassThroughES9_S9_DF16_DF16_EEvPKT2_PKT3_PT4_iiiT6_T7_T8_,@function
_ZN2ck17naive_gemm_kernelINS_13tensor_layout4gemm8RowMajorENS2_11ColumnMajorES3_NS_9f8_fnuz_tENS_10bf8_fnuz_tEDF16_fNS_16tensor_operation12element_wise11PassThroughES9_S9_DF16_DF16_EEvPKT2_PKT3_PT4_iiiT6_T7_T8_: ; @_ZN2ck17naive_gemm_kernelINS_13tensor_layout4gemm8RowMajorENS2_11ColumnMajorES3_NS_9f8_fnuz_tENS_10bf8_fnuz_tEDF16_fNS_16tensor_operation12element_wise11PassThroughES9_S9_DF16_DF16_EEvPKT2_PKT3_PT4_iiiT6_T7_T8_
; %bb.0:
	s_load_dword s0, s[4:5], 0x34
	s_load_dwordx4 s[8:11], s[4:5], 0x18
	v_and_b32_e32 v1, 0x3ff, v0
	v_bfe_u32 v0, v0, 10, 10
	s_waitcnt lgkmcnt(0)
	s_lshr_b32 s1, s0, 16
	s_and_b32 s0, s0, 0xffff
	s_mul_i32 s6, s6, s0
	s_mul_i32 s7, s7, s1
	v_add_u32_e32 v1, s6, v1
	v_add_u32_e32 v0, s7, v0
	v_cmp_gt_i32_e32 vcc, s8, v1
	v_cmp_gt_i32_e64 s[0:1], s9, v0
	s_and_b64 s[0:1], vcc, s[0:1]
	s_and_saveexec_b64 s[2:3], s[0:1]
	s_cbranch_execz .LBB6_23
; %bb.1:
	s_load_dwordx2 s[6:7], s[4:5], 0x10
	s_cmp_lt_i32 s10, 1
	s_cbranch_scc1 .LBB6_21
; %bb.2:
	s_load_dwordx4 s[0:3], s[4:5], 0x0
	v_mul_lo_u32 v2, v1, s10
	v_ashrrev_i32_e32 v3, 31, v2
	v_mul_lo_u32 v4, v0, s10
	s_movk_i32 s8, 0x7f
	s_waitcnt lgkmcnt(0)
	v_mov_b32_e32 v5, s1
	v_add_co_u32_e32 v2, vcc, s0, v2
	v_addc_co_u32_e32 v3, vcc, v5, v3, vcc
	v_mov_b32_e32 v5, 0
	s_movk_i32 s11, 0x80
	v_mov_b32_e32 v6, s3
	v_mov_b32_e32 v7, 0x1c00
	;; [unrolled: 1-line block ×3, first 2 shown]
	s_branch .LBB6_4
.LBB6_3:                                ;   in Loop: Header=BB6_4 Depth=1
	s_or_b64 exec, exec, s[4:5]
	s_add_i32 s10, s10, -1
	v_add_co_u32_e32 v2, vcc, 1, v2
	v_fma_mix_f32 v5, v9, v11, v5 op_sel_hi:[1,1,0]
	v_add_u32_e32 v4, 1, v4
	s_cmp_eq_u32 s10, 0
	v_addc_co_u32_e32 v3, vcc, 0, v3, vcc
	s_cbranch_scc1 .LBB6_20
.LBB6_4:                                ; =>This Inner Loop Header: Depth=1
	global_load_ubyte v10, v[2:3], off
	s_mov_b64 s[0:1], 0
                                        ; implicit-def: $sgpr3
	s_waitcnt vmcnt(0)
	v_cmp_lt_i16_e32 vcc, s8, v10
	s_and_saveexec_b64 s[4:5], vcc
	s_xor_b64 s[4:5], exec, s[4:5]
	s_cbranch_execnz .LBB6_11
; %bb.5:                                ;   in Loop: Header=BB6_4 Depth=1
	s_or_saveexec_b64 s[4:5], s[4:5]
	v_mov_b32_e32 v9, s3
	s_xor_b64 exec, exec, s[4:5]
	s_cbranch_execnz .LBB6_14
.LBB6_6:                                ;   in Loop: Header=BB6_4 Depth=1
	s_or_b64 exec, exec, s[4:5]
	s_and_saveexec_b64 s[4:5], s[0:1]
	s_cbranch_execz .LBB6_8
.LBB6_7:                                ;   in Loop: Header=BB6_4 Depth=1
	v_and_b32_e32 v9, 7, v10
	v_ffbh_u32_e32 v13, v9
	v_min_u32_e32 v13, 32, v13
	v_lshrrev_b16_e32 v11, 7, v10
	v_lshrrev_b16_e32 v10, 3, v10
	v_subrev_u32_e32 v14, 28, v13
	v_and_b32_e32 v10, 15, v10
	v_lshlrev_b32_e32 v14, v14, v9
	v_and_b32_e32 v12, 0xffff, v10
	v_sub_u32_e32 v13, 29, v13
	v_and_b32_e32 v14, 7, v14
	v_cmp_eq_u16_e32 vcc, 0, v10
	v_cndmask_b32_e32 v9, v9, v14, vcc
	v_cndmask_b32_e32 v10, v12, v13, vcc
	v_lshlrev_b32_e32 v9, 7, v9
	v_lshlrev_b32_e32 v11, 15, v11
	v_lshl_add_u32 v10, v10, 10, v7
	v_or3_b32 v9, v11, v10, v9
.LBB6_8:                                ;   in Loop: Header=BB6_4 Depth=1
	s_or_b64 exec, exec, s[4:5]
	v_ashrrev_i32_e32 v11, 31, v4
	v_add_co_u32_e32 v10, vcc, s2, v4
	v_addc_co_u32_e32 v11, vcc, v6, v11, vcc
	global_load_ubyte v10, v[10:11], off
	s_mov_b64 s[0:1], 0
                                        ; implicit-def: $sgpr3
	s_waitcnt vmcnt(0)
	v_cmp_lt_i16_e32 vcc, s8, v10
	s_and_saveexec_b64 s[4:5], vcc
	s_xor_b64 s[4:5], exec, s[4:5]
	s_cbranch_execnz .LBB6_15
; %bb.9:                                ;   in Loop: Header=BB6_4 Depth=1
	s_or_saveexec_b64 s[4:5], s[4:5]
	v_mov_b32_e32 v11, s3
	s_xor_b64 exec, exec, s[4:5]
	s_cbranch_execnz .LBB6_18
.LBB6_10:                               ;   in Loop: Header=BB6_4 Depth=1
	s_or_b64 exec, exec, s[4:5]
	s_and_saveexec_b64 s[4:5], s[0:1]
	s_cbranch_execz .LBB6_3
	s_branch .LBB6_19
.LBB6_11:                               ;   in Loop: Header=BB6_4 Depth=1
	v_cmp_eq_u16_e32 vcc, s11, v10
	s_mov_b64 s[0:1], -1
                                        ; implicit-def: $sgpr3
	s_and_saveexec_b64 s[12:13], vcc
; %bb.12:                               ;   in Loop: Header=BB6_4 Depth=1
	s_movk_i32 s3, 0x7c01
	s_xor_b64 s[0:1], exec, -1
; %bb.13:                               ;   in Loop: Header=BB6_4 Depth=1
	s_or_b64 exec, exec, s[12:13]
	s_and_b64 s[0:1], s[0:1], exec
	s_or_saveexec_b64 s[4:5], s[4:5]
	v_mov_b32_e32 v9, s3
	s_xor_b64 exec, exec, s[4:5]
	s_cbranch_execz .LBB6_6
.LBB6_14:                               ;   in Loop: Header=BB6_4 Depth=1
	v_cmp_ne_u16_e32 vcc, 0, v10
	s_andn2_b64 s[0:1], s[0:1], exec
	s_and_b64 s[12:13], vcc, exec
	v_mov_b32_e32 v9, 0
	s_or_b64 s[0:1], s[0:1], s[12:13]
	s_or_b64 exec, exec, s[4:5]
	s_and_saveexec_b64 s[4:5], s[0:1]
	s_cbranch_execnz .LBB6_7
	s_branch .LBB6_8
.LBB6_15:                               ;   in Loop: Header=BB6_4 Depth=1
	v_cmp_eq_u16_e32 vcc, s11, v10
	s_mov_b64 s[0:1], -1
                                        ; implicit-def: $sgpr3
	s_and_saveexec_b64 s[12:13], vcc
; %bb.16:                               ;   in Loop: Header=BB6_4 Depth=1
	s_movk_i32 s3, 0x7c01
	s_xor_b64 s[0:1], exec, -1
; %bb.17:                               ;   in Loop: Header=BB6_4 Depth=1
	s_or_b64 exec, exec, s[12:13]
	s_and_b64 s[0:1], s[0:1], exec
	s_or_saveexec_b64 s[4:5], s[4:5]
	v_mov_b32_e32 v11, s3
	s_xor_b64 exec, exec, s[4:5]
	s_cbranch_execz .LBB6_10
.LBB6_18:                               ;   in Loop: Header=BB6_4 Depth=1
	v_cmp_ne_u16_e32 vcc, 0, v10
	s_andn2_b64 s[0:1], s[0:1], exec
	s_and_b64 s[12:13], vcc, exec
	v_mov_b32_e32 v11, 0
	s_or_b64 s[0:1], s[0:1], s[12:13]
	s_or_b64 exec, exec, s[4:5]
	s_and_saveexec_b64 s[4:5], s[0:1]
	s_cbranch_execz .LBB6_3
.LBB6_19:                               ;   in Loop: Header=BB6_4 Depth=1
	v_and_b32_e32 v11, 3, v10
	v_ffbh_u32_e32 v14, v11
	v_min_u32_e32 v14, 32, v14
	v_lshrrev_b16_e32 v12, 7, v10
	v_lshrrev_b16_e32 v10, 2, v10
	v_subrev_u32_e32 v15, 29, v14
	v_and_b32_e32 v10, 31, v10
	v_lshlrev_b32_e32 v15, v15, v11
	v_and_b32_e32 v15, 3, v15
	v_cmp_eq_u16_e32 vcc, 0, v10
	v_and_b32_e32 v13, 0xffff, v10
	v_sub_u32_e32 v14, 30, v14
	v_cndmask_b32_e32 v10, v11, v15, vcc
	v_cndmask_b32_e32 v11, v13, v14, vcc
	v_lshlrev_b32_e32 v10, 8, v10
	v_or_b32_e32 v13, 0x400, v10
	v_sub_u32_e32 v14, 2, v11
	v_lshrrev_b32_e32 v13, v14, v13
	v_cmp_gt_i32_e32 vcc, 2, v11
	v_lshl_add_u32 v11, v11, 10, v8
	v_cndmask_b32_e32 v10, v10, v13, vcc
	v_lshlrev_b32_e32 v12, 15, v12
	v_cndmask_b32_e64 v11, v11, 0, vcc
	v_or3_b32 v11, v11, v12, v10
	s_branch .LBB6_3
.LBB6_20:
	v_cvt_f16_f32_e32 v2, v5
	s_branch .LBB6_22
.LBB6_21:
	v_mov_b32_e32 v2, 0
.LBB6_22:
	v_mad_u64_u32 v[0:1], s[0:1], v1, s9, v[0:1]
	v_ashrrev_i32_e32 v1, 31, v0
	v_lshlrev_b64 v[0:1], 1, v[0:1]
	s_waitcnt lgkmcnt(0)
	v_mov_b32_e32 v3, s7
	v_add_co_u32_e32 v0, vcc, s6, v0
	v_addc_co_u32_e32 v1, vcc, v3, v1, vcc
	global_store_short v[0:1], v2, off
.LBB6_23:
	s_endpgm
	.section	.rodata,"a",@progbits
	.p2align	6, 0x0
	.amdhsa_kernel _ZN2ck17naive_gemm_kernelINS_13tensor_layout4gemm8RowMajorENS2_11ColumnMajorES3_NS_9f8_fnuz_tENS_10bf8_fnuz_tEDF16_fNS_16tensor_operation12element_wise11PassThroughES9_S9_DF16_DF16_EEvPKT2_PKT3_PT4_iiiT6_T7_T8_
		.amdhsa_group_segment_fixed_size 0
		.amdhsa_private_segment_fixed_size 0
		.amdhsa_kernarg_size 296
		.amdhsa_user_sgpr_count 6
		.amdhsa_user_sgpr_private_segment_buffer 1
		.amdhsa_user_sgpr_dispatch_ptr 0
		.amdhsa_user_sgpr_queue_ptr 0
		.amdhsa_user_sgpr_kernarg_segment_ptr 1
		.amdhsa_user_sgpr_dispatch_id 0
		.amdhsa_user_sgpr_flat_scratch_init 0
		.amdhsa_user_sgpr_kernarg_preload_length 0
		.amdhsa_user_sgpr_kernarg_preload_offset 0
		.amdhsa_user_sgpr_private_segment_size 0
		.amdhsa_uses_dynamic_stack 0
		.amdhsa_system_sgpr_private_segment_wavefront_offset 0
		.amdhsa_system_sgpr_workgroup_id_x 1
		.amdhsa_system_sgpr_workgroup_id_y 1
		.amdhsa_system_sgpr_workgroup_id_z 0
		.amdhsa_system_sgpr_workgroup_info 0
		.amdhsa_system_vgpr_workitem_id 1
		.amdhsa_next_free_vgpr 16
		.amdhsa_next_free_sgpr 14
		.amdhsa_accum_offset 16
		.amdhsa_reserve_vcc 1
		.amdhsa_reserve_flat_scratch 0
		.amdhsa_float_round_mode_32 0
		.amdhsa_float_round_mode_16_64 0
		.amdhsa_float_denorm_mode_32 3
		.amdhsa_float_denorm_mode_16_64 3
		.amdhsa_dx10_clamp 1
		.amdhsa_ieee_mode 1
		.amdhsa_fp16_overflow 0
		.amdhsa_tg_split 0
		.amdhsa_exception_fp_ieee_invalid_op 0
		.amdhsa_exception_fp_denorm_src 0
		.amdhsa_exception_fp_ieee_div_zero 0
		.amdhsa_exception_fp_ieee_overflow 0
		.amdhsa_exception_fp_ieee_underflow 0
		.amdhsa_exception_fp_ieee_inexact 0
		.amdhsa_exception_int_div_zero 0
	.end_amdhsa_kernel
	.section	.text._ZN2ck17naive_gemm_kernelINS_13tensor_layout4gemm8RowMajorENS2_11ColumnMajorES3_NS_9f8_fnuz_tENS_10bf8_fnuz_tEDF16_fNS_16tensor_operation12element_wise11PassThroughES9_S9_DF16_DF16_EEvPKT2_PKT3_PT4_iiiT6_T7_T8_,"axG",@progbits,_ZN2ck17naive_gemm_kernelINS_13tensor_layout4gemm8RowMajorENS2_11ColumnMajorES3_NS_9f8_fnuz_tENS_10bf8_fnuz_tEDF16_fNS_16tensor_operation12element_wise11PassThroughES9_S9_DF16_DF16_EEvPKT2_PKT3_PT4_iiiT6_T7_T8_,comdat
.Lfunc_end6:
	.size	_ZN2ck17naive_gemm_kernelINS_13tensor_layout4gemm8RowMajorENS2_11ColumnMajorES3_NS_9f8_fnuz_tENS_10bf8_fnuz_tEDF16_fNS_16tensor_operation12element_wise11PassThroughES9_S9_DF16_DF16_EEvPKT2_PKT3_PT4_iiiT6_T7_T8_, .Lfunc_end6-_ZN2ck17naive_gemm_kernelINS_13tensor_layout4gemm8RowMajorENS2_11ColumnMajorES3_NS_9f8_fnuz_tENS_10bf8_fnuz_tEDF16_fNS_16tensor_operation12element_wise11PassThroughES9_S9_DF16_DF16_EEvPKT2_PKT3_PT4_iiiT6_T7_T8_
                                        ; -- End function
	.section	.AMDGPU.csdata,"",@progbits
; Kernel info:
; codeLenInByte = 780
; NumSgprs: 18
; NumVgprs: 16
; NumAgprs: 0
; TotalNumVgprs: 16
; ScratchSize: 0
; MemoryBound: 0
; FloatMode: 240
; IeeeMode: 1
; LDSByteSize: 0 bytes/workgroup (compile time only)
; SGPRBlocks: 2
; VGPRBlocks: 1
; NumSGPRsForWavesPerEU: 18
; NumVGPRsForWavesPerEU: 16
; AccumOffset: 16
; Occupancy: 8
; WaveLimiterHint : 0
; COMPUTE_PGM_RSRC2:SCRATCH_EN: 0
; COMPUTE_PGM_RSRC2:USER_SGPR: 6
; COMPUTE_PGM_RSRC2:TRAP_HANDLER: 0
; COMPUTE_PGM_RSRC2:TGID_X_EN: 1
; COMPUTE_PGM_RSRC2:TGID_Y_EN: 1
; COMPUTE_PGM_RSRC2:TGID_Z_EN: 0
; COMPUTE_PGM_RSRC2:TIDIG_COMP_CNT: 1
; COMPUTE_PGM_RSRC3_GFX90A:ACCUM_OFFSET: 3
; COMPUTE_PGM_RSRC3_GFX90A:TG_SPLIT: 0
	.text
	.p2alignl 6, 3212836864
	.fill 256, 4, 3212836864
	.type	__hip_cuid_5259b6ff90283a76,@object ; @__hip_cuid_5259b6ff90283a76
	.section	.bss,"aw",@nobits
	.globl	__hip_cuid_5259b6ff90283a76
__hip_cuid_5259b6ff90283a76:
	.byte	0                               ; 0x0
	.size	__hip_cuid_5259b6ff90283a76, 1

	.ident	"AMD clang version 19.0.0git (https://github.com/RadeonOpenCompute/llvm-project roc-6.4.0 25133 c7fe45cf4b819c5991fe208aaa96edf142730f1d)"
	.section	".note.GNU-stack","",@progbits
	.addrsig
	.addrsig_sym __hip_cuid_5259b6ff90283a76
	.amdgpu_metadata
---
amdhsa.kernels:
  - .agpr_count:     0
    .args:           []
    .group_segment_fixed_size: 0
    .kernarg_segment_align: 4
    .kernarg_segment_size: 0
    .language:       OpenCL C
    .language_version:
      - 2
      - 0
    .max_flat_workgroup_size: 1024
    .name:           _ZN2ckL12flush_icacheEv
    .private_segment_fixed_size: 0
    .sgpr_count:     4
    .sgpr_spill_count: 0
    .symbol:         _ZN2ckL12flush_icacheEv.kd
    .uniform_work_group_size: 1
    .uses_dynamic_stack: false
    .vgpr_count:     0
    .vgpr_spill_count: 0
    .wavefront_size: 64
  - .agpr_count:     4
    .args:
      - .offset:         0
        .size:           96
        .value_kind:     by_value
    .group_segment_fixed_size: 24672
    .kernarg_segment_align: 8
    .kernarg_segment_size: 96
    .language:       OpenCL C
    .language_version:
      - 2
      - 0
    .max_flat_workgroup_size: 256
    .name:           _ZN2ck27kernel_gemm_xdl_cshuffle_v1INS_43GridwiseGemm_k0mk1_k0nk1_mn_xdl_cshuffle_v1INS_13tensor_layout4gemm8RowMajorENS3_11ColumnMajorES4_NS_9f8_fnuz_tENS_10bf8_fnuz_tEffDF16_NS_16tensor_operation12element_wise11PassThroughESA_SA_LNS8_6device18GemmSpecializationE0ELNS_25InMemoryDataOperationEnumE0ELi1ELi256ELi256ELi128ELi64ELi16ELi16ELi16ELi16ELi8ELi4ENS_8SequenceIJLi4ELi64ELi1EEEENSE_IJLi1ELi0ELi2EEEESG_Li2ELi16ELi16ELb0ELi1ESF_SG_SG_Li2ELi8ELi8ELb0ELi1ELi1ELi1ENSE_IJLi1ELi32ELi1ELi8EEEELi4ELNS_13LoopSchedulerE0ELNS_15PipelineVersionE0ES6_S7_EELb1EEEvNT_8ArgumentE
    .private_segment_fixed_size: 1168
    .sgpr_count:     56
    .sgpr_spill_count: 0
    .symbol:         _ZN2ck27kernel_gemm_xdl_cshuffle_v1INS_43GridwiseGemm_k0mk1_k0nk1_mn_xdl_cshuffle_v1INS_13tensor_layout4gemm8RowMajorENS3_11ColumnMajorES4_NS_9f8_fnuz_tENS_10bf8_fnuz_tEffDF16_NS_16tensor_operation12element_wise11PassThroughESA_SA_LNS8_6device18GemmSpecializationE0ELNS_25InMemoryDataOperationEnumE0ELi1ELi256ELi256ELi128ELi64ELi16ELi16ELi16ELi16ELi8ELi4ENS_8SequenceIJLi4ELi64ELi1EEEENSE_IJLi1ELi0ELi2EEEESG_Li2ELi16ELi16ELb0ELi1ESF_SG_SG_Li2ELi8ELi8ELb0ELi1ELi1ELi1ENSE_IJLi1ELi32ELi1ELi8EEEELi4ELNS_13LoopSchedulerE0ELNS_15PipelineVersionE0ES6_S7_EELb1EEEvNT_8ArgumentE.kd
    .uniform_work_group_size: 1
    .uses_dynamic_stack: false
    .vgpr_count:     100
    .vgpr_spill_count: 0
    .wavefront_size: 64
  - .agpr_count:     4
    .args:
      - .offset:         0
        .size:           96
        .value_kind:     by_value
    .group_segment_fixed_size: 24672
    .kernarg_segment_align: 8
    .kernarg_segment_size: 96
    .language:       OpenCL C
    .language_version:
      - 2
      - 0
    .max_flat_workgroup_size: 256
    .name:           _ZN2ck27kernel_gemm_xdl_cshuffle_v1INS_43GridwiseGemm_k0mk1_k0nk1_mn_xdl_cshuffle_v1INS_13tensor_layout4gemm8RowMajorENS3_11ColumnMajorES4_NS_9f8_fnuz_tENS_10bf8_fnuz_tEffDF16_NS_16tensor_operation12element_wise11PassThroughESA_SA_LNS8_6device18GemmSpecializationE0ELNS_25InMemoryDataOperationEnumE0ELi1ELi256ELi256ELi128ELi64ELi16ELi16ELi16ELi16ELi8ELi4ENS_8SequenceIJLi4ELi64ELi1EEEENSE_IJLi1ELi0ELi2EEEESG_Li2ELi16ELi16ELb0ELi1ESF_SG_SG_Li2ELi8ELi8ELb0ELi1ELi1ELi1ENSE_IJLi1ELi32ELi1ELi8EEEELi4ELNS_13LoopSchedulerE0ELNS_15PipelineVersionE0ES6_S7_EELb0EEEvNT_8ArgumentE
    .private_segment_fixed_size: 1168
    .sgpr_count:     39
    .sgpr_spill_count: 0
    .symbol:         _ZN2ck27kernel_gemm_xdl_cshuffle_v1INS_43GridwiseGemm_k0mk1_k0nk1_mn_xdl_cshuffle_v1INS_13tensor_layout4gemm8RowMajorENS3_11ColumnMajorES4_NS_9f8_fnuz_tENS_10bf8_fnuz_tEffDF16_NS_16tensor_operation12element_wise11PassThroughESA_SA_LNS8_6device18GemmSpecializationE0ELNS_25InMemoryDataOperationEnumE0ELi1ELi256ELi256ELi128ELi64ELi16ELi16ELi16ELi16ELi8ELi4ENS_8SequenceIJLi4ELi64ELi1EEEENSE_IJLi1ELi0ELi2EEEESG_Li2ELi16ELi16ELb0ELi1ESF_SG_SG_Li2ELi8ELi8ELb0ELi1ELi1ELi1ENSE_IJLi1ELi32ELi1ELi8EEEELi4ELNS_13LoopSchedulerE0ELNS_15PipelineVersionE0ES6_S7_EELb0EEEvNT_8ArgumentE.kd
    .uniform_work_group_size: 1
    .uses_dynamic_stack: false
    .vgpr_count:     96
    .vgpr_spill_count: 0
    .wavefront_size: 64
  - .agpr_count:     0
    .args:
      - .offset:         0
        .size:           96
        .value_kind:     by_value
    .group_segment_fixed_size: 0
    .kernarg_segment_align: 8
    .kernarg_segment_size: 96
    .language:       OpenCL C
    .language_version:
      - 2
      - 0
    .max_flat_workgroup_size: 256
    .name:           _ZN2ck27kernel_gemm_xdl_cshuffle_v1INS_43GridwiseGemm_k0mk1_k0nk1_mn_xdl_cshuffle_v1INS_13tensor_layout4gemm8RowMajorENS3_11ColumnMajorES4_NS_9f8_fnuz_tENS_10bf8_fnuz_tEffDF16_NS_16tensor_operation12element_wise11PassThroughESA_SA_LNS8_6device18GemmSpecializationE0ELNS_25InMemoryDataOperationEnumE0ELi1ELi256ELi256ELi128ELi64ELi16ELi16ELi16ELi16ELi8ELi2ENS_8SequenceIJLi4ELi64ELi1EEEENSE_IJLi1ELi0ELi2EEEESG_Li2ELi16ELi16ELb0ELi1ESF_SG_SG_Li2ELi8ELi8ELb0ELi1ELi1ELi1ENSE_IJLi1ELi32ELi1ELi8EEEELi4ELNS_13LoopSchedulerE0ELNS_15PipelineVersionE0ES6_S7_EELb1EEEvNT_8ArgumentE
    .private_segment_fixed_size: 0
    .sgpr_count:     4
    .sgpr_spill_count: 0
    .symbol:         _ZN2ck27kernel_gemm_xdl_cshuffle_v1INS_43GridwiseGemm_k0mk1_k0nk1_mn_xdl_cshuffle_v1INS_13tensor_layout4gemm8RowMajorENS3_11ColumnMajorES4_NS_9f8_fnuz_tENS_10bf8_fnuz_tEffDF16_NS_16tensor_operation12element_wise11PassThroughESA_SA_LNS8_6device18GemmSpecializationE0ELNS_25InMemoryDataOperationEnumE0ELi1ELi256ELi256ELi128ELi64ELi16ELi16ELi16ELi16ELi8ELi2ENS_8SequenceIJLi4ELi64ELi1EEEENSE_IJLi1ELi0ELi2EEEESG_Li2ELi16ELi16ELb0ELi1ESF_SG_SG_Li2ELi8ELi8ELb0ELi1ELi1ELi1ENSE_IJLi1ELi32ELi1ELi8EEEELi4ELNS_13LoopSchedulerE0ELNS_15PipelineVersionE0ES6_S7_EELb1EEEvNT_8ArgumentE.kd
    .uniform_work_group_size: 1
    .uses_dynamic_stack: false
    .vgpr_count:     0
    .vgpr_spill_count: 0
    .wavefront_size: 64
  - .agpr_count:     0
    .args:
      - .offset:         0
        .size:           96
        .value_kind:     by_value
    .group_segment_fixed_size: 0
    .kernarg_segment_align: 8
    .kernarg_segment_size: 96
    .language:       OpenCL C
    .language_version:
      - 2
      - 0
    .max_flat_workgroup_size: 256
    .name:           _ZN2ck27kernel_gemm_xdl_cshuffle_v1INS_43GridwiseGemm_k0mk1_k0nk1_mn_xdl_cshuffle_v1INS_13tensor_layout4gemm8RowMajorENS3_11ColumnMajorES4_NS_9f8_fnuz_tENS_10bf8_fnuz_tEffDF16_NS_16tensor_operation12element_wise11PassThroughESA_SA_LNS8_6device18GemmSpecializationE0ELNS_25InMemoryDataOperationEnumE0ELi1ELi256ELi256ELi128ELi64ELi16ELi16ELi16ELi16ELi8ELi2ENS_8SequenceIJLi4ELi64ELi1EEEENSE_IJLi1ELi0ELi2EEEESG_Li2ELi16ELi16ELb0ELi1ESF_SG_SG_Li2ELi8ELi8ELb0ELi1ELi1ELi1ENSE_IJLi1ELi32ELi1ELi8EEEELi4ELNS_13LoopSchedulerE0ELNS_15PipelineVersionE0ES6_S7_EELb0EEEvNT_8ArgumentE
    .private_segment_fixed_size: 0
    .sgpr_count:     4
    .sgpr_spill_count: 0
    .symbol:         _ZN2ck27kernel_gemm_xdl_cshuffle_v1INS_43GridwiseGemm_k0mk1_k0nk1_mn_xdl_cshuffle_v1INS_13tensor_layout4gemm8RowMajorENS3_11ColumnMajorES4_NS_9f8_fnuz_tENS_10bf8_fnuz_tEffDF16_NS_16tensor_operation12element_wise11PassThroughESA_SA_LNS8_6device18GemmSpecializationE0ELNS_25InMemoryDataOperationEnumE0ELi1ELi256ELi256ELi128ELi64ELi16ELi16ELi16ELi16ELi8ELi2ENS_8SequenceIJLi4ELi64ELi1EEEENSE_IJLi1ELi0ELi2EEEESG_Li2ELi16ELi16ELb0ELi1ESF_SG_SG_Li2ELi8ELi8ELb0ELi1ELi1ELi1ENSE_IJLi1ELi32ELi1ELi8EEEELi4ELNS_13LoopSchedulerE0ELNS_15PipelineVersionE0ES6_S7_EELb0EEEvNT_8ArgumentE.kd
    .uniform_work_group_size: 1
    .uses_dynamic_stack: false
    .vgpr_count:     0
    .vgpr_spill_count: 0
    .wavefront_size: 64
  - .agpr_count:     0
    .args:
      - .actual_access:  read_only
        .address_space:  global
        .offset:         0
        .size:           8
        .value_kind:     global_buffer
      - .actual_access:  read_only
        .address_space:  global
        .offset:         8
        .size:           8
        .value_kind:     global_buffer
      - .actual_access:  write_only
        .address_space:  global
        .offset:         16
        .size:           8
        .value_kind:     global_buffer
      - .offset:         24
        .size:           4
        .value_kind:     by_value
      - .offset:         28
        .size:           4
        .value_kind:     by_value
      - .offset:         32
        .size:           4
        .value_kind:     by_value
      - .offset:         36
        .size:           1
        .value_kind:     by_value
      - .offset:         37
        .size:           1
        .value_kind:     by_value
      - .offset:         38
        .size:           1
        .value_kind:     by_value
      - .offset:         40
        .size:           4
        .value_kind:     hidden_block_count_x
      - .offset:         44
        .size:           4
        .value_kind:     hidden_block_count_y
      - .offset:         48
        .size:           4
        .value_kind:     hidden_block_count_z
      - .offset:         52
        .size:           2
        .value_kind:     hidden_group_size_x
      - .offset:         54
        .size:           2
        .value_kind:     hidden_group_size_y
      - .offset:         56
        .size:           2
        .value_kind:     hidden_group_size_z
      - .offset:         58
        .size:           2
        .value_kind:     hidden_remainder_x
      - .offset:         60
        .size:           2
        .value_kind:     hidden_remainder_y
      - .offset:         62
        .size:           2
        .value_kind:     hidden_remainder_z
      - .offset:         80
        .size:           8
        .value_kind:     hidden_global_offset_x
      - .offset:         88
        .size:           8
        .value_kind:     hidden_global_offset_y
      - .offset:         96
        .size:           8
        .value_kind:     hidden_global_offset_z
      - .offset:         104
        .size:           2
        .value_kind:     hidden_grid_dims
    .group_segment_fixed_size: 0
    .kernarg_segment_align: 8
    .kernarg_segment_size: 296
    .language:       OpenCL C
    .language_version:
      - 2
      - 0
    .max_flat_workgroup_size: 256
    .name:           _ZN2ck17naive_gemm_kernelINS_13tensor_layout4gemm8RowMajorENS2_11ColumnMajorES3_NS_9f8_fnuz_tENS_10bf8_fnuz_tEDF16_fNS_16tensor_operation12element_wise11PassThroughES9_S9_DF16_DF16_EEvPKT2_PKT3_PT4_iiiT6_T7_T8_
    .private_segment_fixed_size: 0
    .sgpr_count:     18
    .sgpr_spill_count: 0
    .symbol:         _ZN2ck17naive_gemm_kernelINS_13tensor_layout4gemm8RowMajorENS2_11ColumnMajorES3_NS_9f8_fnuz_tENS_10bf8_fnuz_tEDF16_fNS_16tensor_operation12element_wise11PassThroughES9_S9_DF16_DF16_EEvPKT2_PKT3_PT4_iiiT6_T7_T8_.kd
    .uniform_work_group_size: 1
    .uses_dynamic_stack: false
    .vgpr_count:     16
    .vgpr_spill_count: 0
    .wavefront_size: 64
amdhsa.target:   amdgcn-amd-amdhsa--gfx90a
amdhsa.version:
  - 1
  - 2
...

	.end_amdgpu_metadata
